;; amdgpu-corpus repo=ROCm/rocBLAS kind=compiled arch=gfx950 opt=O3
	.amdgcn_target "amdgcn-amd-amdhsa--gfx950"
	.amdhsa_code_object_version 6
	.section	.text._ZL30rocblas_trmm_outofplace_kernelIfLi32ELi2ELb1ELb0ELb0ELb0EPKfS0_fEv17rocblas_diagonal_iiT6_lPT7_lllS5_lllPT8_llli,"axG",@progbits,_ZL30rocblas_trmm_outofplace_kernelIfLi32ELi2ELb1ELb0ELb0ELb0EPKfS0_fEv17rocblas_diagonal_iiT6_lPT7_lllS5_lllPT8_llli,comdat
	.globl	_ZL30rocblas_trmm_outofplace_kernelIfLi32ELi2ELb1ELb0ELb0ELb0EPKfS0_fEv17rocblas_diagonal_iiT6_lPT7_lllS5_lllPT8_llli ; -- Begin function _ZL30rocblas_trmm_outofplace_kernelIfLi32ELi2ELb1ELb0ELb0ELb0EPKfS0_fEv17rocblas_diagonal_iiT6_lPT7_lllS5_lllPT8_llli
	.p2align	8
	.type	_ZL30rocblas_trmm_outofplace_kernelIfLi32ELi2ELb1ELb0ELb0ELb0EPKfS0_fEv17rocblas_diagonal_iiT6_lPT7_lllS5_lllPT8_llli,@function
_ZL30rocblas_trmm_outofplace_kernelIfLi32ELi2ELb1ELb0ELb0ELb0EPKfS0_fEv17rocblas_diagonal_iiT6_lPT7_lllS5_lllPT8_llli: ; @_ZL30rocblas_trmm_outofplace_kernelIfLi32ELi2ELb1ELb0ELb0ELb0EPKfS0_fEv17rocblas_diagonal_iiT6_lPT7_lllS5_lllPT8_llli
; %bb.0:
	s_load_dwordx16 s[16:31], s[0:1], 0x10
	s_waitcnt lgkmcnt(0)
	s_mul_i32 s5, s19, s4
	s_mul_hi_u32 s6, s18, s4
	s_add_i32 s7, s6, s5
	s_mul_i32 s6, s18, s4
	s_lshl_b64 s[6:7], s[6:7], 2
	s_add_u32 s6, s16, s6
	s_addc_u32 s7, s17, s7
	s_load_dword s33, s[6:7], 0x0
	s_waitcnt lgkmcnt(0)
	v_cmp_eq_f32_e64 s[6:7], s33, 0
	s_and_b64 vcc, exec, s[6:7]
	s_cbranch_vccnz .LBB0_51
; %bb.1:
	s_load_dwordx4 s[44:47], s[0:1], 0x0
	s_waitcnt lgkmcnt(0)
	s_add_i32 s5, s46, -1
	s_ashr_i32 s6, s5, 31
	s_lshr_b32 s6, s6, 27
	s_add_i32 s5, s5, s6
	s_ashr_i32 s47, s5, 5
	s_cmp_gt_i32 s3, s47
	s_cbranch_scc1 .LBB0_51
; %bb.2:
	s_load_dwordx8 s[36:43], s[0:1], 0x50
	s_load_dwordx4 s[48:51], s[0:1], 0x70
	s_mul_i32 s5, s27, s4
	s_mul_hi_u32 s6, s26, s4
	s_add_i32 s7, s6, s5
	s_mul_i32 s6, s26, s4
	s_lshl_b64 s[8:9], s[6:7], 2
	s_add_u32 s5, s20, s8
	s_addc_u32 s7, s21, s9
	s_lshl_b64 s[10:11], s[22:23], 2
	s_add_u32 s6, s5, s10
	s_load_dword s52, s[0:1], 0x8c
	s_waitcnt lgkmcnt(0)
	s_mul_i32 s0, s51, s4
	s_mul_hi_u32 s1, s50, s4
	s_addc_u32 s7, s7, s11
	s_add_i32 s1, s1, s0
	s_mul_i32 s0, s50, s4
	s_lshl_b64 s[0:1], s[0:1], 2
	s_add_u32 s5, s40, s0
	s_addc_u32 s12, s41, s1
	s_lshl_b64 s[0:1], s[42:43], 2
	s_add_u32 s18, s5, s0
	s_addc_u32 s19, s12, s1
	s_lshl_b32 s50, s2, 5
	s_cmp_gt_i32 s2, -1
	s_cselect_b64 s[22:23], -1, 0
	s_cmpk_eq_i32 s44, 0x84
	s_cselect_b64 s[26:27], -1, 0
	s_ashr_i32 s35, s45, 31
	s_ashr_i32 s2, s46, 31
	s_lshl_b64 s[40:41], s[24:25], 7
	v_bfe_u32 v12, v0, 10, 10
	s_add_u32 s42, s45, -16
	v_and_b32_e32 v14, 0x3ff, v0
	v_mad_u64_u32 v[0:1], s[0:1], s24, v12, 0
	s_addc_u32 s43, s35, -1
	v_mov_b32_e32 v2, v1
	s_add_u32 s5, s20, s10
	v_mad_u64_u32 v[2:3], s[0:1], s25, v12, v[2:3]
	s_addc_u32 s10, s21, s11
	v_mov_b32_e32 v1, v2
	s_add_u32 s8, s5, s8
	v_lshl_add_u64 v[18:19], v[0:1], 2, s[6:7]
	v_lshlrev_b32_e32 v0, 7, v12
	v_lshlrev_b32_e32 v20, 2, v14
	s_addc_u32 s9, s10, s9
	v_add_u32_e32 v41, v20, v0
	v_add_u32_e32 v52, 0x1000, v0
	v_lshl_add_u32 v2, v12, 2, 64
	v_mov_b64_e32 v[0:1], s[8:9]
	v_mad_u64_u32 v[34:35], s[8:9], s24, v2, v[0:1]
	v_mov_b32_e32 v0, v35
	v_mad_u64_u32 v[0:1], s[8:9], s25, v2, v[0:1]
	s_mul_i32 s5, s39, s4
	s_mul_hi_u32 s8, s38, s4
	s_add_i32 s5, s8, s5
	s_mul_i32 s4, s38, s4
	s_lshl_b64 s[4:5], s[4:5], 2
	s_lshl_b64 s[8:9], s[30:31], 2
	s_add_u32 s4, s4, s8
	s_addc_u32 s5, s5, s9
	v_mov_b32_e32 v13, 0
	v_add_u32_e32 v16, s50, v14
	s_add_u32 s4, s28, s4
	v_ashrrev_i32_e32 v17, 31, v16
	v_sub_co_u32_e32 v26, vcc, v16, v12
	v_mov_b32_e32 v21, v13
	s_addc_u32 s5, s29, s5
	s_mov_b32 s34, s45
	v_lshl_add_u64 v[22:23], v[16:17], 0, 16
	v_add_u32_e32 v24, 16, v16
	v_subbrev_co_u32_e32 v27, vcc, 0, v17, vcc
	v_mov_b32_e32 v35, v0
	v_lshl_add_u64 v[0:1], s[4:5], 0, v[20:21]
	v_mov_b32_e32 v15, v13
	v_add_u32_e32 v53, v52, v20
	v_cmp_le_i32_e64 s[0:1], s45, v16
	v_cmp_le_i64_e64 s[14:15], s[34:35], v[22:23]
	v_cmp_gt_i32_e64 s[16:17], s45, v16
	v_cmp_gt_i32_e64 s[6:7], s45, v24
	v_ashrrev_i32_e32 v25, 31, v24
	v_lshl_add_u64 v[28:29], v[26:27], 0, 16
	v_lshl_add_u64 v[30:31], v[26:27], 0, -16
	v_lshlrev_b64 v[32:33], 2, v[16:17]
	v_lshl_add_u64 v[36:37], v[0:1], 0, 64
	s_lshl_b64 s[20:21], s[36:37], 2
	v_lshl_add_u32 v38, s3, 5, v12
	s_lshl_b32 s44, s52, 5
	v_mov_b32_e32 v54, 1.0
	s_mov_b64 s[24:25], 0x80
	s_branch .LBB0_4
.LBB0_3:                                ;   in Loop: Header=BB0_4 Depth=1
	s_or_b64 exec, exec, s[4:5]
	s_add_i32 s3, s52, s3
	s_cmp_le_i32 s3, s47
	v_add_u32_e32 v38, s44, v38
	s_cbranch_scc0 .LBB0_51
.LBB0_4:                                ; =>This Loop Header: Depth=1
                                        ;     Child Loop BB0_7 Depth 2
	v_lshl_add_u32 v40, s3, 5, v12
	v_ashrrev_i32_e32 v21, 31, v40
	s_andn2_b64 vcc, exec, s[22:23]
	v_mov_b32_e32 v9, 0
	v_mov_b32_e32 v8, 0
	;; [unrolled: 1-line block ×4, first 2 shown]
	s_cbranch_vccnz .LBB0_43
; %bb.5:                                ;   in Loop: Header=BB0_4 Depth=1
	v_ashrrev_i32_e32 v39, 31, v38
	v_mad_u64_u32 v[42:43], s[4:5], s20, v38, v[36:37]
	v_mul_lo_u32 v0, s21, v38
	v_mul_lo_u32 v1, s20, v39
	v_add3_u32 v43, v0, v43, v1
	v_lshl_add_u64 v[0:1], v[38:39], 2, 64
	v_mul_lo_u32 v1, s36, v1
	v_mul_lo_u32 v2, s37, v0
	v_mad_u64_u32 v[44:45], s[4:5], s36, v0, v[36:37]
	v_add3_u32 v45, v2, v45, v1
	v_mov_b32_e32 v1, s2
	v_sub_co_u32_e32 v0, vcc, s46, v40
	v_mov_b32_e32 v50, 0
	s_nop 0
	v_subb_co_u32_e32 v1, vcc, v1, v21, vcc
	s_mov_b64 s[28:29], 0
	v_cmp_lt_i64_e32 vcc, 0, v[0:1]
	v_cmp_lt_i64_e64 s[8:9], 16, v[0:1]
	v_mov_b64_e32 v[46:47], v[18:19]
	v_mov_b64_e32 v[48:49], v[34:35]
	v_mov_b32_e32 v51, v50
	v_mov_b32_e32 v8, v50
	;; [unrolled: 1-line block ×3, first 2 shown]
	s_branch .LBB0_7
.LBB0_6:                                ;   in Loop: Header=BB0_7 Depth=2
	s_or_b64 exec, exec, s[4:5]
	s_waitcnt lgkmcnt(0)
	s_barrier
	ds_read_b128 v[56:59], v52
	ds_read_b128 v[60:63], v52 offset:16
	ds_read_b128 v[4:7], v52 offset:32
	;; [unrolled: 1-line block ×3, first 2 shown]
	ds_read2_b32 v[72:73], v20 offset1:16
	ds_read2_b32 v[74:75], v20 offset0:32 offset1:48
	ds_read2_b32 v[76:77], v20 offset0:64 offset1:80
	;; [unrolled: 1-line block ×4, first 2 shown]
	ds_read_b128 v[64:67], v52 offset:2048
	ds_read_b128 v[68:71], v52 offset:2064
	ds_read2_b32 v[82:83], v20 offset0:160 offset1:176
	ds_read2_b32 v[84:85], v20 offset0:192 offset1:208
	;; [unrolled: 1-line block ×3, first 2 shown]
	s_waitcnt lgkmcnt(9)
	v_pk_fma_f32 v[8:9], v[72:73], v[56:57], v[8:9] op_sel_hi:[1,0,1]
	v_add_u32_e32 v39, 0x400, v20
	s_waitcnt lgkmcnt(8)
	v_pk_fma_f32 v[8:9], v[74:75], v[56:57], v[8:9] op_sel:[0,1,0]
	ds_read2_b32 v[88:89], v39 offset1:16
	s_waitcnt lgkmcnt(8)
	v_pk_fma_f32 v[56:57], v[76:77], v[58:59], v[8:9] op_sel_hi:[1,0,1]
	v_mov_b32_e32 v58, v59
	s_waitcnt lgkmcnt(7)
	v_pk_fma_f32 v[56:57], v[78:79], v[58:59], v[56:57] op_sel_hi:[1,0,1]
	ds_read2_b32 v[90:91], v39 offset0:32 offset1:48
	s_waitcnt lgkmcnt(7)
	v_pk_fma_f32 v[56:57], v[80:81], v[60:61], v[56:57] op_sel_hi:[1,0,1]
	v_mov_b32_e32 v58, v63
	s_waitcnt lgkmcnt(4)
	v_pk_fma_f32 v[56:57], v[82:83], v[60:61], v[56:57] op_sel:[0,1,0]
	v_pk_fma_f32 v[50:51], v[72:73], v[64:65], v[50:51] op_sel_hi:[1,0,1]
	s_waitcnt lgkmcnt(3)
	v_pk_fma_f32 v[56:57], v[84:85], v[62:63], v[56:57] op_sel_hi:[1,0,1]
	v_pk_fma_f32 v[50:51], v[74:75], v[64:65], v[50:51] op_sel:[0,1,0]
	s_waitcnt lgkmcnt(2)
	v_pk_fma_f32 v[56:57], v[86:87], v[58:59], v[56:57] op_sel_hi:[1,0,1]
	v_pk_fma_f32 v[50:51], v[76:77], v[66:67], v[50:51] op_sel_hi:[1,0,1]
	s_waitcnt lgkmcnt(1)
	v_pk_fma_f32 v[56:57], v[88:89], v[4:5], v[56:57] op_sel_hi:[1,0,1]
	ds_read_b128 v[8:11], v52 offset:2080
	s_waitcnt lgkmcnt(1)
	v_pk_fma_f32 v[4:5], v[90:91], v[4:5], v[56:57] op_sel:[0,1,0]
	v_mov_b32_e32 v56, v67
	v_pk_fma_f32 v[50:51], v[78:79], v[56:57], v[50:51] op_sel_hi:[1,0,1]
	v_mov_b32_e32 v56, v71
	v_pk_fma_f32 v[50:51], v[80:81], v[68:69], v[50:51] op_sel_hi:[1,0,1]
	s_add_u32 s28, s28, 32
	v_pk_fma_f32 v[50:51], v[82:83], v[68:69], v[50:51] op_sel:[0,1,0]
	s_addc_u32 s29, s29, 0
	v_pk_fma_f32 v[50:51], v[84:85], v[70:71], v[50:51] op_sel_hi:[1,0,1]
	s_sub_i32 s4, s28, 32
	v_pk_fma_f32 v[50:51], v[86:87], v[56:57], v[50:51] op_sel_hi:[1,0,1]
	ds_read_b128 v[56:59], v52 offset:2096
	s_waitcnt lgkmcnt(1)
	v_pk_fma_f32 v[50:51], v[88:89], v[8:9], v[50:51] op_sel_hi:[1,0,1]
	v_lshl_add_u64 v[48:49], v[48:49], 0, s[40:41]
	v_pk_fma_f32 v[8:9], v[90:91], v[8:9], v[50:51] op_sel:[0,1,0]
	ds_read2_b32 v[50:51], v39 offset0:64 offset1:80
	ds_read2_b32 v[68:69], v39 offset0:96 offset1:112
	;; [unrolled: 1-line block ×6, first 2 shown]
	s_waitcnt lgkmcnt(5)
	v_pk_fma_f32 v[4:5], v[50:51], v[6:7], v[4:5] op_sel_hi:[1,0,1]
	v_mov_b32_e32 v6, v7
	v_add_u32_e32 v39, 0x800, v20
	s_waitcnt lgkmcnt(4)
	v_pk_fma_f32 v[4:5], v[68:69], v[6:7], v[4:5] op_sel_hi:[1,0,1]
	ds_read2_b32 v[78:79], v39 offset1:16
	ds_read2_b32 v[80:81], v39 offset0:32 offset1:48
	ds_read2_b32 v[82:83], v39 offset0:64 offset1:80
	;; [unrolled: 1-line block ×3, first 2 shown]
	ds_read_b128 v[60:63], v52 offset:64
	ds_read_b128 v[64:67], v52 offset:80
	s_waitcnt lgkmcnt(9)
	v_pk_fma_f32 v[4:5], v[70:71], v[0:1], v[4:5] op_sel_hi:[1,0,1]
	ds_read2_b32 v[86:87], v39 offset0:128 offset1:144
	s_waitcnt lgkmcnt(9)
	v_pk_fma_f32 v[0:1], v[72:73], v[0:1], v[4:5] op_sel:[0,1,0]
	v_pk_fma_f32 v[8:9], v[50:51], v[10:11], v[8:9] op_sel_hi:[1,0,1]
	s_waitcnt lgkmcnt(8)
	v_pk_fma_f32 v[0:1], v[74:75], v[2:3], v[0:1] op_sel_hi:[1,0,1]
	v_mov_b32_e32 v2, v3
	s_waitcnt lgkmcnt(7)
	v_pk_fma_f32 v[0:1], v[76:77], v[2:3], v[0:1] op_sel_hi:[1,0,1]
	s_waitcnt lgkmcnt(2)
	v_mov_b32_e32 v2, v63
	v_pk_fma_f32 v[0:1], v[78:79], v[60:61], v[0:1] op_sel_hi:[1,0,1]
	v_mov_b32_e32 v10, v11
	v_pk_fma_f32 v[0:1], v[80:81], v[60:61], v[0:1] op_sel:[0,1,0]
	v_pk_fma_f32 v[8:9], v[68:69], v[10:11], v[8:9] op_sel_hi:[1,0,1]
	v_pk_fma_f32 v[0:1], v[82:83], v[62:63], v[0:1] op_sel_hi:[1,0,1]
	;; [unrolled: 1-line block ×4, first 2 shown]
	v_pk_fma_f32 v[8:9], v[72:73], v[56:57], v[8:9] op_sel:[0,1,0]
	s_waitcnt lgkmcnt(0)
	v_pk_fma_f32 v[88:89], v[86:87], v[64:65], v[0:1] op_sel_hi:[1,0,1]
	ds_read_b128 v[0:3], v52 offset:2112
	ds_read_b128 v[4:7], v52 offset:2128
	v_pk_fma_f32 v[8:9], v[74:75], v[58:59], v[8:9] op_sel_hi:[1,0,1]
	v_mov_b32_e32 v10, v59
	ds_read2_b32 v[68:69], v39 offset0:160 offset1:176
	ds_read2_b32 v[70:71], v39 offset0:192 offset1:208
	;; [unrolled: 1-line block ×3, first 2 shown]
	v_pk_fma_f32 v[8:9], v[76:77], v[10:11], v[8:9] op_sel_hi:[1,0,1]
	v_add_u32_e32 v39, 0xc00, v20
	s_waitcnt lgkmcnt(4)
	v_pk_fma_f32 v[8:9], v[78:79], v[0:1], v[8:9] op_sel_hi:[1,0,1]
	s_waitcnt lgkmcnt(2)
	v_pk_fma_f32 v[64:65], v[68:69], v[64:65], v[88:89] op_sel:[0,1,0]
	v_pk_fma_f32 v[0:1], v[80:81], v[0:1], v[8:9] op_sel:[0,1,0]
	s_waitcnt lgkmcnt(1)
	v_pk_fma_f32 v[64:65], v[70:71], v[66:67], v[64:65] op_sel_hi:[1,0,1]
	v_pk_fma_f32 v[0:1], v[82:83], v[2:3], v[0:1] op_sel_hi:[1,0,1]
	v_mov_b32_e32 v2, v3
	v_mov_b32_e32 v66, v67
	v_pk_fma_f32 v[0:1], v[84:85], v[2:3], v[0:1] op_sel_hi:[1,0,1]
	s_waitcnt lgkmcnt(0)
	v_pk_fma_f32 v[64:65], v[72:73], v[66:67], v[64:65] op_sel_hi:[1,0,1]
	v_pk_fma_f32 v[50:51], v[86:87], v[4:5], v[0:1] op_sel_hi:[1,0,1]
	ds_read2_b32 v[74:75], v39 offset1:16
	ds_read2_b32 v[76:77], v39 offset0:32 offset1:48
	ds_read2_b32 v[78:79], v39 offset0:64 offset1:80
	;; [unrolled: 1-line block ×3, first 2 shown]
	ds_read_b128 v[0:3], v52 offset:96
	ds_read_b128 v[8:11], v52 offset:112
	ds_read2_b32 v[82:83], v39 offset0:128 offset1:144
	ds_read_b128 v[56:59], v52 offset:2144
	ds_read_b128 v[60:63], v52 offset:2160
	ds_read2_b32 v[84:85], v39 offset0:160 offset1:176
	ds_read2_b32 v[86:87], v39 offset0:192 offset1:208
	s_waitcnt lgkmcnt(6)
	v_pk_fma_f32 v[64:65], v[74:75], v[0:1], v[64:65] op_sel_hi:[1,0,1]
	ds_read2_b32 v[88:89], v39 offset0:224 offset1:240
	v_pk_fma_f32 v[0:1], v[76:77], v[0:1], v[64:65] op_sel:[0,1,0]
	v_lshl_add_u64 v[42:43], v[42:43], 0, s[24:25]
	v_pk_fma_f32 v[0:1], v[78:79], v[2:3], v[0:1] op_sel_hi:[1,0,1]
	v_mov_b32_e32 v2, v3
	v_pk_fma_f32 v[0:1], v[80:81], v[2:3], v[0:1] op_sel_hi:[1,0,1]
	s_waitcnt lgkmcnt(6)
	v_mov_b32_e32 v2, v11
	s_waitcnt lgkmcnt(5)
	v_pk_fma_f32 v[0:1], v[82:83], v[8:9], v[0:1] op_sel_hi:[1,0,1]
	v_lshl_add_u64 v[46:47], v[46:47], 0, s[40:41]
	s_waitcnt lgkmcnt(2)
	v_pk_fma_f32 v[0:1], v[84:85], v[8:9], v[0:1] op_sel:[0,1,0]
	s_cmp_ge_i32 s4, s50
	s_waitcnt lgkmcnt(1)
	v_pk_fma_f32 v[0:1], v[86:87], v[10:11], v[0:1] op_sel_hi:[1,0,1]
	v_lshl_add_u64 v[44:45], v[44:45], 0, s[24:25]
	s_waitcnt lgkmcnt(0)
	v_pk_fma_f32 v[8:9], v[88:89], v[2:3], v[0:1] op_sel_hi:[1,0,1]
	v_pk_fma_f32 v[0:1], v[68:69], v[4:5], v[50:51] op_sel:[0,1,0]
	v_mov_b32_e32 v2, v7
	v_pk_fma_f32 v[0:1], v[70:71], v[6:7], v[0:1] op_sel_hi:[1,0,1]
	s_nop 0
	v_pk_fma_f32 v[0:1], v[72:73], v[2:3], v[0:1] op_sel_hi:[1,0,1]
	v_mov_b32_e32 v2, v59
	v_pk_fma_f32 v[0:1], v[74:75], v[56:57], v[0:1] op_sel_hi:[1,0,1]
	s_barrier
	v_pk_fma_f32 v[0:1], v[76:77], v[56:57], v[0:1] op_sel:[0,1,0]
	s_nop 0
	v_pk_fma_f32 v[0:1], v[78:79], v[58:59], v[0:1] op_sel_hi:[1,0,1]
	s_nop 0
	v_pk_fma_f32 v[0:1], v[80:81], v[2:3], v[0:1] op_sel_hi:[1,0,1]
	v_mov_b32_e32 v2, v63
	v_pk_fma_f32 v[0:1], v[82:83], v[60:61], v[0:1] op_sel_hi:[1,0,1]
	s_nop 0
	v_pk_fma_f32 v[0:1], v[84:85], v[60:61], v[0:1] op_sel:[0,1,0]
	s_nop 0
	v_pk_fma_f32 v[0:1], v[86:87], v[62:63], v[0:1] op_sel_hi:[1,0,1]
	s_nop 0
	v_pk_fma_f32 v[50:51], v[88:89], v[2:3], v[0:1] op_sel_hi:[1,0,1]
	s_cbranch_scc1 .LBB0_43
.LBB0_7:                                ;   Parent Loop BB0_4 Depth=1
                                        ; =>  This Inner Loop Header: Depth=2
	v_lshl_add_u64 v[0:1], v[12:13], 0, s[28:29]
	v_cmp_le_i64_e64 s[12:13], s[34:35], v[0:1]
	v_cmp_eq_u64_e64 s[4:5], s[28:29], v[26:27]
	v_cmp_gt_i64_e64 s[10:11], v[0:1], v[16:17]
	s_and_b64 s[30:31], s[26:27], s[4:5]
	s_or_b64 s[4:5], s[12:13], s[10:11]
	s_or_b64 s[4:5], s[4:5], s[30:31]
	v_lshl_add_u64 v[2:3], v[46:47], 0, v[32:33]
	s_nor_b64 s[4:5], s[0:1], s[4:5]
                                        ; implicit-def: $vgpr4
	s_and_saveexec_b64 s[38:39], s[4:5]
	s_xor_b64 s[4:5], exec, s[38:39]
	s_cbranch_execz .LBB0_9
; %bb.8:                                ;   in Loop: Header=BB0_7 Depth=2
	global_load_dword v4, v[2:3], off
.LBB0_9:                                ;   in Loop: Header=BB0_7 Depth=2
	s_andn2_saveexec_b64 s[4:5], s[4:5]
	s_cbranch_execz .LBB0_11
; %bb.10:                               ;   in Loop: Header=BB0_7 Depth=2
	s_waitcnt vmcnt(0)
	v_cndmask_b32_e64 v4, 0, 1.0, s[30:31]
.LBB0_11:                               ;   in Loop: Header=BB0_7 Depth=2
	s_or_b64 exec, exec, s[4:5]
	v_cmp_eq_u64_e64 s[4:5], s[28:29], v[28:29]
	s_and_b64 s[38:39], s[26:27], s[4:5]
	v_cmp_lt_i64_e64 s[4:5], v[22:23], v[0:1]
	s_or_b64 s[4:5], s[12:13], s[4:5]
	s_or_b64 s[4:5], s[4:5], s[38:39]
	s_nor_b64 s[4:5], s[14:15], s[4:5]
	s_waitcnt vmcnt(0)
	ds_write_b32 v41, v4
	s_and_saveexec_b64 s[12:13], s[4:5]
	s_xor_b64 s[4:5], exec, s[12:13]
	s_cbranch_execz .LBB0_13
; %bb.12:                               ;   in Loop: Header=BB0_7 Depth=2
	global_load_dword v2, v[2:3], off offset:64
	s_waitcnt vmcnt(0)
	ds_write_b32 v41, v2 offset:64
.LBB0_13:                               ;   in Loop: Header=BB0_7 Depth=2
	s_andn2_saveexec_b64 s[4:5], s[4:5]
	s_cbranch_execz .LBB0_19
; %bb.14:                               ;   in Loop: Header=BB0_7 Depth=2
	s_xor_b64 s[12:13], s[38:39], -1
	s_and_saveexec_b64 s[38:39], s[12:13]
	s_xor_b64 s[12:13], exec, s[38:39]
; %bb.15:                               ;   in Loop: Header=BB0_7 Depth=2
	ds_write_b32 v41, v13 offset:64
; %bb.16:                               ;   in Loop: Header=BB0_7 Depth=2
	s_andn2_saveexec_b64 s[12:13], s[12:13]
; %bb.17:                               ;   in Loop: Header=BB0_7 Depth=2
	ds_write_b32 v41, v54 offset:64
; %bb.18:                               ;   in Loop: Header=BB0_7 Depth=2
	s_or_b64 exec, exec, s[12:13]
.LBB0_19:                               ;   in Loop: Header=BB0_7 Depth=2
	s_or_b64 exec, exec, s[4:5]
	v_lshl_add_u64 v[2:3], v[0:1], 0, 16
	v_cmp_eq_u64_e64 s[4:5], s[28:29], v[30:31]
	v_cmp_le_i64_e64 s[12:13], s[34:35], v[2:3]
	s_and_b64 s[38:39], s[26:27], s[4:5]
	v_cmp_gt_i64_e64 s[4:5], v[2:3], v[16:17]
	s_or_b64 s[4:5], s[12:13], s[4:5]
	s_or_b64 s[4:5], s[4:5], s[38:39]
	v_lshl_add_u64 v[0:1], v[48:49], 0, v[32:33]
	s_nor_b64 s[4:5], s[0:1], s[4:5]
                                        ; implicit-def: $vgpr2
	s_and_saveexec_b64 s[54:55], s[4:5]
	s_xor_b64 s[4:5], exec, s[54:55]
	s_cbranch_execz .LBB0_21
; %bb.20:                               ;   in Loop: Header=BB0_7 Depth=2
	global_load_dword v2, v[0:1], off
.LBB0_21:                               ;   in Loop: Header=BB0_7 Depth=2
	s_andn2_saveexec_b64 s[4:5], s[4:5]
	s_cbranch_execz .LBB0_23
; %bb.22:                               ;   in Loop: Header=BB0_7 Depth=2
	s_waitcnt vmcnt(0)
	v_cndmask_b32_e64 v2, 0, 1.0, s[38:39]
.LBB0_23:                               ;   in Loop: Header=BB0_7 Depth=2
	s_or_b64 exec, exec, s[4:5]
	s_or_b64 s[4:5], s[12:13], s[10:11]
	s_or_b64 s[4:5], s[4:5], s[30:31]
	s_nor_b64 s[4:5], s[14:15], s[4:5]
	s_waitcnt vmcnt(0)
	ds_write_b32 v41, v2 offset:2048
	s_and_saveexec_b64 s[10:11], s[4:5]
	s_xor_b64 s[4:5], exec, s[10:11]
	s_cbranch_execz .LBB0_25
; %bb.24:                               ;   in Loop: Header=BB0_7 Depth=2
	global_load_dword v0, v[0:1], off offset:64
	s_waitcnt vmcnt(0)
	ds_write_b32 v41, v0 offset:2112
.LBB0_25:                               ;   in Loop: Header=BB0_7 Depth=2
	s_andn2_saveexec_b64 s[4:5], s[4:5]
	s_cbranch_execz .LBB0_31
; %bb.26:                               ;   in Loop: Header=BB0_7 Depth=2
	s_xor_b64 s[10:11], s[30:31], -1
	s_and_saveexec_b64 s[12:13], s[10:11]
	s_xor_b64 s[10:11], exec, s[12:13]
; %bb.27:                               ;   in Loop: Header=BB0_7 Depth=2
	ds_write_b32 v41, v13 offset:2112
; %bb.28:                               ;   in Loop: Header=BB0_7 Depth=2
	s_andn2_saveexec_b64 s[10:11], s[10:11]
; %bb.29:                               ;   in Loop: Header=BB0_7 Depth=2
	ds_write_b32 v41, v54 offset:2112
; %bb.30:                               ;   in Loop: Header=BB0_7 Depth=2
	s_or_b64 exec, exec, s[10:11]
.LBB0_31:                               ;   in Loop: Header=BB0_7 Depth=2
	s_or_b64 exec, exec, s[4:5]
	v_lshl_add_u64 v[0:1], v[14:15], 0, s[28:29]
	v_cmp_gt_i64_e64 s[10:11], s[34:35], v[0:1]
	s_and_b64 s[12:13], vcc, s[10:11]
	v_mov_b32_e32 v2, 0
	s_and_saveexec_b64 s[4:5], s[12:13]
	s_cbranch_execz .LBB0_33
; %bb.32:                               ;   in Loop: Header=BB0_7 Depth=2
	global_load_dword v2, v[42:43], off offset:-64
.LBB0_33:                               ;   in Loop: Header=BB0_7 Depth=2
	s_or_b64 exec, exec, s[4:5]
	v_cmp_gt_i64_e64 s[12:13], s[42:43], v[0:1]
	s_and_b64 s[4:5], vcc, s[12:13]
	s_xor_b64 s[4:5], s[4:5], -1
	s_waitcnt vmcnt(0)
	ds_write_b32 v53, v2
	s_and_saveexec_b64 s[30:31], s[4:5]
	s_xor_b64 s[4:5], exec, s[30:31]
; %bb.34:                               ;   in Loop: Header=BB0_7 Depth=2
	ds_write_b32 v53, v13 offset:64
; %bb.35:                               ;   in Loop: Header=BB0_7 Depth=2
	s_andn2_saveexec_b64 s[4:5], s[4:5]
	s_cbranch_execz .LBB0_37
; %bb.36:                               ;   in Loop: Header=BB0_7 Depth=2
	global_load_dword v0, v[42:43], off
	s_waitcnt vmcnt(0)
	ds_write_b32 v53, v0 offset:64
.LBB0_37:                               ;   in Loop: Header=BB0_7 Depth=2
	s_or_b64 exec, exec, s[4:5]
	s_and_b64 s[10:11], s[8:9], s[10:11]
	v_mov_b32_e32 v0, 0
	s_and_saveexec_b64 s[4:5], s[10:11]
	s_cbranch_execz .LBB0_39
; %bb.38:                               ;   in Loop: Header=BB0_7 Depth=2
	global_load_dword v0, v[44:45], off offset:-64
.LBB0_39:                               ;   in Loop: Header=BB0_7 Depth=2
	s_or_b64 exec, exec, s[4:5]
	s_and_b64 s[4:5], s[8:9], s[12:13]
	s_xor_b64 s[4:5], s[4:5], -1
	s_waitcnt vmcnt(0)
	ds_write_b32 v53, v0 offset:2048
	s_and_saveexec_b64 s[10:11], s[4:5]
	s_xor_b64 s[4:5], exec, s[10:11]
; %bb.40:                               ;   in Loop: Header=BB0_7 Depth=2
	ds_write_b32 v53, v13 offset:2112
; %bb.41:                               ;   in Loop: Header=BB0_7 Depth=2
	s_andn2_saveexec_b64 s[4:5], s[4:5]
	s_cbranch_execz .LBB0_6
; %bb.42:                               ;   in Loop: Header=BB0_7 Depth=2
	global_load_dword v0, v[44:45], off
	s_waitcnt vmcnt(0)
	ds_write_b32 v53, v0 offset:2112
	s_branch .LBB0_6
.LBB0_43:                               ;   in Loop: Header=BB0_4 Depth=1
	v_mul_lo_u32 v2, s49, v40
	v_mul_lo_u32 v3, s48, v21
	v_mad_u64_u32 v[0:1], s[4:5], s48, v40, 0
	v_cmp_gt_i32_e32 vcc, s46, v40
	v_add3_u32 v1, v1, v3, v2
	v_lshl_add_u64 v[0:1], v[0:1], 2, s[18:19]
	s_and_b64 s[8:9], s[16:17], vcc
	s_and_saveexec_b64 s[4:5], s[8:9]
	s_cbranch_execz .LBB0_45
; %bb.44:                               ;   in Loop: Header=BB0_4 Depth=1
	v_lshl_add_u64 v[2:3], v[16:17], 2, v[0:1]
	global_load_dword v4, v[2:3], off
	s_waitcnt vmcnt(0)
	v_fmac_f32_e32 v4, s33, v8
	global_store_dword v[2:3], v4, off
.LBB0_45:                               ;   in Loop: Header=BB0_4 Depth=1
	s_or_b64 exec, exec, s[4:5]
	s_and_b64 s[8:9], s[6:7], vcc
	s_and_saveexec_b64 s[4:5], s[8:9]
	s_cbranch_execz .LBB0_47
; %bb.46:                               ;   in Loop: Header=BB0_4 Depth=1
	v_lshl_add_u64 v[0:1], v[24:25], 2, v[0:1]
	global_load_dword v2, v[0:1], off
	s_waitcnt vmcnt(0)
	v_fmac_f32_e32 v2, s33, v9
	global_store_dword v[0:1], v2, off
.LBB0_47:                               ;   in Loop: Header=BB0_4 Depth=1
	s_or_b64 exec, exec, s[4:5]
	v_add_u32_e32 v0, 16, v40
	v_ashrrev_i32_e32 v1, 31, v0
	v_cmp_gt_i32_e32 vcc, s46, v0
	v_mul_lo_u32 v2, s48, v1
	v_mul_lo_u32 v3, s49, v0
	v_mad_u64_u32 v[0:1], s[4:5], s48, v0, 0
	v_add3_u32 v1, v1, v2, v3
	v_lshl_add_u64 v[0:1], v[0:1], 2, s[18:19]
	s_and_b64 s[8:9], s[16:17], vcc
	s_and_saveexec_b64 s[4:5], s[8:9]
	s_cbranch_execz .LBB0_49
; %bb.48:                               ;   in Loop: Header=BB0_4 Depth=1
	v_lshl_add_u64 v[2:3], v[16:17], 2, v[0:1]
	global_load_dword v4, v[2:3], off
	s_waitcnt vmcnt(0)
	v_fmac_f32_e32 v4, s33, v50
	global_store_dword v[2:3], v4, off
.LBB0_49:                               ;   in Loop: Header=BB0_4 Depth=1
	s_or_b64 exec, exec, s[4:5]
	s_and_b64 s[8:9], s[6:7], vcc
	s_and_saveexec_b64 s[4:5], s[8:9]
	s_cbranch_execz .LBB0_3
; %bb.50:                               ;   in Loop: Header=BB0_4 Depth=1
	v_lshl_add_u64 v[0:1], v[24:25], 2, v[0:1]
	global_load_dword v2, v[0:1], off
	s_waitcnt vmcnt(0)
	v_fmac_f32_e32 v2, s33, v51
	global_store_dword v[0:1], v2, off
	s_branch .LBB0_3
.LBB0_51:
	s_endpgm
	.section	.rodata,"a",@progbits
	.p2align	6, 0x0
	.amdhsa_kernel _ZL30rocblas_trmm_outofplace_kernelIfLi32ELi2ELb1ELb0ELb0ELb0EPKfS0_fEv17rocblas_diagonal_iiT6_lPT7_lllS5_lllPT8_llli
		.amdhsa_group_segment_fixed_size 8192
		.amdhsa_private_segment_fixed_size 0
		.amdhsa_kernarg_size 392
		.amdhsa_user_sgpr_count 2
		.amdhsa_user_sgpr_dispatch_ptr 0
		.amdhsa_user_sgpr_queue_ptr 0
		.amdhsa_user_sgpr_kernarg_segment_ptr 1
		.amdhsa_user_sgpr_dispatch_id 0
		.amdhsa_user_sgpr_kernarg_preload_length 0
		.amdhsa_user_sgpr_kernarg_preload_offset 0
		.amdhsa_user_sgpr_private_segment_size 0
		.amdhsa_uses_dynamic_stack 0
		.amdhsa_enable_private_segment 0
		.amdhsa_system_sgpr_workgroup_id_x 1
		.amdhsa_system_sgpr_workgroup_id_y 1
		.amdhsa_system_sgpr_workgroup_id_z 1
		.amdhsa_system_sgpr_workgroup_info 0
		.amdhsa_system_vgpr_workitem_id 1
		.amdhsa_next_free_vgpr 92
		.amdhsa_next_free_sgpr 56
		.amdhsa_accum_offset 92
		.amdhsa_reserve_vcc 1
		.amdhsa_float_round_mode_32 0
		.amdhsa_float_round_mode_16_64 0
		.amdhsa_float_denorm_mode_32 3
		.amdhsa_float_denorm_mode_16_64 3
		.amdhsa_dx10_clamp 1
		.amdhsa_ieee_mode 1
		.amdhsa_fp16_overflow 0
		.amdhsa_tg_split 0
		.amdhsa_exception_fp_ieee_invalid_op 0
		.amdhsa_exception_fp_denorm_src 0
		.amdhsa_exception_fp_ieee_div_zero 0
		.amdhsa_exception_fp_ieee_overflow 0
		.amdhsa_exception_fp_ieee_underflow 0
		.amdhsa_exception_fp_ieee_inexact 0
		.amdhsa_exception_int_div_zero 0
	.end_amdhsa_kernel
	.section	.text._ZL30rocblas_trmm_outofplace_kernelIfLi32ELi2ELb1ELb0ELb0ELb0EPKfS0_fEv17rocblas_diagonal_iiT6_lPT7_lllS5_lllPT8_llli,"axG",@progbits,_ZL30rocblas_trmm_outofplace_kernelIfLi32ELi2ELb1ELb0ELb0ELb0EPKfS0_fEv17rocblas_diagonal_iiT6_lPT7_lllS5_lllPT8_llli,comdat
.Lfunc_end0:
	.size	_ZL30rocblas_trmm_outofplace_kernelIfLi32ELi2ELb1ELb0ELb0ELb0EPKfS0_fEv17rocblas_diagonal_iiT6_lPT7_lllS5_lllPT8_llli, .Lfunc_end0-_ZL30rocblas_trmm_outofplace_kernelIfLi32ELi2ELb1ELb0ELb0ELb0EPKfS0_fEv17rocblas_diagonal_iiT6_lPT7_lllS5_lllPT8_llli
                                        ; -- End function
	.set _ZL30rocblas_trmm_outofplace_kernelIfLi32ELi2ELb1ELb0ELb0ELb0EPKfS0_fEv17rocblas_diagonal_iiT6_lPT7_lllS5_lllPT8_llli.num_vgpr, 92
	.set _ZL30rocblas_trmm_outofplace_kernelIfLi32ELi2ELb1ELb0ELb0ELb0EPKfS0_fEv17rocblas_diagonal_iiT6_lPT7_lllS5_lllPT8_llli.num_agpr, 0
	.set _ZL30rocblas_trmm_outofplace_kernelIfLi32ELi2ELb1ELb0ELb0ELb0EPKfS0_fEv17rocblas_diagonal_iiT6_lPT7_lllS5_lllPT8_llli.numbered_sgpr, 56
	.set _ZL30rocblas_trmm_outofplace_kernelIfLi32ELi2ELb1ELb0ELb0ELb0EPKfS0_fEv17rocblas_diagonal_iiT6_lPT7_lllS5_lllPT8_llli.num_named_barrier, 0
	.set _ZL30rocblas_trmm_outofplace_kernelIfLi32ELi2ELb1ELb0ELb0ELb0EPKfS0_fEv17rocblas_diagonal_iiT6_lPT7_lllS5_lllPT8_llli.private_seg_size, 0
	.set _ZL30rocblas_trmm_outofplace_kernelIfLi32ELi2ELb1ELb0ELb0ELb0EPKfS0_fEv17rocblas_diagonal_iiT6_lPT7_lllS5_lllPT8_llli.uses_vcc, 1
	.set _ZL30rocblas_trmm_outofplace_kernelIfLi32ELi2ELb1ELb0ELb0ELb0EPKfS0_fEv17rocblas_diagonal_iiT6_lPT7_lllS5_lllPT8_llli.uses_flat_scratch, 0
	.set _ZL30rocblas_trmm_outofplace_kernelIfLi32ELi2ELb1ELb0ELb0ELb0EPKfS0_fEv17rocblas_diagonal_iiT6_lPT7_lllS5_lllPT8_llli.has_dyn_sized_stack, 0
	.set _ZL30rocblas_trmm_outofplace_kernelIfLi32ELi2ELb1ELb0ELb0ELb0EPKfS0_fEv17rocblas_diagonal_iiT6_lPT7_lllS5_lllPT8_llli.has_recursion, 0
	.set _ZL30rocblas_trmm_outofplace_kernelIfLi32ELi2ELb1ELb0ELb0ELb0EPKfS0_fEv17rocblas_diagonal_iiT6_lPT7_lllS5_lllPT8_llli.has_indirect_call, 0
	.section	.AMDGPU.csdata,"",@progbits
; Kernel info:
; codeLenInByte = 2892
; TotalNumSgprs: 62
; NumVgprs: 92
; NumAgprs: 0
; TotalNumVgprs: 92
; ScratchSize: 0
; MemoryBound: 0
; FloatMode: 240
; IeeeMode: 1
; LDSByteSize: 8192 bytes/workgroup (compile time only)
; SGPRBlocks: 7
; VGPRBlocks: 11
; NumSGPRsForWavesPerEU: 62
; NumVGPRsForWavesPerEU: 92
; AccumOffset: 92
; Occupancy: 5
; WaveLimiterHint : 0
; COMPUTE_PGM_RSRC2:SCRATCH_EN: 0
; COMPUTE_PGM_RSRC2:USER_SGPR: 2
; COMPUTE_PGM_RSRC2:TRAP_HANDLER: 0
; COMPUTE_PGM_RSRC2:TGID_X_EN: 1
; COMPUTE_PGM_RSRC2:TGID_Y_EN: 1
; COMPUTE_PGM_RSRC2:TGID_Z_EN: 1
; COMPUTE_PGM_RSRC2:TIDIG_COMP_CNT: 1
; COMPUTE_PGM_RSRC3_GFX90A:ACCUM_OFFSET: 22
; COMPUTE_PGM_RSRC3_GFX90A:TG_SPLIT: 0
	.section	.text._ZL30rocblas_trmm_outofplace_kernelIfLi32ELi2ELb1ELb0ELb0ELb0EfKffEv17rocblas_diagonal_iiT6_lPT7_lllS4_lllPT8_llli,"axG",@progbits,_ZL30rocblas_trmm_outofplace_kernelIfLi32ELi2ELb1ELb0ELb0ELb0EfKffEv17rocblas_diagonal_iiT6_lPT7_lllS4_lllPT8_llli,comdat
	.globl	_ZL30rocblas_trmm_outofplace_kernelIfLi32ELi2ELb1ELb0ELb0ELb0EfKffEv17rocblas_diagonal_iiT6_lPT7_lllS4_lllPT8_llli ; -- Begin function _ZL30rocblas_trmm_outofplace_kernelIfLi32ELi2ELb1ELb0ELb0ELb0EfKffEv17rocblas_diagonal_iiT6_lPT7_lllS4_lllPT8_llli
	.p2align	8
	.type	_ZL30rocblas_trmm_outofplace_kernelIfLi32ELi2ELb1ELb0ELb0ELb0EfKffEv17rocblas_diagonal_iiT6_lPT7_lllS4_lllPT8_llli,@function
_ZL30rocblas_trmm_outofplace_kernelIfLi32ELi2ELb1ELb0ELb0ELb0EfKffEv17rocblas_diagonal_iiT6_lPT7_lllS4_lllPT8_llli: ; @_ZL30rocblas_trmm_outofplace_kernelIfLi32ELi2ELb1ELb0ELb0ELb0EfKffEv17rocblas_diagonal_iiT6_lPT7_lllS4_lllPT8_llli
; %bb.0:
	s_load_dwordx4 s[24:27], s[0:1], 0x0
	s_waitcnt lgkmcnt(0)
	v_cmp_eq_f32_e64 s[6:7], s27, 0
	s_and_b64 vcc, exec, s[6:7]
	s_cbranch_vccnz .LBB1_51
; %bb.1:
	s_add_i32 s5, s26, -1
	s_ashr_i32 s6, s5, 31
	s_lshr_b32 s6, s6, 27
	s_add_i32 s5, s5, s6
	s_ashr_i32 s33, s5, 5
	s_cmp_gt_i32 s3, s33
	s_cbranch_scc1 .LBB1_51
; %bb.2:
	s_load_dwordx16 s[36:51], s[0:1], 0x18
	s_load_dwordx8 s[16:23], s[0:1], 0x58
	v_bfe_u32 v12, v0, 10, 10
	v_and_b32_e32 v14, 0x3ff, v0
	v_lshlrev_b32_e32 v20, 2, v14
	s_waitcnt lgkmcnt(0)
	s_mul_i32 s5, s43, s4
	s_mul_hi_u32 s7, s42, s4
	s_mul_i32 s6, s42, s4
	s_add_i32 s7, s7, s5
	s_lshl_b64 s[8:9], s[6:7], 2
	s_add_u32 s5, s36, s8
	s_addc_u32 s7, s37, s9
	s_lshl_b64 s[10:11], s[38:39], 2
	s_add_u32 s6, s5, s10
	s_mul_i32 s5, s23, s4
	s_mul_hi_u32 s12, s22, s4
	s_addc_u32 s7, s7, s11
	s_add_i32 s13, s12, s5
	s_mul_i32 s12, s22, s4
	s_lshl_b64 s[12:13], s[12:13], 2
	s_add_u32 s5, s16, s12
	s_addc_u32 s14, s17, s13
	s_lshl_b64 s[12:13], s[18:19], 2
	s_add_u32 s22, s5, s12
	s_addc_u32 s23, s14, s13
	v_mad_u64_u32 v[0:1], s[12:13], s40, v12, 0
	s_lshl_b32 s52, s2, 5
	v_mov_b32_e32 v2, v1
	v_mad_u64_u32 v[2:3], s[12:13], s41, v12, v[2:3]
	s_cmp_gt_i32 s2, -1
	s_cselect_b64 s[12:13], -1, 0
	s_cmpk_eq_i32 s24, 0x84
	s_cselect_b64 s[28:29], -1, 0
	s_ashr_i32 s31, s25, 31
	s_ashr_i32 s2, s26, 31
	s_lshl_b64 s[34:35], s[40:41], 7
	s_add_u32 s38, s25, -16
	s_addc_u32 s39, s31, -1
	s_add_u32 s5, s36, s10
	s_addc_u32 s10, s37, s11
	v_mov_b32_e32 v1, v2
	s_add_u32 s8, s5, s8
	v_lshl_add_u64 v[18:19], v[0:1], 2, s[6:7]
	v_lshlrev_b32_e32 v0, 7, v12
	s_addc_u32 s9, s10, s9
	v_add_u32_e32 v41, v20, v0
	v_add_u32_e32 v52, 0x1000, v0
	v_lshl_add_u32 v2, v12, 2, 64
	v_mov_b64_e32 v[0:1], s[8:9]
	v_mad_u64_u32 v[34:35], s[8:9], s40, v2, v[0:1]
	v_mov_b32_e32 v0, v35
	v_mad_u64_u32 v[0:1], s[8:9], s41, v2, v[0:1]
	s_mul_i32 s5, s51, s4
	s_mul_hi_u32 s8, s50, s4
	s_add_i32 s5, s8, s5
	s_mul_i32 s4, s50, s4
	s_lshl_b64 s[4:5], s[4:5], 2
	s_lshl_b64 s[8:9], s[46:47], 2
	s_add_u32 s4, s4, s8
	s_load_dword s54, s[0:1], 0x84
	s_addc_u32 s5, s5, s9
	v_mov_b32_e32 v13, 0
	s_add_u32 s4, s44, s4
	v_add_u32_e32 v16, s52, v14
	v_mov_b32_e32 v21, v13
	s_addc_u32 s5, s45, s5
	v_ashrrev_i32_e32 v17, 31, v16
	v_sub_co_u32_e32 v26, vcc, v16, v12
	v_mov_b32_e32 v35, v0
	v_lshl_add_u64 v[0:1], s[4:5], 0, v[20:21]
	s_mov_b32 s30, s25
	v_lshl_add_u64 v[22:23], v[16:17], 0, 16
	v_add_u32_e32 v24, 16, v16
	v_subbrev_co_u32_e32 v27, vcc, 0, v17, vcc
	v_lshl_add_u64 v[36:37], v[0:1], 0, 64
	v_cndmask_b32_e64 v0, 0, 1, s[12:13]
	v_mov_b32_e32 v15, v13
	s_mov_b32 s53, s26
	v_add_u32_e32 v53, v52, v20
	v_cmp_le_i32_e64 s[0:1], s25, v16
	v_cmp_le_i64_e64 s[16:17], s[30:31], v[22:23]
	v_cmp_gt_i32_e64 s[18:19], s25, v16
	v_cmp_gt_i32_e64 s[6:7], s25, v24
	v_ashrrev_i32_e32 v25, 31, v24
	v_lshl_add_u64 v[28:29], v[26:27], 0, 16
	v_lshl_add_u64 v[30:31], v[26:27], 0, -16
	v_lshlrev_b64 v[32:33], 2, v[16:17]
	s_lshl_b64 s[24:25], s[48:49], 2
	v_lshl_add_u32 v38, s3, 5, v12
	s_waitcnt lgkmcnt(0)
	s_lshl_b32 s46, s54, 5
	v_mov_b32_e32 v54, 1.0
	s_mov_b64 s[36:37], 0x80
	v_cmp_ne_u32_e64 s[8:9], 1, v0
	s_branch .LBB1_4
.LBB1_3:                                ;   in Loop: Header=BB1_4 Depth=1
	s_or_b64 exec, exec, s[4:5]
	s_add_i32 s3, s54, s3
	s_cmp_le_i32 s3, s33
	v_add_u32_e32 v38, s46, v38
	s_cbranch_scc0 .LBB1_51
.LBB1_4:                                ; =>This Loop Header: Depth=1
                                        ;     Child Loop BB1_7 Depth 2
	v_lshl_add_u32 v40, s3, 5, v12
	v_ashrrev_i32_e32 v21, 31, v40
	s_and_b64 vcc, exec, s[8:9]
	v_mov_b32_e32 v9, 0
	v_mov_b32_e32 v8, 0
	;; [unrolled: 1-line block ×4, first 2 shown]
	s_cbranch_vccnz .LBB1_43
; %bb.5:                                ;   in Loop: Header=BB1_4 Depth=1
	v_ashrrev_i32_e32 v39, 31, v38
	v_mad_u64_u32 v[42:43], s[4:5], s24, v38, v[36:37]
	v_mul_lo_u32 v0, s25, v38
	v_mul_lo_u32 v1, s24, v39
	v_add3_u32 v43, v0, v43, v1
	v_lshl_add_u64 v[0:1], v[38:39], 2, 64
	v_mul_lo_u32 v1, s48, v1
	v_mul_lo_u32 v2, s49, v0
	v_mad_u64_u32 v[44:45], s[4:5], s48, v0, v[36:37]
	v_add3_u32 v45, v2, v45, v1
	v_mov_b32_e32 v1, s2
	v_sub_co_u32_e32 v0, vcc, s53, v40
	v_mov_b32_e32 v50, 0
	s_nop 0
	v_subb_co_u32_e32 v1, vcc, v1, v21, vcc
	s_mov_b64 s[40:41], 0
	v_cmp_lt_i64_e32 vcc, 0, v[0:1]
	v_cmp_lt_i64_e64 s[10:11], 16, v[0:1]
	v_mov_b64_e32 v[46:47], v[18:19]
	v_mov_b64_e32 v[48:49], v[34:35]
	v_mov_b32_e32 v51, v50
	v_mov_b32_e32 v8, v50
	;; [unrolled: 1-line block ×3, first 2 shown]
	s_branch .LBB1_7
.LBB1_6:                                ;   in Loop: Header=BB1_7 Depth=2
	s_or_b64 exec, exec, s[4:5]
	s_waitcnt lgkmcnt(0)
	s_barrier
	ds_read_b128 v[56:59], v52
	ds_read_b128 v[60:63], v52 offset:16
	ds_read_b128 v[4:7], v52 offset:32
	;; [unrolled: 1-line block ×3, first 2 shown]
	ds_read2_b32 v[72:73], v20 offset1:16
	ds_read2_b32 v[74:75], v20 offset0:32 offset1:48
	ds_read2_b32 v[76:77], v20 offset0:64 offset1:80
	;; [unrolled: 1-line block ×4, first 2 shown]
	ds_read_b128 v[64:67], v52 offset:2048
	ds_read_b128 v[68:71], v52 offset:2064
	ds_read2_b32 v[82:83], v20 offset0:160 offset1:176
	ds_read2_b32 v[84:85], v20 offset0:192 offset1:208
	;; [unrolled: 1-line block ×3, first 2 shown]
	s_waitcnt lgkmcnt(9)
	v_pk_fma_f32 v[8:9], v[72:73], v[56:57], v[8:9] op_sel_hi:[1,0,1]
	v_add_u32_e32 v39, 0x400, v20
	s_waitcnt lgkmcnt(8)
	v_pk_fma_f32 v[8:9], v[74:75], v[56:57], v[8:9] op_sel:[0,1,0]
	ds_read2_b32 v[88:89], v39 offset1:16
	s_waitcnt lgkmcnt(8)
	v_pk_fma_f32 v[56:57], v[76:77], v[58:59], v[8:9] op_sel_hi:[1,0,1]
	v_mov_b32_e32 v58, v59
	s_waitcnt lgkmcnt(7)
	v_pk_fma_f32 v[56:57], v[78:79], v[58:59], v[56:57] op_sel_hi:[1,0,1]
	ds_read2_b32 v[90:91], v39 offset0:32 offset1:48
	s_waitcnt lgkmcnt(7)
	v_pk_fma_f32 v[56:57], v[80:81], v[60:61], v[56:57] op_sel_hi:[1,0,1]
	v_mov_b32_e32 v58, v63
	s_waitcnt lgkmcnt(4)
	v_pk_fma_f32 v[56:57], v[82:83], v[60:61], v[56:57] op_sel:[0,1,0]
	v_pk_fma_f32 v[50:51], v[72:73], v[64:65], v[50:51] op_sel_hi:[1,0,1]
	s_waitcnt lgkmcnt(3)
	v_pk_fma_f32 v[56:57], v[84:85], v[62:63], v[56:57] op_sel_hi:[1,0,1]
	v_pk_fma_f32 v[50:51], v[74:75], v[64:65], v[50:51] op_sel:[0,1,0]
	s_waitcnt lgkmcnt(2)
	v_pk_fma_f32 v[56:57], v[86:87], v[58:59], v[56:57] op_sel_hi:[1,0,1]
	v_pk_fma_f32 v[50:51], v[76:77], v[66:67], v[50:51] op_sel_hi:[1,0,1]
	s_waitcnt lgkmcnt(1)
	v_pk_fma_f32 v[56:57], v[88:89], v[4:5], v[56:57] op_sel_hi:[1,0,1]
	ds_read_b128 v[8:11], v52 offset:2080
	s_waitcnt lgkmcnt(1)
	v_pk_fma_f32 v[4:5], v[90:91], v[4:5], v[56:57] op_sel:[0,1,0]
	v_mov_b32_e32 v56, v67
	v_pk_fma_f32 v[50:51], v[78:79], v[56:57], v[50:51] op_sel_hi:[1,0,1]
	v_mov_b32_e32 v56, v71
	v_pk_fma_f32 v[50:51], v[80:81], v[68:69], v[50:51] op_sel_hi:[1,0,1]
	s_add_u32 s40, s40, 32
	v_pk_fma_f32 v[50:51], v[82:83], v[68:69], v[50:51] op_sel:[0,1,0]
	s_addc_u32 s41, s41, 0
	v_pk_fma_f32 v[50:51], v[84:85], v[70:71], v[50:51] op_sel_hi:[1,0,1]
	s_sub_i32 s4, s40, 32
	v_pk_fma_f32 v[50:51], v[86:87], v[56:57], v[50:51] op_sel_hi:[1,0,1]
	ds_read_b128 v[56:59], v52 offset:2096
	s_waitcnt lgkmcnt(1)
	v_pk_fma_f32 v[50:51], v[88:89], v[8:9], v[50:51] op_sel_hi:[1,0,1]
	v_lshl_add_u64 v[48:49], v[48:49], 0, s[34:35]
	v_pk_fma_f32 v[8:9], v[90:91], v[8:9], v[50:51] op_sel:[0,1,0]
	ds_read2_b32 v[50:51], v39 offset0:64 offset1:80
	ds_read2_b32 v[68:69], v39 offset0:96 offset1:112
	;; [unrolled: 1-line block ×6, first 2 shown]
	s_waitcnt lgkmcnt(5)
	v_pk_fma_f32 v[4:5], v[50:51], v[6:7], v[4:5] op_sel_hi:[1,0,1]
	v_mov_b32_e32 v6, v7
	v_add_u32_e32 v39, 0x800, v20
	s_waitcnt lgkmcnt(4)
	v_pk_fma_f32 v[4:5], v[68:69], v[6:7], v[4:5] op_sel_hi:[1,0,1]
	ds_read2_b32 v[78:79], v39 offset1:16
	ds_read2_b32 v[80:81], v39 offset0:32 offset1:48
	ds_read2_b32 v[82:83], v39 offset0:64 offset1:80
	;; [unrolled: 1-line block ×3, first 2 shown]
	ds_read_b128 v[60:63], v52 offset:64
	ds_read_b128 v[64:67], v52 offset:80
	s_waitcnt lgkmcnt(9)
	v_pk_fma_f32 v[4:5], v[70:71], v[0:1], v[4:5] op_sel_hi:[1,0,1]
	ds_read2_b32 v[86:87], v39 offset0:128 offset1:144
	s_waitcnt lgkmcnt(9)
	v_pk_fma_f32 v[0:1], v[72:73], v[0:1], v[4:5] op_sel:[0,1,0]
	v_pk_fma_f32 v[8:9], v[50:51], v[10:11], v[8:9] op_sel_hi:[1,0,1]
	s_waitcnt lgkmcnt(8)
	v_pk_fma_f32 v[0:1], v[74:75], v[2:3], v[0:1] op_sel_hi:[1,0,1]
	v_mov_b32_e32 v2, v3
	s_waitcnt lgkmcnt(7)
	v_pk_fma_f32 v[0:1], v[76:77], v[2:3], v[0:1] op_sel_hi:[1,0,1]
	s_waitcnt lgkmcnt(2)
	v_mov_b32_e32 v2, v63
	v_pk_fma_f32 v[0:1], v[78:79], v[60:61], v[0:1] op_sel_hi:[1,0,1]
	v_mov_b32_e32 v10, v11
	v_pk_fma_f32 v[0:1], v[80:81], v[60:61], v[0:1] op_sel:[0,1,0]
	v_pk_fma_f32 v[8:9], v[68:69], v[10:11], v[8:9] op_sel_hi:[1,0,1]
	v_pk_fma_f32 v[0:1], v[82:83], v[62:63], v[0:1] op_sel_hi:[1,0,1]
	;; [unrolled: 1-line block ×4, first 2 shown]
	v_pk_fma_f32 v[8:9], v[72:73], v[56:57], v[8:9] op_sel:[0,1,0]
	s_waitcnt lgkmcnt(0)
	v_pk_fma_f32 v[88:89], v[86:87], v[64:65], v[0:1] op_sel_hi:[1,0,1]
	ds_read_b128 v[0:3], v52 offset:2112
	ds_read_b128 v[4:7], v52 offset:2128
	v_pk_fma_f32 v[8:9], v[74:75], v[58:59], v[8:9] op_sel_hi:[1,0,1]
	v_mov_b32_e32 v10, v59
	ds_read2_b32 v[68:69], v39 offset0:160 offset1:176
	ds_read2_b32 v[70:71], v39 offset0:192 offset1:208
	;; [unrolled: 1-line block ×3, first 2 shown]
	v_pk_fma_f32 v[8:9], v[76:77], v[10:11], v[8:9] op_sel_hi:[1,0,1]
	v_add_u32_e32 v39, 0xc00, v20
	s_waitcnt lgkmcnt(4)
	v_pk_fma_f32 v[8:9], v[78:79], v[0:1], v[8:9] op_sel_hi:[1,0,1]
	s_waitcnt lgkmcnt(2)
	v_pk_fma_f32 v[64:65], v[68:69], v[64:65], v[88:89] op_sel:[0,1,0]
	v_pk_fma_f32 v[0:1], v[80:81], v[0:1], v[8:9] op_sel:[0,1,0]
	s_waitcnt lgkmcnt(1)
	v_pk_fma_f32 v[64:65], v[70:71], v[66:67], v[64:65] op_sel_hi:[1,0,1]
	v_pk_fma_f32 v[0:1], v[82:83], v[2:3], v[0:1] op_sel_hi:[1,0,1]
	v_mov_b32_e32 v2, v3
	v_mov_b32_e32 v66, v67
	v_pk_fma_f32 v[0:1], v[84:85], v[2:3], v[0:1] op_sel_hi:[1,0,1]
	s_waitcnt lgkmcnt(0)
	v_pk_fma_f32 v[64:65], v[72:73], v[66:67], v[64:65] op_sel_hi:[1,0,1]
	v_pk_fma_f32 v[50:51], v[86:87], v[4:5], v[0:1] op_sel_hi:[1,0,1]
	ds_read2_b32 v[74:75], v39 offset1:16
	ds_read2_b32 v[76:77], v39 offset0:32 offset1:48
	ds_read2_b32 v[78:79], v39 offset0:64 offset1:80
	;; [unrolled: 1-line block ×3, first 2 shown]
	ds_read_b128 v[0:3], v52 offset:96
	ds_read_b128 v[8:11], v52 offset:112
	ds_read2_b32 v[82:83], v39 offset0:128 offset1:144
	ds_read_b128 v[56:59], v52 offset:2144
	ds_read_b128 v[60:63], v52 offset:2160
	ds_read2_b32 v[84:85], v39 offset0:160 offset1:176
	ds_read2_b32 v[86:87], v39 offset0:192 offset1:208
	s_waitcnt lgkmcnt(6)
	v_pk_fma_f32 v[64:65], v[74:75], v[0:1], v[64:65] op_sel_hi:[1,0,1]
	ds_read2_b32 v[88:89], v39 offset0:224 offset1:240
	v_pk_fma_f32 v[0:1], v[76:77], v[0:1], v[64:65] op_sel:[0,1,0]
	v_lshl_add_u64 v[42:43], v[42:43], 0, s[36:37]
	v_pk_fma_f32 v[0:1], v[78:79], v[2:3], v[0:1] op_sel_hi:[1,0,1]
	v_mov_b32_e32 v2, v3
	v_pk_fma_f32 v[0:1], v[80:81], v[2:3], v[0:1] op_sel_hi:[1,0,1]
	s_waitcnt lgkmcnt(6)
	v_mov_b32_e32 v2, v11
	s_waitcnt lgkmcnt(5)
	v_pk_fma_f32 v[0:1], v[82:83], v[8:9], v[0:1] op_sel_hi:[1,0,1]
	v_lshl_add_u64 v[46:47], v[46:47], 0, s[34:35]
	s_waitcnt lgkmcnt(2)
	v_pk_fma_f32 v[0:1], v[84:85], v[8:9], v[0:1] op_sel:[0,1,0]
	s_cmp_ge_i32 s4, s52
	s_waitcnt lgkmcnt(1)
	v_pk_fma_f32 v[0:1], v[86:87], v[10:11], v[0:1] op_sel_hi:[1,0,1]
	v_lshl_add_u64 v[44:45], v[44:45], 0, s[36:37]
	s_waitcnt lgkmcnt(0)
	v_pk_fma_f32 v[8:9], v[88:89], v[2:3], v[0:1] op_sel_hi:[1,0,1]
	v_pk_fma_f32 v[0:1], v[68:69], v[4:5], v[50:51] op_sel:[0,1,0]
	v_mov_b32_e32 v2, v7
	v_pk_fma_f32 v[0:1], v[70:71], v[6:7], v[0:1] op_sel_hi:[1,0,1]
	s_nop 0
	v_pk_fma_f32 v[0:1], v[72:73], v[2:3], v[0:1] op_sel_hi:[1,0,1]
	v_mov_b32_e32 v2, v59
	v_pk_fma_f32 v[0:1], v[74:75], v[56:57], v[0:1] op_sel_hi:[1,0,1]
	s_barrier
	v_pk_fma_f32 v[0:1], v[76:77], v[56:57], v[0:1] op_sel:[0,1,0]
	s_nop 0
	v_pk_fma_f32 v[0:1], v[78:79], v[58:59], v[0:1] op_sel_hi:[1,0,1]
	s_nop 0
	v_pk_fma_f32 v[0:1], v[80:81], v[2:3], v[0:1] op_sel_hi:[1,0,1]
	v_mov_b32_e32 v2, v63
	v_pk_fma_f32 v[0:1], v[82:83], v[60:61], v[0:1] op_sel_hi:[1,0,1]
	s_nop 0
	v_pk_fma_f32 v[0:1], v[84:85], v[60:61], v[0:1] op_sel:[0,1,0]
	s_nop 0
	v_pk_fma_f32 v[0:1], v[86:87], v[62:63], v[0:1] op_sel_hi:[1,0,1]
	s_nop 0
	v_pk_fma_f32 v[50:51], v[88:89], v[2:3], v[0:1] op_sel_hi:[1,0,1]
	s_cbranch_scc1 .LBB1_43
.LBB1_7:                                ;   Parent Loop BB1_4 Depth=1
                                        ; =>  This Inner Loop Header: Depth=2
	v_lshl_add_u64 v[0:1], v[12:13], 0, s[40:41]
	v_cmp_le_i64_e64 s[14:15], s[30:31], v[0:1]
	v_cmp_eq_u64_e64 s[4:5], s[40:41], v[26:27]
	v_cmp_gt_i64_e64 s[12:13], v[0:1], v[16:17]
	s_and_b64 s[42:43], s[28:29], s[4:5]
	s_or_b64 s[4:5], s[14:15], s[12:13]
	s_or_b64 s[4:5], s[4:5], s[42:43]
	v_lshl_add_u64 v[2:3], v[46:47], 0, v[32:33]
	s_nor_b64 s[4:5], s[0:1], s[4:5]
                                        ; implicit-def: $vgpr4
	s_and_saveexec_b64 s[44:45], s[4:5]
	s_xor_b64 s[4:5], exec, s[44:45]
	s_cbranch_execz .LBB1_9
; %bb.8:                                ;   in Loop: Header=BB1_7 Depth=2
	global_load_dword v4, v[2:3], off
.LBB1_9:                                ;   in Loop: Header=BB1_7 Depth=2
	s_andn2_saveexec_b64 s[4:5], s[4:5]
	s_cbranch_execz .LBB1_11
; %bb.10:                               ;   in Loop: Header=BB1_7 Depth=2
	s_waitcnt vmcnt(0)
	v_cndmask_b32_e64 v4, 0, 1.0, s[42:43]
.LBB1_11:                               ;   in Loop: Header=BB1_7 Depth=2
	s_or_b64 exec, exec, s[4:5]
	v_cmp_eq_u64_e64 s[4:5], s[40:41], v[28:29]
	s_and_b64 s[44:45], s[28:29], s[4:5]
	v_cmp_lt_i64_e64 s[4:5], v[22:23], v[0:1]
	s_or_b64 s[4:5], s[14:15], s[4:5]
	s_or_b64 s[4:5], s[4:5], s[44:45]
	s_nor_b64 s[4:5], s[16:17], s[4:5]
	s_waitcnt vmcnt(0)
	ds_write_b32 v41, v4
	s_and_saveexec_b64 s[14:15], s[4:5]
	s_xor_b64 s[4:5], exec, s[14:15]
	s_cbranch_execz .LBB1_13
; %bb.12:                               ;   in Loop: Header=BB1_7 Depth=2
	global_load_dword v2, v[2:3], off offset:64
	s_waitcnt vmcnt(0)
	ds_write_b32 v41, v2 offset:64
.LBB1_13:                               ;   in Loop: Header=BB1_7 Depth=2
	s_andn2_saveexec_b64 s[4:5], s[4:5]
	s_cbranch_execz .LBB1_19
; %bb.14:                               ;   in Loop: Header=BB1_7 Depth=2
	s_xor_b64 s[14:15], s[44:45], -1
	s_and_saveexec_b64 s[44:45], s[14:15]
	s_xor_b64 s[14:15], exec, s[44:45]
; %bb.15:                               ;   in Loop: Header=BB1_7 Depth=2
	ds_write_b32 v41, v13 offset:64
; %bb.16:                               ;   in Loop: Header=BB1_7 Depth=2
	s_andn2_saveexec_b64 s[14:15], s[14:15]
; %bb.17:                               ;   in Loop: Header=BB1_7 Depth=2
	ds_write_b32 v41, v54 offset:64
; %bb.18:                               ;   in Loop: Header=BB1_7 Depth=2
	s_or_b64 exec, exec, s[14:15]
.LBB1_19:                               ;   in Loop: Header=BB1_7 Depth=2
	s_or_b64 exec, exec, s[4:5]
	v_lshl_add_u64 v[2:3], v[0:1], 0, 16
	v_cmp_eq_u64_e64 s[4:5], s[40:41], v[30:31]
	v_cmp_le_i64_e64 s[14:15], s[30:31], v[2:3]
	s_and_b64 s[44:45], s[28:29], s[4:5]
	v_cmp_gt_i64_e64 s[4:5], v[2:3], v[16:17]
	s_or_b64 s[4:5], s[14:15], s[4:5]
	s_or_b64 s[4:5], s[4:5], s[44:45]
	v_lshl_add_u64 v[0:1], v[48:49], 0, v[32:33]
	s_nor_b64 s[4:5], s[0:1], s[4:5]
                                        ; implicit-def: $vgpr2
	s_and_saveexec_b64 s[50:51], s[4:5]
	s_xor_b64 s[4:5], exec, s[50:51]
	s_cbranch_execz .LBB1_21
; %bb.20:                               ;   in Loop: Header=BB1_7 Depth=2
	global_load_dword v2, v[0:1], off
.LBB1_21:                               ;   in Loop: Header=BB1_7 Depth=2
	s_andn2_saveexec_b64 s[4:5], s[4:5]
	s_cbranch_execz .LBB1_23
; %bb.22:                               ;   in Loop: Header=BB1_7 Depth=2
	s_waitcnt vmcnt(0)
	v_cndmask_b32_e64 v2, 0, 1.0, s[44:45]
.LBB1_23:                               ;   in Loop: Header=BB1_7 Depth=2
	s_or_b64 exec, exec, s[4:5]
	s_or_b64 s[4:5], s[14:15], s[12:13]
	s_or_b64 s[4:5], s[4:5], s[42:43]
	s_nor_b64 s[4:5], s[16:17], s[4:5]
	s_waitcnt vmcnt(0)
	ds_write_b32 v41, v2 offset:2048
	s_and_saveexec_b64 s[12:13], s[4:5]
	s_xor_b64 s[4:5], exec, s[12:13]
	s_cbranch_execz .LBB1_25
; %bb.24:                               ;   in Loop: Header=BB1_7 Depth=2
	global_load_dword v0, v[0:1], off offset:64
	s_waitcnt vmcnt(0)
	ds_write_b32 v41, v0 offset:2112
.LBB1_25:                               ;   in Loop: Header=BB1_7 Depth=2
	s_andn2_saveexec_b64 s[4:5], s[4:5]
	s_cbranch_execz .LBB1_31
; %bb.26:                               ;   in Loop: Header=BB1_7 Depth=2
	s_xor_b64 s[12:13], s[42:43], -1
	s_and_saveexec_b64 s[14:15], s[12:13]
	s_xor_b64 s[12:13], exec, s[14:15]
; %bb.27:                               ;   in Loop: Header=BB1_7 Depth=2
	ds_write_b32 v41, v13 offset:2112
; %bb.28:                               ;   in Loop: Header=BB1_7 Depth=2
	s_andn2_saveexec_b64 s[12:13], s[12:13]
; %bb.29:                               ;   in Loop: Header=BB1_7 Depth=2
	ds_write_b32 v41, v54 offset:2112
; %bb.30:                               ;   in Loop: Header=BB1_7 Depth=2
	s_or_b64 exec, exec, s[12:13]
.LBB1_31:                               ;   in Loop: Header=BB1_7 Depth=2
	s_or_b64 exec, exec, s[4:5]
	v_lshl_add_u64 v[0:1], v[14:15], 0, s[40:41]
	v_cmp_gt_i64_e64 s[12:13], s[30:31], v[0:1]
	s_and_b64 s[14:15], vcc, s[12:13]
	v_mov_b32_e32 v2, 0
	s_and_saveexec_b64 s[4:5], s[14:15]
	s_cbranch_execz .LBB1_33
; %bb.32:                               ;   in Loop: Header=BB1_7 Depth=2
	global_load_dword v2, v[42:43], off offset:-64
.LBB1_33:                               ;   in Loop: Header=BB1_7 Depth=2
	s_or_b64 exec, exec, s[4:5]
	v_cmp_gt_i64_e64 s[14:15], s[38:39], v[0:1]
	s_and_b64 s[4:5], vcc, s[14:15]
	s_xor_b64 s[4:5], s[4:5], -1
	s_waitcnt vmcnt(0)
	ds_write_b32 v53, v2
	s_and_saveexec_b64 s[42:43], s[4:5]
	s_xor_b64 s[4:5], exec, s[42:43]
; %bb.34:                               ;   in Loop: Header=BB1_7 Depth=2
	ds_write_b32 v53, v13 offset:64
; %bb.35:                               ;   in Loop: Header=BB1_7 Depth=2
	s_andn2_saveexec_b64 s[4:5], s[4:5]
	s_cbranch_execz .LBB1_37
; %bb.36:                               ;   in Loop: Header=BB1_7 Depth=2
	global_load_dword v0, v[42:43], off
	s_waitcnt vmcnt(0)
	ds_write_b32 v53, v0 offset:64
.LBB1_37:                               ;   in Loop: Header=BB1_7 Depth=2
	s_or_b64 exec, exec, s[4:5]
	s_and_b64 s[12:13], s[10:11], s[12:13]
	v_mov_b32_e32 v0, 0
	s_and_saveexec_b64 s[4:5], s[12:13]
	s_cbranch_execz .LBB1_39
; %bb.38:                               ;   in Loop: Header=BB1_7 Depth=2
	global_load_dword v0, v[44:45], off offset:-64
.LBB1_39:                               ;   in Loop: Header=BB1_7 Depth=2
	s_or_b64 exec, exec, s[4:5]
	s_and_b64 s[4:5], s[10:11], s[14:15]
	s_xor_b64 s[4:5], s[4:5], -1
	s_waitcnt vmcnt(0)
	ds_write_b32 v53, v0 offset:2048
	s_and_saveexec_b64 s[12:13], s[4:5]
	s_xor_b64 s[4:5], exec, s[12:13]
; %bb.40:                               ;   in Loop: Header=BB1_7 Depth=2
	ds_write_b32 v53, v13 offset:2112
; %bb.41:                               ;   in Loop: Header=BB1_7 Depth=2
	s_andn2_saveexec_b64 s[4:5], s[4:5]
	s_cbranch_execz .LBB1_6
; %bb.42:                               ;   in Loop: Header=BB1_7 Depth=2
	global_load_dword v0, v[44:45], off
	s_waitcnt vmcnt(0)
	ds_write_b32 v53, v0 offset:2112
	s_branch .LBB1_6
.LBB1_43:                               ;   in Loop: Header=BB1_4 Depth=1
	v_mul_lo_u32 v2, s21, v40
	v_mul_lo_u32 v3, s20, v21
	v_mad_u64_u32 v[0:1], s[4:5], s20, v40, 0
	v_cmp_gt_i32_e32 vcc, s26, v40
	v_add3_u32 v1, v1, v3, v2
	v_lshl_add_u64 v[0:1], v[0:1], 2, s[22:23]
	s_and_b64 s[10:11], s[18:19], vcc
	s_and_saveexec_b64 s[4:5], s[10:11]
	s_cbranch_execz .LBB1_45
; %bb.44:                               ;   in Loop: Header=BB1_4 Depth=1
	v_lshl_add_u64 v[2:3], v[16:17], 2, v[0:1]
	global_load_dword v4, v[2:3], off
	s_waitcnt vmcnt(0)
	v_fmac_f32_e32 v4, s27, v8
	global_store_dword v[2:3], v4, off
.LBB1_45:                               ;   in Loop: Header=BB1_4 Depth=1
	s_or_b64 exec, exec, s[4:5]
	s_and_b64 s[10:11], s[6:7], vcc
	s_and_saveexec_b64 s[4:5], s[10:11]
	s_cbranch_execz .LBB1_47
; %bb.46:                               ;   in Loop: Header=BB1_4 Depth=1
	v_lshl_add_u64 v[0:1], v[24:25], 2, v[0:1]
	global_load_dword v2, v[0:1], off
	s_waitcnt vmcnt(0)
	v_fmac_f32_e32 v2, s27, v9
	global_store_dword v[0:1], v2, off
.LBB1_47:                               ;   in Loop: Header=BB1_4 Depth=1
	s_or_b64 exec, exec, s[4:5]
	v_add_u32_e32 v0, 16, v40
	v_ashrrev_i32_e32 v1, 31, v0
	v_cmp_gt_i32_e32 vcc, s26, v0
	v_mul_lo_u32 v2, s20, v1
	v_mul_lo_u32 v3, s21, v0
	v_mad_u64_u32 v[0:1], s[4:5], s20, v0, 0
	v_add3_u32 v1, v1, v2, v3
	v_lshl_add_u64 v[0:1], v[0:1], 2, s[22:23]
	s_and_b64 s[10:11], s[18:19], vcc
	s_and_saveexec_b64 s[4:5], s[10:11]
	s_cbranch_execz .LBB1_49
; %bb.48:                               ;   in Loop: Header=BB1_4 Depth=1
	v_lshl_add_u64 v[2:3], v[16:17], 2, v[0:1]
	global_load_dword v4, v[2:3], off
	s_waitcnt vmcnt(0)
	v_fmac_f32_e32 v4, s27, v50
	global_store_dword v[2:3], v4, off
.LBB1_49:                               ;   in Loop: Header=BB1_4 Depth=1
	s_or_b64 exec, exec, s[4:5]
	s_and_b64 s[10:11], s[6:7], vcc
	s_and_saveexec_b64 s[4:5], s[10:11]
	s_cbranch_execz .LBB1_3
; %bb.50:                               ;   in Loop: Header=BB1_4 Depth=1
	v_lshl_add_u64 v[0:1], v[24:25], 2, v[0:1]
	global_load_dword v2, v[0:1], off
	s_waitcnt vmcnt(0)
	v_fmac_f32_e32 v2, s27, v51
	global_store_dword v[0:1], v2, off
	s_branch .LBB1_3
.LBB1_51:
	s_endpgm
	.section	.rodata,"a",@progbits
	.p2align	6, 0x0
	.amdhsa_kernel _ZL30rocblas_trmm_outofplace_kernelIfLi32ELi2ELb1ELb0ELb0ELb0EfKffEv17rocblas_diagonal_iiT6_lPT7_lllS4_lllPT8_llli
		.amdhsa_group_segment_fixed_size 8192
		.amdhsa_private_segment_fixed_size 0
		.amdhsa_kernarg_size 384
		.amdhsa_user_sgpr_count 2
		.amdhsa_user_sgpr_dispatch_ptr 0
		.amdhsa_user_sgpr_queue_ptr 0
		.amdhsa_user_sgpr_kernarg_segment_ptr 1
		.amdhsa_user_sgpr_dispatch_id 0
		.amdhsa_user_sgpr_kernarg_preload_length 0
		.amdhsa_user_sgpr_kernarg_preload_offset 0
		.amdhsa_user_sgpr_private_segment_size 0
		.amdhsa_uses_dynamic_stack 0
		.amdhsa_enable_private_segment 0
		.amdhsa_system_sgpr_workgroup_id_x 1
		.amdhsa_system_sgpr_workgroup_id_y 1
		.amdhsa_system_sgpr_workgroup_id_z 1
		.amdhsa_system_sgpr_workgroup_info 0
		.amdhsa_system_vgpr_workitem_id 1
		.amdhsa_next_free_vgpr 92
		.amdhsa_next_free_sgpr 55
		.amdhsa_accum_offset 92
		.amdhsa_reserve_vcc 1
		.amdhsa_float_round_mode_32 0
		.amdhsa_float_round_mode_16_64 0
		.amdhsa_float_denorm_mode_32 3
		.amdhsa_float_denorm_mode_16_64 3
		.amdhsa_dx10_clamp 1
		.amdhsa_ieee_mode 1
		.amdhsa_fp16_overflow 0
		.amdhsa_tg_split 0
		.amdhsa_exception_fp_ieee_invalid_op 0
		.amdhsa_exception_fp_denorm_src 0
		.amdhsa_exception_fp_ieee_div_zero 0
		.amdhsa_exception_fp_ieee_overflow 0
		.amdhsa_exception_fp_ieee_underflow 0
		.amdhsa_exception_fp_ieee_inexact 0
		.amdhsa_exception_int_div_zero 0
	.end_amdhsa_kernel
	.section	.text._ZL30rocblas_trmm_outofplace_kernelIfLi32ELi2ELb1ELb0ELb0ELb0EfKffEv17rocblas_diagonal_iiT6_lPT7_lllS4_lllPT8_llli,"axG",@progbits,_ZL30rocblas_trmm_outofplace_kernelIfLi32ELi2ELb1ELb0ELb0ELb0EfKffEv17rocblas_diagonal_iiT6_lPT7_lllS4_lllPT8_llli,comdat
.Lfunc_end1:
	.size	_ZL30rocblas_trmm_outofplace_kernelIfLi32ELi2ELb1ELb0ELb0ELb0EfKffEv17rocblas_diagonal_iiT6_lPT7_lllS4_lllPT8_llli, .Lfunc_end1-_ZL30rocblas_trmm_outofplace_kernelIfLi32ELi2ELb1ELb0ELb0ELb0EfKffEv17rocblas_diagonal_iiT6_lPT7_lllS4_lllPT8_llli
                                        ; -- End function
	.set _ZL30rocblas_trmm_outofplace_kernelIfLi32ELi2ELb1ELb0ELb0ELb0EfKffEv17rocblas_diagonal_iiT6_lPT7_lllS4_lllPT8_llli.num_vgpr, 92
	.set _ZL30rocblas_trmm_outofplace_kernelIfLi32ELi2ELb1ELb0ELb0ELb0EfKffEv17rocblas_diagonal_iiT6_lPT7_lllS4_lllPT8_llli.num_agpr, 0
	.set _ZL30rocblas_trmm_outofplace_kernelIfLi32ELi2ELb1ELb0ELb0ELb0EfKffEv17rocblas_diagonal_iiT6_lPT7_lllS4_lllPT8_llli.numbered_sgpr, 55
	.set _ZL30rocblas_trmm_outofplace_kernelIfLi32ELi2ELb1ELb0ELb0ELb0EfKffEv17rocblas_diagonal_iiT6_lPT7_lllS4_lllPT8_llli.num_named_barrier, 0
	.set _ZL30rocblas_trmm_outofplace_kernelIfLi32ELi2ELb1ELb0ELb0ELb0EfKffEv17rocblas_diagonal_iiT6_lPT7_lllS4_lllPT8_llli.private_seg_size, 0
	.set _ZL30rocblas_trmm_outofplace_kernelIfLi32ELi2ELb1ELb0ELb0ELb0EfKffEv17rocblas_diagonal_iiT6_lPT7_lllS4_lllPT8_llli.uses_vcc, 1
	.set _ZL30rocblas_trmm_outofplace_kernelIfLi32ELi2ELb1ELb0ELb0ELb0EfKffEv17rocblas_diagonal_iiT6_lPT7_lllS4_lllPT8_llli.uses_flat_scratch, 0
	.set _ZL30rocblas_trmm_outofplace_kernelIfLi32ELi2ELb1ELb0ELb0ELb0EfKffEv17rocblas_diagonal_iiT6_lPT7_lllS4_lllPT8_llli.has_dyn_sized_stack, 0
	.set _ZL30rocblas_trmm_outofplace_kernelIfLi32ELi2ELb1ELb0ELb0ELb0EfKffEv17rocblas_diagonal_iiT6_lPT7_lllS4_lllPT8_llli.has_recursion, 0
	.set _ZL30rocblas_trmm_outofplace_kernelIfLi32ELi2ELb1ELb0ELb0ELb0EfKffEv17rocblas_diagonal_iiT6_lPT7_lllS4_lllPT8_llli.has_indirect_call, 0
	.section	.AMDGPU.csdata,"",@progbits
; Kernel info:
; codeLenInByte = 2864
; TotalNumSgprs: 61
; NumVgprs: 92
; NumAgprs: 0
; TotalNumVgprs: 92
; ScratchSize: 0
; MemoryBound: 0
; FloatMode: 240
; IeeeMode: 1
; LDSByteSize: 8192 bytes/workgroup (compile time only)
; SGPRBlocks: 7
; VGPRBlocks: 11
; NumSGPRsForWavesPerEU: 61
; NumVGPRsForWavesPerEU: 92
; AccumOffset: 92
; Occupancy: 5
; WaveLimiterHint : 0
; COMPUTE_PGM_RSRC2:SCRATCH_EN: 0
; COMPUTE_PGM_RSRC2:USER_SGPR: 2
; COMPUTE_PGM_RSRC2:TRAP_HANDLER: 0
; COMPUTE_PGM_RSRC2:TGID_X_EN: 1
; COMPUTE_PGM_RSRC2:TGID_Y_EN: 1
; COMPUTE_PGM_RSRC2:TGID_Z_EN: 1
; COMPUTE_PGM_RSRC2:TIDIG_COMP_CNT: 1
; COMPUTE_PGM_RSRC3_GFX90A:ACCUM_OFFSET: 22
; COMPUTE_PGM_RSRC3_GFX90A:TG_SPLIT: 0
	.section	.text._ZL30rocblas_trmm_outofplace_kernelIfLi32ELi2ELb1ELb1ELb0ELb0EPKfS0_fEv17rocblas_diagonal_iiT6_lPT7_lllS5_lllPT8_llli,"axG",@progbits,_ZL30rocblas_trmm_outofplace_kernelIfLi32ELi2ELb1ELb1ELb0ELb0EPKfS0_fEv17rocblas_diagonal_iiT6_lPT7_lllS5_lllPT8_llli,comdat
	.globl	_ZL30rocblas_trmm_outofplace_kernelIfLi32ELi2ELb1ELb1ELb0ELb0EPKfS0_fEv17rocblas_diagonal_iiT6_lPT7_lllS5_lllPT8_llli ; -- Begin function _ZL30rocblas_trmm_outofplace_kernelIfLi32ELi2ELb1ELb1ELb0ELb0EPKfS0_fEv17rocblas_diagonal_iiT6_lPT7_lllS5_lllPT8_llli
	.p2align	8
	.type	_ZL30rocblas_trmm_outofplace_kernelIfLi32ELi2ELb1ELb1ELb0ELb0EPKfS0_fEv17rocblas_diagonal_iiT6_lPT7_lllS5_lllPT8_llli,@function
_ZL30rocblas_trmm_outofplace_kernelIfLi32ELi2ELb1ELb1ELb0ELb0EPKfS0_fEv17rocblas_diagonal_iiT6_lPT7_lllS5_lllPT8_llli: ; @_ZL30rocblas_trmm_outofplace_kernelIfLi32ELi2ELb1ELb1ELb0ELb0EPKfS0_fEv17rocblas_diagonal_iiT6_lPT7_lllS5_lllPT8_llli
; %bb.0:
	s_load_dwordx16 s[16:31], s[0:1], 0x10
	s_waitcnt lgkmcnt(0)
	s_mul_i32 s5, s19, s4
	s_mul_hi_u32 s6, s18, s4
	s_add_i32 s7, s6, s5
	s_mul_i32 s6, s18, s4
	s_lshl_b64 s[6:7], s[6:7], 2
	s_add_u32 s6, s16, s6
	s_addc_u32 s7, s17, s7
	s_load_dword s33, s[6:7], 0x0
	s_waitcnt lgkmcnt(0)
	v_cmp_eq_f32_e64 s[6:7], s33, 0
	s_and_b64 vcc, exec, s[6:7]
	s_cbranch_vccnz .LBB2_51
; %bb.1:
	s_load_dwordx4 s[44:47], s[0:1], 0x0
	s_waitcnt lgkmcnt(0)
	s_add_i32 s5, s46, -1
	s_ashr_i32 s6, s5, 31
	s_lshr_b32 s6, s6, 27
	s_add_i32 s5, s5, s6
	s_ashr_i32 s47, s5, 5
	s_cmp_gt_i32 s3, s47
	s_cbranch_scc1 .LBB2_51
; %bb.2:
	s_load_dwordx8 s[36:43], s[0:1], 0x50
	s_load_dwordx4 s[48:51], s[0:1], 0x70
	s_mul_i32 s5, s27, s4
	s_mul_hi_u32 s6, s26, s4
	s_add_i32 s7, s6, s5
	s_mul_i32 s6, s26, s4
	s_lshl_b64 s[8:9], s[6:7], 2
	s_add_u32 s5, s20, s8
	s_addc_u32 s7, s21, s9
	s_lshl_b64 s[10:11], s[22:23], 2
	s_add_u32 s6, s5, s10
	s_load_dword s52, s[0:1], 0x8c
	s_waitcnt lgkmcnt(0)
	s_mul_i32 s0, s51, s4
	s_mul_hi_u32 s1, s50, s4
	s_addc_u32 s7, s7, s11
	s_add_i32 s1, s1, s0
	s_mul_i32 s0, s50, s4
	s_lshl_b64 s[0:1], s[0:1], 2
	s_add_u32 s5, s40, s0
	s_addc_u32 s12, s41, s1
	s_lshl_b64 s[0:1], s[42:43], 2
	s_add_u32 s18, s5, s0
	v_bfe_u32 v46, v0, 10, 10
	s_addc_u32 s19, s12, s1
	s_lshl_b32 s2, s2, 5
	v_and_b32_e32 v2, 0x3ff, v0
	v_add_u32_e32 v12, s2, v46
	v_add_u32_e32 v14, s2, v2
	s_sub_i32 s2, s45, s2
	s_cmp_gt_i32 s2, 0
	s_cselect_b64 s[22:23], -1, 0
	s_cmpk_eq_i32 s44, 0x84
	s_cselect_b64 s[26:27], -1, 0
	s_ashr_i32 s35, s45, 31
	s_ashr_i32 s53, s46, 31
	s_lshl_b64 s[40:41], s[24:25], 7
	s_add_u32 s42, s45, -16
	s_addc_u32 s43, s35, -1
	v_ashrrev_i32_e32 v13, 31, v12
	s_add_u32 s5, s20, s10
	v_mul_lo_u32 v3, s24, v13
	v_mul_lo_u32 v4, s25, v12
	v_mad_u64_u32 v[0:1], s[0:1], s24, v12, 0
	s_addc_u32 s10, s21, s11
	v_add3_u32 v1, v1, v3, v4
	s_add_u32 s8, s5, s8
	v_lshl_add_u64 v[16:17], v[0:1], 2, s[6:7]
	v_lshlrev_b32_e32 v0, 7, v46
	v_lshlrev_b32_e32 v47, 2, v2
	s_addc_u32 s9, s10, s9
	v_add_u32_e32 v48, v47, v0
	v_add_u32_e32 v49, 0x1000, v0
	v_lshl_add_u64 v[0:1], v[12:13], 2, 64
	v_mov_b64_e32 v[2:3], s[8:9]
	v_mad_u64_u32 v[30:31], s[8:9], s24, v0, v[2:3]
	s_mul_i32 s5, s39, s4
	s_mul_hi_u32 s8, s38, s4
	s_add_i32 s5, s8, s5
	s_mul_i32 s4, s38, s4
	s_lshl_b64 s[4:5], s[4:5], 2
	s_lshl_b64 s[8:9], s[30:31], 2
	s_add_u32 s4, s4, s8
	s_addc_u32 s5, s5, s9
	s_add_u32 s20, s28, s4
	v_ashrrev_i32_e32 v15, 31, v14
	v_sub_co_u32_e32 v22, vcc, v14, v12
	s_addc_u32 s21, s29, s5
	s_mov_b32 s34, s45
	v_lshl_add_u64 v[18:19], v[14:15], 0, 16
	v_add_u32_e32 v20, 16, v14
	v_subb_co_u32_e32 v23, vcc, v15, v13, vcc
	v_mul_lo_u32 v1, s24, v1
	v_mul_lo_u32 v0, s25, v0
	s_add_u32 s24, s20, 64
	v_add_u32_e32 v50, v49, v47
	v_cmp_le_i32_e64 s[0:1], s45, v14
	v_cmp_le_i64_e64 s[14:15], s[34:35], v[18:19]
	v_cmp_gt_i32_e64 s[16:17], s45, v14
	v_cmp_gt_i32_e64 s[6:7], s45, v20
	v_ashrrev_i32_e32 v21, 31, v20
	v_lshl_add_u64 v[24:25], v[22:23], 0, 16
	v_lshl_add_u64 v[26:27], v[22:23], 0, -16
	v_lshlrev_b64 v[28:29], 2, v[14:15]
	v_add3_u32 v31, v0, v31, v1
	s_addc_u32 s25, s21, 0
	s_lshl_b64 s[28:29], s[36:37], 2
	v_lshl_add_u32 v32, s3, 5, v46
	s_lshl_b32 s54, s52, 5
	v_mov_b32_e32 v51, 0
	v_mov_b32_e32 v52, 1.0
	s_mov_b64 s[30:31], 0x80
	s_branch .LBB2_4
.LBB2_3:                                ;   in Loop: Header=BB2_4 Depth=1
	s_or_b64 exec, exec, s[4:5]
	s_add_i32 s3, s52, s3
	s_cmp_le_i32 s3, s47
	v_add_u32_e32 v32, s54, v32
	s_cbranch_scc0 .LBB2_51
.LBB2_4:                                ; =>This Loop Header: Depth=1
                                        ;     Child Loop BB2_7 Depth 2
	v_lshl_add_u32 v34, s3, 5, v46
	v_ashrrev_i32_e32 v35, 31, v34
	s_andn2_b64 vcc, exec, s[22:23]
	v_mov_b32_e32 v9, 0
	v_mov_b32_e32 v8, 0
	;; [unrolled: 1-line block ×4, first 2 shown]
	s_cbranch_vccnz .LBB2_43
; %bb.5:                                ;   in Loop: Header=BB2_4 Depth=1
	v_ashrrev_i32_e32 v33, 31, v32
	v_mov_b64_e32 v[0:1], s[24:25]
	v_mad_u64_u32 v[36:37], s[4:5], s28, v32, v[0:1]
	v_mul_lo_u32 v0, s29, v32
	v_mul_lo_u32 v1, s28, v33
	v_add3_u32 v37, v0, v37, v1
	v_lshl_add_u64 v[0:1], v[32:33], 2, 64
	v_mov_b64_e32 v[2:3], s[20:21]
	v_mul_lo_u32 v1, s36, v1
	v_mul_lo_u32 v4, s37, v0
	v_mad_u64_u32 v[38:39], s[4:5], s36, v0, v[2:3]
	v_add3_u32 v39, v4, v39, v1
	v_mov_b32_e32 v1, s53
	v_sub_co_u32_e32 v0, vcc, s46, v34
	v_mov_b32_e32 v44, 0
	s_nop 0
	v_subb_co_u32_e32 v1, vcc, v1, v35, vcc
	s_mov_b64 s[38:39], 0
	v_cmp_lt_i64_e32 vcc, 0, v[0:1]
	v_cmp_lt_i64_e64 s[8:9], 16, v[0:1]
	v_mov_b64_e32 v[40:41], v[16:17]
	v_mov_b64_e32 v[42:43], v[30:31]
	v_mov_b32_e32 v45, v44
	v_mov_b32_e32 v8, v44
	v_mov_b32_e32 v9, v44
	s_branch .LBB2_7
.LBB2_6:                                ;   in Loop: Header=BB2_7 Depth=2
	s_or_b64 exec, exec, s[4:5]
	s_waitcnt lgkmcnt(0)
	s_barrier
	ds_read_b128 v[54:57], v49
	ds_read_b128 v[58:61], v49 offset:16
	ds_read_b128 v[4:7], v49 offset:32
	;; [unrolled: 1-line block ×3, first 2 shown]
	ds_read2_b32 v[70:71], v47 offset1:16
	ds_read2_b32 v[72:73], v47 offset0:32 offset1:48
	ds_read2_b32 v[74:75], v47 offset0:64 offset1:80
	ds_read2_b32 v[76:77], v47 offset0:96 offset1:112
	ds_read2_b32 v[78:79], v47 offset0:128 offset1:144
	ds_read_b128 v[62:65], v49 offset:2048
	ds_read_b128 v[66:69], v49 offset:2064
	ds_read2_b32 v[80:81], v47 offset0:160 offset1:176
	ds_read2_b32 v[82:83], v47 offset0:192 offset1:208
	;; [unrolled: 1-line block ×3, first 2 shown]
	s_waitcnt lgkmcnt(9)
	v_pk_fma_f32 v[8:9], v[70:71], v[54:55], v[8:9] op_sel_hi:[1,0,1]
	v_add_u32_e32 v33, 0x400, v47
	s_waitcnt lgkmcnt(8)
	v_pk_fma_f32 v[8:9], v[72:73], v[54:55], v[8:9] op_sel:[0,1,0]
	ds_read2_b32 v[86:87], v33 offset1:16
	s_waitcnt lgkmcnt(8)
	v_pk_fma_f32 v[54:55], v[74:75], v[56:57], v[8:9] op_sel_hi:[1,0,1]
	v_mov_b32_e32 v56, v57
	s_waitcnt lgkmcnt(7)
	v_pk_fma_f32 v[54:55], v[76:77], v[56:57], v[54:55] op_sel_hi:[1,0,1]
	ds_read2_b32 v[88:89], v33 offset0:32 offset1:48
	s_waitcnt lgkmcnt(7)
	v_pk_fma_f32 v[54:55], v[78:79], v[58:59], v[54:55] op_sel_hi:[1,0,1]
	v_mov_b32_e32 v56, v61
	s_waitcnt lgkmcnt(4)
	v_pk_fma_f32 v[54:55], v[80:81], v[58:59], v[54:55] op_sel:[0,1,0]
	v_pk_fma_f32 v[44:45], v[70:71], v[62:63], v[44:45] op_sel_hi:[1,0,1]
	s_waitcnt lgkmcnt(3)
	v_pk_fma_f32 v[54:55], v[82:83], v[60:61], v[54:55] op_sel_hi:[1,0,1]
	v_pk_fma_f32 v[44:45], v[72:73], v[62:63], v[44:45] op_sel:[0,1,0]
	s_waitcnt lgkmcnt(2)
	v_pk_fma_f32 v[54:55], v[84:85], v[56:57], v[54:55] op_sel_hi:[1,0,1]
	v_pk_fma_f32 v[44:45], v[74:75], v[64:65], v[44:45] op_sel_hi:[1,0,1]
	s_waitcnt lgkmcnt(1)
	v_pk_fma_f32 v[54:55], v[86:87], v[4:5], v[54:55] op_sel_hi:[1,0,1]
	ds_read_b128 v[8:11], v49 offset:2080
	s_waitcnt lgkmcnt(1)
	v_pk_fma_f32 v[4:5], v[88:89], v[4:5], v[54:55] op_sel:[0,1,0]
	v_mov_b32_e32 v54, v65
	v_pk_fma_f32 v[44:45], v[76:77], v[54:55], v[44:45] op_sel_hi:[1,0,1]
	v_mov_b32_e32 v54, v69
	v_pk_fma_f32 v[44:45], v[78:79], v[66:67], v[44:45] op_sel_hi:[1,0,1]
	s_add_u32 s38, s38, 32
	v_pk_fma_f32 v[44:45], v[80:81], v[66:67], v[44:45] op_sel:[0,1,0]
	s_addc_u32 s39, s39, 0
	v_pk_fma_f32 v[44:45], v[82:83], v[68:69], v[44:45] op_sel_hi:[1,0,1]
	v_lshl_add_u64 v[42:43], v[42:43], 0, s[40:41]
	v_pk_fma_f32 v[44:45], v[84:85], v[54:55], v[44:45] op_sel_hi:[1,0,1]
	ds_read_b128 v[54:57], v49 offset:2096
	s_waitcnt lgkmcnt(1)
	v_pk_fma_f32 v[44:45], v[86:87], v[8:9], v[44:45] op_sel_hi:[1,0,1]
	v_lshl_add_u64 v[36:37], v[36:37], 0, s[30:31]
	v_pk_fma_f32 v[8:9], v[88:89], v[8:9], v[44:45] op_sel:[0,1,0]
	ds_read2_b32 v[44:45], v33 offset0:64 offset1:80
	ds_read2_b32 v[66:67], v33 offset0:96 offset1:112
	;; [unrolled: 1-line block ×6, first 2 shown]
	s_waitcnt lgkmcnt(5)
	v_pk_fma_f32 v[4:5], v[44:45], v[6:7], v[4:5] op_sel_hi:[1,0,1]
	v_mov_b32_e32 v6, v7
	v_add_u32_e32 v33, 0x800, v47
	s_waitcnt lgkmcnt(4)
	v_pk_fma_f32 v[4:5], v[66:67], v[6:7], v[4:5] op_sel_hi:[1,0,1]
	ds_read2_b32 v[76:77], v33 offset1:16
	ds_read2_b32 v[78:79], v33 offset0:32 offset1:48
	ds_read2_b32 v[80:81], v33 offset0:64 offset1:80
	;; [unrolled: 1-line block ×3, first 2 shown]
	ds_read_b128 v[58:61], v49 offset:64
	ds_read_b128 v[62:65], v49 offset:80
	s_waitcnt lgkmcnt(9)
	v_pk_fma_f32 v[4:5], v[68:69], v[0:1], v[4:5] op_sel_hi:[1,0,1]
	ds_read2_b32 v[84:85], v33 offset0:128 offset1:144
	s_waitcnt lgkmcnt(9)
	v_pk_fma_f32 v[0:1], v[70:71], v[0:1], v[4:5] op_sel:[0,1,0]
	v_pk_fma_f32 v[8:9], v[44:45], v[10:11], v[8:9] op_sel_hi:[1,0,1]
	s_waitcnt lgkmcnt(8)
	v_pk_fma_f32 v[0:1], v[72:73], v[2:3], v[0:1] op_sel_hi:[1,0,1]
	v_mov_b32_e32 v2, v3
	s_waitcnt lgkmcnt(7)
	v_pk_fma_f32 v[0:1], v[74:75], v[2:3], v[0:1] op_sel_hi:[1,0,1]
	s_waitcnt lgkmcnt(2)
	v_mov_b32_e32 v2, v61
	v_pk_fma_f32 v[0:1], v[76:77], v[58:59], v[0:1] op_sel_hi:[1,0,1]
	v_mov_b32_e32 v10, v11
	v_pk_fma_f32 v[0:1], v[78:79], v[58:59], v[0:1] op_sel:[0,1,0]
	v_pk_fma_f32 v[8:9], v[66:67], v[10:11], v[8:9] op_sel_hi:[1,0,1]
	v_pk_fma_f32 v[0:1], v[80:81], v[60:61], v[0:1] op_sel_hi:[1,0,1]
	;; [unrolled: 1-line block ×4, first 2 shown]
	v_pk_fma_f32 v[8:9], v[70:71], v[54:55], v[8:9] op_sel:[0,1,0]
	s_waitcnt lgkmcnt(0)
	v_pk_fma_f32 v[86:87], v[84:85], v[62:63], v[0:1] op_sel_hi:[1,0,1]
	ds_read_b128 v[0:3], v49 offset:2112
	ds_read_b128 v[4:7], v49 offset:2128
	v_pk_fma_f32 v[8:9], v[72:73], v[56:57], v[8:9] op_sel_hi:[1,0,1]
	v_mov_b32_e32 v10, v57
	ds_read2_b32 v[66:67], v33 offset0:160 offset1:176
	ds_read2_b32 v[68:69], v33 offset0:192 offset1:208
	;; [unrolled: 1-line block ×3, first 2 shown]
	v_pk_fma_f32 v[8:9], v[74:75], v[10:11], v[8:9] op_sel_hi:[1,0,1]
	v_add_u32_e32 v33, 0xc00, v47
	s_waitcnt lgkmcnt(4)
	v_pk_fma_f32 v[8:9], v[76:77], v[0:1], v[8:9] op_sel_hi:[1,0,1]
	s_waitcnt lgkmcnt(2)
	v_pk_fma_f32 v[62:63], v[66:67], v[62:63], v[86:87] op_sel:[0,1,0]
	v_pk_fma_f32 v[0:1], v[78:79], v[0:1], v[8:9] op_sel:[0,1,0]
	s_waitcnt lgkmcnt(1)
	v_pk_fma_f32 v[62:63], v[68:69], v[64:65], v[62:63] op_sel_hi:[1,0,1]
	v_pk_fma_f32 v[0:1], v[80:81], v[2:3], v[0:1] op_sel_hi:[1,0,1]
	v_mov_b32_e32 v2, v3
	v_mov_b32_e32 v64, v65
	v_pk_fma_f32 v[0:1], v[82:83], v[2:3], v[0:1] op_sel_hi:[1,0,1]
	s_waitcnt lgkmcnt(0)
	v_pk_fma_f32 v[62:63], v[70:71], v[64:65], v[62:63] op_sel_hi:[1,0,1]
	v_pk_fma_f32 v[44:45], v[84:85], v[4:5], v[0:1] op_sel_hi:[1,0,1]
	ds_read2_b32 v[72:73], v33 offset1:16
	ds_read2_b32 v[74:75], v33 offset0:32 offset1:48
	ds_read2_b32 v[76:77], v33 offset0:64 offset1:80
	;; [unrolled: 1-line block ×3, first 2 shown]
	ds_read_b128 v[0:3], v49 offset:96
	ds_read_b128 v[8:11], v49 offset:112
	ds_read2_b32 v[80:81], v33 offset0:128 offset1:144
	ds_read_b128 v[54:57], v49 offset:2144
	ds_read_b128 v[58:61], v49 offset:2160
	ds_read2_b32 v[82:83], v33 offset0:160 offset1:176
	ds_read2_b32 v[84:85], v33 offset0:192 offset1:208
	;; [unrolled: 1-line block ×3, first 2 shown]
	s_waitcnt lgkmcnt(7)
	v_pk_fma_f32 v[62:63], v[72:73], v[0:1], v[62:63] op_sel_hi:[1,0,1]
	v_lshl_add_u64 v[40:41], v[40:41], 0, s[40:41]
	v_pk_fma_f32 v[0:1], v[74:75], v[0:1], v[62:63] op_sel:[0,1,0]
	s_cmp_ge_i32 s38, s2
	v_pk_fma_f32 v[0:1], v[76:77], v[2:3], v[0:1] op_sel_hi:[1,0,1]
	v_mov_b32_e32 v2, v3
	v_pk_fma_f32 v[0:1], v[78:79], v[2:3], v[0:1] op_sel_hi:[1,0,1]
	s_waitcnt lgkmcnt(6)
	v_mov_b32_e32 v2, v11
	s_waitcnt lgkmcnt(5)
	v_pk_fma_f32 v[0:1], v[80:81], v[8:9], v[0:1] op_sel_hi:[1,0,1]
	v_lshl_add_u64 v[38:39], v[38:39], 0, s[30:31]
	s_waitcnt lgkmcnt(2)
	v_pk_fma_f32 v[0:1], v[82:83], v[8:9], v[0:1] op_sel:[0,1,0]
	s_waitcnt lgkmcnt(0)
	v_pk_fma_f32 v[0:1], v[84:85], v[10:11], v[0:1] op_sel_hi:[1,0,1]
	s_barrier
	v_pk_fma_f32 v[8:9], v[88:89], v[2:3], v[0:1] op_sel_hi:[1,0,1]
	v_pk_fma_f32 v[0:1], v[66:67], v[4:5], v[44:45] op_sel:[0,1,0]
	v_mov_b32_e32 v2, v7
	v_pk_fma_f32 v[0:1], v[68:69], v[6:7], v[0:1] op_sel_hi:[1,0,1]
	s_nop 0
	v_pk_fma_f32 v[0:1], v[70:71], v[2:3], v[0:1] op_sel_hi:[1,0,1]
	v_mov_b32_e32 v2, v57
	v_pk_fma_f32 v[0:1], v[72:73], v[54:55], v[0:1] op_sel_hi:[1,0,1]
	s_nop 0
	v_pk_fma_f32 v[0:1], v[74:75], v[54:55], v[0:1] op_sel:[0,1,0]
	s_nop 0
	v_pk_fma_f32 v[0:1], v[76:77], v[56:57], v[0:1] op_sel_hi:[1,0,1]
	s_nop 0
	v_pk_fma_f32 v[0:1], v[78:79], v[2:3], v[0:1] op_sel_hi:[1,0,1]
	v_mov_b32_e32 v2, v61
	v_pk_fma_f32 v[0:1], v[80:81], v[58:59], v[0:1] op_sel_hi:[1,0,1]
	s_nop 0
	v_pk_fma_f32 v[0:1], v[82:83], v[58:59], v[0:1] op_sel:[0,1,0]
	s_nop 0
	v_pk_fma_f32 v[0:1], v[84:85], v[60:61], v[0:1] op_sel_hi:[1,0,1]
	s_nop 0
	v_pk_fma_f32 v[44:45], v[88:89], v[2:3], v[0:1] op_sel_hi:[1,0,1]
	s_cbranch_scc1 .LBB2_43
.LBB2_7:                                ;   Parent Loop BB2_4 Depth=1
                                        ; =>  This Inner Loop Header: Depth=2
	v_lshl_add_u64 v[0:1], v[12:13], 0, s[38:39]
	v_cmp_le_i64_e64 s[12:13], s[34:35], v[0:1]
	v_cmp_eq_u64_e64 s[4:5], s[38:39], v[22:23]
	v_cmp_lt_i64_e64 s[10:11], v[0:1], v[14:15]
	s_and_b64 s[44:45], s[26:27], s[4:5]
	s_or_b64 s[4:5], s[12:13], s[10:11]
	s_or_b64 s[4:5], s[4:5], s[44:45]
	v_lshl_add_u64 v[2:3], v[40:41], 0, v[28:29]
	s_nor_b64 s[4:5], s[0:1], s[4:5]
                                        ; implicit-def: $vgpr4
	s_and_saveexec_b64 s[50:51], s[4:5]
	s_xor_b64 s[4:5], exec, s[50:51]
	s_cbranch_execz .LBB2_9
; %bb.8:                                ;   in Loop: Header=BB2_7 Depth=2
	global_load_dword v4, v[2:3], off
.LBB2_9:                                ;   in Loop: Header=BB2_7 Depth=2
	s_andn2_saveexec_b64 s[4:5], s[4:5]
	s_cbranch_execz .LBB2_11
; %bb.10:                               ;   in Loop: Header=BB2_7 Depth=2
	s_waitcnt vmcnt(0)
	v_cndmask_b32_e64 v4, 0, 1.0, s[44:45]
.LBB2_11:                               ;   in Loop: Header=BB2_7 Depth=2
	s_or_b64 exec, exec, s[4:5]
	v_cmp_eq_u64_e64 s[4:5], s[38:39], v[24:25]
	s_and_b64 s[50:51], s[26:27], s[4:5]
	v_cmp_gt_i64_e64 s[4:5], v[18:19], v[0:1]
	s_or_b64 s[4:5], s[12:13], s[4:5]
	s_or_b64 s[4:5], s[4:5], s[50:51]
	s_nor_b64 s[4:5], s[14:15], s[4:5]
	s_waitcnt vmcnt(0)
	ds_write_b32 v48, v4
	s_and_saveexec_b64 s[12:13], s[4:5]
	s_xor_b64 s[4:5], exec, s[12:13]
	s_cbranch_execz .LBB2_13
; %bb.12:                               ;   in Loop: Header=BB2_7 Depth=2
	global_load_dword v2, v[2:3], off offset:64
	s_waitcnt vmcnt(0)
	ds_write_b32 v48, v2 offset:64
.LBB2_13:                               ;   in Loop: Header=BB2_7 Depth=2
	s_andn2_saveexec_b64 s[4:5], s[4:5]
	s_cbranch_execz .LBB2_19
; %bb.14:                               ;   in Loop: Header=BB2_7 Depth=2
	s_xor_b64 s[12:13], s[50:51], -1
	s_and_saveexec_b64 s[50:51], s[12:13]
	s_xor_b64 s[12:13], exec, s[50:51]
; %bb.15:                               ;   in Loop: Header=BB2_7 Depth=2
	ds_write_b32 v48, v51 offset:64
; %bb.16:                               ;   in Loop: Header=BB2_7 Depth=2
	s_andn2_saveexec_b64 s[12:13], s[12:13]
; %bb.17:                               ;   in Loop: Header=BB2_7 Depth=2
	ds_write_b32 v48, v52 offset:64
; %bb.18:                               ;   in Loop: Header=BB2_7 Depth=2
	s_or_b64 exec, exec, s[12:13]
.LBB2_19:                               ;   in Loop: Header=BB2_7 Depth=2
	s_or_b64 exec, exec, s[4:5]
	v_lshl_add_u64 v[2:3], v[0:1], 0, 16
	v_cmp_eq_u64_e64 s[4:5], s[38:39], v[26:27]
	v_cmp_le_i64_e64 s[12:13], s[34:35], v[2:3]
	s_and_b64 s[50:51], s[26:27], s[4:5]
	v_cmp_lt_i64_e64 s[4:5], v[2:3], v[14:15]
	s_or_b64 s[4:5], s[12:13], s[4:5]
	s_or_b64 s[4:5], s[4:5], s[50:51]
	v_lshl_add_u64 v[0:1], v[42:43], 0, v[28:29]
	s_nor_b64 s[4:5], s[0:1], s[4:5]
                                        ; implicit-def: $vgpr2
	s_and_saveexec_b64 s[56:57], s[4:5]
	s_xor_b64 s[4:5], exec, s[56:57]
	s_cbranch_execz .LBB2_21
; %bb.20:                               ;   in Loop: Header=BB2_7 Depth=2
	global_load_dword v2, v[0:1], off
.LBB2_21:                               ;   in Loop: Header=BB2_7 Depth=2
	s_andn2_saveexec_b64 s[4:5], s[4:5]
	s_cbranch_execz .LBB2_23
; %bb.22:                               ;   in Loop: Header=BB2_7 Depth=2
	s_waitcnt vmcnt(0)
	v_cndmask_b32_e64 v2, 0, 1.0, s[50:51]
.LBB2_23:                               ;   in Loop: Header=BB2_7 Depth=2
	s_or_b64 exec, exec, s[4:5]
	s_or_b64 s[4:5], s[12:13], s[10:11]
	s_or_b64 s[4:5], s[4:5], s[44:45]
	s_nor_b64 s[4:5], s[14:15], s[4:5]
	s_waitcnt vmcnt(0)
	ds_write_b32 v48, v2 offset:2048
	s_and_saveexec_b64 s[10:11], s[4:5]
	s_xor_b64 s[4:5], exec, s[10:11]
	s_cbranch_execz .LBB2_25
; %bb.24:                               ;   in Loop: Header=BB2_7 Depth=2
	global_load_dword v0, v[0:1], off offset:64
	s_waitcnt vmcnt(0)
	ds_write_b32 v48, v0 offset:2112
.LBB2_25:                               ;   in Loop: Header=BB2_7 Depth=2
	s_andn2_saveexec_b64 s[4:5], s[4:5]
	s_cbranch_execz .LBB2_31
; %bb.26:                               ;   in Loop: Header=BB2_7 Depth=2
	s_xor_b64 s[10:11], s[44:45], -1
	s_and_saveexec_b64 s[12:13], s[10:11]
	s_xor_b64 s[10:11], exec, s[12:13]
; %bb.27:                               ;   in Loop: Header=BB2_7 Depth=2
	ds_write_b32 v48, v51 offset:2112
; %bb.28:                               ;   in Loop: Header=BB2_7 Depth=2
	s_andn2_saveexec_b64 s[10:11], s[10:11]
; %bb.29:                               ;   in Loop: Header=BB2_7 Depth=2
	ds_write_b32 v48, v52 offset:2112
; %bb.30:                               ;   in Loop: Header=BB2_7 Depth=2
	s_or_b64 exec, exec, s[10:11]
.LBB2_31:                               ;   in Loop: Header=BB2_7 Depth=2
	s_or_b64 exec, exec, s[4:5]
	v_lshl_add_u64 v[2:3], v[14:15], 0, s[38:39]
	v_cmp_gt_i64_e64 s[10:11], s[34:35], v[2:3]
	v_lshl_add_u64 v[0:1], v[36:37], 0, v[28:29]
	s_and_b64 s[12:13], vcc, s[10:11]
	v_mov_b32_e32 v4, 0
	s_and_saveexec_b64 s[4:5], s[12:13]
	s_cbranch_execz .LBB2_33
; %bb.32:                               ;   in Loop: Header=BB2_7 Depth=2
	global_load_dword v4, v[0:1], off offset:-64
.LBB2_33:                               ;   in Loop: Header=BB2_7 Depth=2
	s_or_b64 exec, exec, s[4:5]
	v_cmp_gt_i64_e64 s[12:13], s[42:43], v[2:3]
	s_and_b64 s[4:5], vcc, s[12:13]
	s_xor_b64 s[4:5], s[4:5], -1
	s_waitcnt vmcnt(0)
	ds_write_b32 v50, v4
	s_and_saveexec_b64 s[44:45], s[4:5]
	s_xor_b64 s[4:5], exec, s[44:45]
; %bb.34:                               ;   in Loop: Header=BB2_7 Depth=2
	ds_write_b32 v50, v51 offset:64
                                        ; implicit-def: $vgpr0_vgpr1
; %bb.35:                               ;   in Loop: Header=BB2_7 Depth=2
	s_andn2_saveexec_b64 s[4:5], s[4:5]
	s_cbranch_execz .LBB2_37
; %bb.36:                               ;   in Loop: Header=BB2_7 Depth=2
	global_load_dword v0, v[0:1], off
	s_waitcnt vmcnt(0)
	ds_write_b32 v50, v0 offset:64
.LBB2_37:                               ;   in Loop: Header=BB2_7 Depth=2
	s_or_b64 exec, exec, s[4:5]
	v_lshl_add_u64 v[0:1], v[38:39], 0, v[28:29]
	s_and_b64 s[10:11], s[8:9], s[10:11]
	v_mov_b32_e32 v2, 0
	s_and_saveexec_b64 s[4:5], s[10:11]
	s_cbranch_execz .LBB2_39
; %bb.38:                               ;   in Loop: Header=BB2_7 Depth=2
	global_load_dword v2, v[0:1], off
.LBB2_39:                               ;   in Loop: Header=BB2_7 Depth=2
	s_or_b64 exec, exec, s[4:5]
	s_and_b64 s[4:5], s[8:9], s[12:13]
	s_xor_b64 s[4:5], s[4:5], -1
	s_waitcnt vmcnt(0)
	ds_write_b32 v50, v2 offset:2048
	s_and_saveexec_b64 s[10:11], s[4:5]
	s_xor_b64 s[4:5], exec, s[10:11]
; %bb.40:                               ;   in Loop: Header=BB2_7 Depth=2
	ds_write_b32 v50, v51 offset:2112
                                        ; implicit-def: $vgpr0_vgpr1
; %bb.41:                               ;   in Loop: Header=BB2_7 Depth=2
	s_andn2_saveexec_b64 s[4:5], s[4:5]
	s_cbranch_execz .LBB2_6
; %bb.42:                               ;   in Loop: Header=BB2_7 Depth=2
	global_load_dword v0, v[0:1], off offset:64
	s_waitcnt vmcnt(0)
	ds_write_b32 v50, v0 offset:2112
	s_branch .LBB2_6
.LBB2_43:                               ;   in Loop: Header=BB2_4 Depth=1
	v_mul_lo_u32 v2, s49, v34
	v_mul_lo_u32 v3, s48, v35
	v_mad_u64_u32 v[0:1], s[4:5], s48, v34, 0
	v_cmp_gt_i32_e32 vcc, s46, v34
	v_add3_u32 v1, v1, v3, v2
	v_lshl_add_u64 v[0:1], v[0:1], 2, s[18:19]
	s_and_b64 s[8:9], s[16:17], vcc
	s_and_saveexec_b64 s[4:5], s[8:9]
	s_cbranch_execz .LBB2_45
; %bb.44:                               ;   in Loop: Header=BB2_4 Depth=1
	v_lshl_add_u64 v[2:3], v[14:15], 2, v[0:1]
	global_load_dword v4, v[2:3], off
	s_waitcnt vmcnt(0)
	v_fmac_f32_e32 v4, s33, v8
	global_store_dword v[2:3], v4, off
.LBB2_45:                               ;   in Loop: Header=BB2_4 Depth=1
	s_or_b64 exec, exec, s[4:5]
	s_and_b64 s[8:9], s[6:7], vcc
	s_and_saveexec_b64 s[4:5], s[8:9]
	s_cbranch_execz .LBB2_47
; %bb.46:                               ;   in Loop: Header=BB2_4 Depth=1
	v_lshl_add_u64 v[0:1], v[20:21], 2, v[0:1]
	global_load_dword v2, v[0:1], off
	s_waitcnt vmcnt(0)
	v_fmac_f32_e32 v2, s33, v9
	global_store_dword v[0:1], v2, off
.LBB2_47:                               ;   in Loop: Header=BB2_4 Depth=1
	s_or_b64 exec, exec, s[4:5]
	v_add_u32_e32 v0, 16, v34
	v_ashrrev_i32_e32 v1, 31, v0
	v_cmp_gt_i32_e32 vcc, s46, v0
	v_mul_lo_u32 v2, s48, v1
	v_mul_lo_u32 v3, s49, v0
	v_mad_u64_u32 v[0:1], s[4:5], s48, v0, 0
	v_add3_u32 v1, v1, v2, v3
	v_lshl_add_u64 v[0:1], v[0:1], 2, s[18:19]
	s_and_b64 s[8:9], s[16:17], vcc
	s_and_saveexec_b64 s[4:5], s[8:9]
	s_cbranch_execz .LBB2_49
; %bb.48:                               ;   in Loop: Header=BB2_4 Depth=1
	v_lshl_add_u64 v[2:3], v[14:15], 2, v[0:1]
	global_load_dword v4, v[2:3], off
	s_waitcnt vmcnt(0)
	v_fmac_f32_e32 v4, s33, v44
	global_store_dword v[2:3], v4, off
.LBB2_49:                               ;   in Loop: Header=BB2_4 Depth=1
	s_or_b64 exec, exec, s[4:5]
	s_and_b64 s[8:9], s[6:7], vcc
	s_and_saveexec_b64 s[4:5], s[8:9]
	s_cbranch_execz .LBB2_3
; %bb.50:                               ;   in Loop: Header=BB2_4 Depth=1
	v_lshl_add_u64 v[0:1], v[20:21], 2, v[0:1]
	global_load_dword v2, v[0:1], off
	s_waitcnt vmcnt(0)
	v_fmac_f32_e32 v2, s33, v45
	global_store_dword v[0:1], v2, off
	s_branch .LBB2_3
.LBB2_51:
	s_endpgm
	.section	.rodata,"a",@progbits
	.p2align	6, 0x0
	.amdhsa_kernel _ZL30rocblas_trmm_outofplace_kernelIfLi32ELi2ELb1ELb1ELb0ELb0EPKfS0_fEv17rocblas_diagonal_iiT6_lPT7_lllS5_lllPT8_llli
		.amdhsa_group_segment_fixed_size 8192
		.amdhsa_private_segment_fixed_size 0
		.amdhsa_kernarg_size 392
		.amdhsa_user_sgpr_count 2
		.amdhsa_user_sgpr_dispatch_ptr 0
		.amdhsa_user_sgpr_queue_ptr 0
		.amdhsa_user_sgpr_kernarg_segment_ptr 1
		.amdhsa_user_sgpr_dispatch_id 0
		.amdhsa_user_sgpr_kernarg_preload_length 0
		.amdhsa_user_sgpr_kernarg_preload_offset 0
		.amdhsa_user_sgpr_private_segment_size 0
		.amdhsa_uses_dynamic_stack 0
		.amdhsa_enable_private_segment 0
		.amdhsa_system_sgpr_workgroup_id_x 1
		.amdhsa_system_sgpr_workgroup_id_y 1
		.amdhsa_system_sgpr_workgroup_id_z 1
		.amdhsa_system_sgpr_workgroup_info 0
		.amdhsa_system_vgpr_workitem_id 1
		.amdhsa_next_free_vgpr 90
		.amdhsa_next_free_sgpr 58
		.amdhsa_accum_offset 92
		.amdhsa_reserve_vcc 1
		.amdhsa_float_round_mode_32 0
		.amdhsa_float_round_mode_16_64 0
		.amdhsa_float_denorm_mode_32 3
		.amdhsa_float_denorm_mode_16_64 3
		.amdhsa_dx10_clamp 1
		.amdhsa_ieee_mode 1
		.amdhsa_fp16_overflow 0
		.amdhsa_tg_split 0
		.amdhsa_exception_fp_ieee_invalid_op 0
		.amdhsa_exception_fp_denorm_src 0
		.amdhsa_exception_fp_ieee_div_zero 0
		.amdhsa_exception_fp_ieee_overflow 0
		.amdhsa_exception_fp_ieee_underflow 0
		.amdhsa_exception_fp_ieee_inexact 0
		.amdhsa_exception_int_div_zero 0
	.end_amdhsa_kernel
	.section	.text._ZL30rocblas_trmm_outofplace_kernelIfLi32ELi2ELb1ELb1ELb0ELb0EPKfS0_fEv17rocblas_diagonal_iiT6_lPT7_lllS5_lllPT8_llli,"axG",@progbits,_ZL30rocblas_trmm_outofplace_kernelIfLi32ELi2ELb1ELb1ELb0ELb0EPKfS0_fEv17rocblas_diagonal_iiT6_lPT7_lllS5_lllPT8_llli,comdat
.Lfunc_end2:
	.size	_ZL30rocblas_trmm_outofplace_kernelIfLi32ELi2ELb1ELb1ELb0ELb0EPKfS0_fEv17rocblas_diagonal_iiT6_lPT7_lllS5_lllPT8_llli, .Lfunc_end2-_ZL30rocblas_trmm_outofplace_kernelIfLi32ELi2ELb1ELb1ELb0ELb0EPKfS0_fEv17rocblas_diagonal_iiT6_lPT7_lllS5_lllPT8_llli
                                        ; -- End function
	.set _ZL30rocblas_trmm_outofplace_kernelIfLi32ELi2ELb1ELb1ELb0ELb0EPKfS0_fEv17rocblas_diagonal_iiT6_lPT7_lllS5_lllPT8_llli.num_vgpr, 90
	.set _ZL30rocblas_trmm_outofplace_kernelIfLi32ELi2ELb1ELb1ELb0ELb0EPKfS0_fEv17rocblas_diagonal_iiT6_lPT7_lllS5_lllPT8_llli.num_agpr, 0
	.set _ZL30rocblas_trmm_outofplace_kernelIfLi32ELi2ELb1ELb1ELb0ELb0EPKfS0_fEv17rocblas_diagonal_iiT6_lPT7_lllS5_lllPT8_llli.numbered_sgpr, 58
	.set _ZL30rocblas_trmm_outofplace_kernelIfLi32ELi2ELb1ELb1ELb0ELb0EPKfS0_fEv17rocblas_diagonal_iiT6_lPT7_lllS5_lllPT8_llli.num_named_barrier, 0
	.set _ZL30rocblas_trmm_outofplace_kernelIfLi32ELi2ELb1ELb1ELb0ELb0EPKfS0_fEv17rocblas_diagonal_iiT6_lPT7_lllS5_lllPT8_llli.private_seg_size, 0
	.set _ZL30rocblas_trmm_outofplace_kernelIfLi32ELi2ELb1ELb1ELb0ELb0EPKfS0_fEv17rocblas_diagonal_iiT6_lPT7_lllS5_lllPT8_llli.uses_vcc, 1
	.set _ZL30rocblas_trmm_outofplace_kernelIfLi32ELi2ELb1ELb1ELb0ELb0EPKfS0_fEv17rocblas_diagonal_iiT6_lPT7_lllS5_lllPT8_llli.uses_flat_scratch, 0
	.set _ZL30rocblas_trmm_outofplace_kernelIfLi32ELi2ELb1ELb1ELb0ELb0EPKfS0_fEv17rocblas_diagonal_iiT6_lPT7_lllS5_lllPT8_llli.has_dyn_sized_stack, 0
	.set _ZL30rocblas_trmm_outofplace_kernelIfLi32ELi2ELb1ELb1ELb0ELb0EPKfS0_fEv17rocblas_diagonal_iiT6_lPT7_lllS5_lllPT8_llli.has_recursion, 0
	.set _ZL30rocblas_trmm_outofplace_kernelIfLi32ELi2ELb1ELb1ELb0ELb0EPKfS0_fEv17rocblas_diagonal_iiT6_lPT7_lllS5_lllPT8_llli.has_indirect_call, 0
	.section	.AMDGPU.csdata,"",@progbits
; Kernel info:
; codeLenInByte = 2924
; TotalNumSgprs: 64
; NumVgprs: 90
; NumAgprs: 0
; TotalNumVgprs: 90
; ScratchSize: 0
; MemoryBound: 0
; FloatMode: 240
; IeeeMode: 1
; LDSByteSize: 8192 bytes/workgroup (compile time only)
; SGPRBlocks: 7
; VGPRBlocks: 11
; NumSGPRsForWavesPerEU: 64
; NumVGPRsForWavesPerEU: 90
; AccumOffset: 92
; Occupancy: 5
; WaveLimiterHint : 0
; COMPUTE_PGM_RSRC2:SCRATCH_EN: 0
; COMPUTE_PGM_RSRC2:USER_SGPR: 2
; COMPUTE_PGM_RSRC2:TRAP_HANDLER: 0
; COMPUTE_PGM_RSRC2:TGID_X_EN: 1
; COMPUTE_PGM_RSRC2:TGID_Y_EN: 1
; COMPUTE_PGM_RSRC2:TGID_Z_EN: 1
; COMPUTE_PGM_RSRC2:TIDIG_COMP_CNT: 1
; COMPUTE_PGM_RSRC3_GFX90A:ACCUM_OFFSET: 22
; COMPUTE_PGM_RSRC3_GFX90A:TG_SPLIT: 0
	.section	.text._ZL30rocblas_trmm_outofplace_kernelIfLi32ELi2ELb1ELb1ELb0ELb0EfKffEv17rocblas_diagonal_iiT6_lPT7_lllS4_lllPT8_llli,"axG",@progbits,_ZL30rocblas_trmm_outofplace_kernelIfLi32ELi2ELb1ELb1ELb0ELb0EfKffEv17rocblas_diagonal_iiT6_lPT7_lllS4_lllPT8_llli,comdat
	.globl	_ZL30rocblas_trmm_outofplace_kernelIfLi32ELi2ELb1ELb1ELb0ELb0EfKffEv17rocblas_diagonal_iiT6_lPT7_lllS4_lllPT8_llli ; -- Begin function _ZL30rocblas_trmm_outofplace_kernelIfLi32ELi2ELb1ELb1ELb0ELb0EfKffEv17rocblas_diagonal_iiT6_lPT7_lllS4_lllPT8_llli
	.p2align	8
	.type	_ZL30rocblas_trmm_outofplace_kernelIfLi32ELi2ELb1ELb1ELb0ELb0EfKffEv17rocblas_diagonal_iiT6_lPT7_lllS4_lllPT8_llli,@function
_ZL30rocblas_trmm_outofplace_kernelIfLi32ELi2ELb1ELb1ELb0ELb0EfKffEv17rocblas_diagonal_iiT6_lPT7_lllS4_lllPT8_llli: ; @_ZL30rocblas_trmm_outofplace_kernelIfLi32ELi2ELb1ELb1ELb0ELb0EfKffEv17rocblas_diagonal_iiT6_lPT7_lllS4_lllPT8_llli
; %bb.0:
	s_load_dwordx4 s[24:27], s[0:1], 0x0
	s_waitcnt lgkmcnt(0)
	v_cmp_eq_f32_e64 s[6:7], s27, 0
	s_and_b64 vcc, exec, s[6:7]
	s_cbranch_vccnz .LBB3_51
; %bb.1:
	s_add_i32 s5, s26, -1
	s_ashr_i32 s6, s5, 31
	s_lshr_b32 s6, s6, 27
	s_add_i32 s5, s5, s6
	s_ashr_i32 s33, s5, 5
	s_cmp_gt_i32 s3, s33
	s_cbranch_scc1 .LBB3_51
; %bb.2:
	s_load_dwordx16 s[36:51], s[0:1], 0x18
	s_load_dwordx8 s[16:23], s[0:1], 0x58
	v_bfe_u32 v46, v0, 10, 10
	v_and_b32_e32 v2, 0x3ff, v0
	v_lshlrev_b32_e32 v47, 2, v2
	s_waitcnt lgkmcnt(0)
	s_mul_i32 s5, s43, s4
	s_mul_hi_u32 s7, s42, s4
	s_mul_i32 s6, s42, s4
	s_add_i32 s7, s7, s5
	s_lshl_b64 s[8:9], s[6:7], 2
	s_add_u32 s5, s36, s8
	s_addc_u32 s7, s37, s9
	s_lshl_b64 s[10:11], s[38:39], 2
	s_add_u32 s6, s5, s10
	s_mul_i32 s5, s23, s4
	s_mul_hi_u32 s12, s22, s4
	s_addc_u32 s7, s7, s11
	s_add_i32 s13, s12, s5
	s_mul_i32 s12, s22, s4
	s_lshl_b64 s[12:13], s[12:13], 2
	s_add_u32 s5, s16, s12
	s_addc_u32 s14, s17, s13
	s_lshl_b64 s[12:13], s[18:19], 2
	s_add_u32 s18, s5, s12
	s_addc_u32 s19, s14, s13
	s_lshl_b32 s2, s2, 5
	v_add_u32_e32 v12, s2, v46
	v_add_u32_e32 v14, s2, v2
	s_sub_i32 s2, s25, s2
	s_cmp_gt_i32 s2, 0
	s_cselect_b64 s[22:23], -1, 0
	s_cmpk_eq_i32 s24, 0x84
	s_cselect_b64 s[28:29], -1, 0
	s_ashr_i32 s31, s25, 31
	s_ashr_i32 s52, s26, 31
	s_lshl_b64 s[34:35], s[40:41], 7
	s_add_u32 s38, s25, -16
	s_addc_u32 s39, s31, -1
	v_ashrrev_i32_e32 v13, 31, v12
	s_add_u32 s5, s36, s10
	v_mul_lo_u32 v3, s40, v13
	v_mul_lo_u32 v4, s41, v12
	v_mad_u64_u32 v[0:1], s[12:13], s40, v12, 0
	s_addc_u32 s10, s37, s11
	v_add3_u32 v1, v1, v3, v4
	s_add_u32 s8, s5, s8
	v_lshl_add_u64 v[16:17], v[0:1], 2, s[6:7]
	v_lshlrev_b32_e32 v0, 7, v46
	s_addc_u32 s9, s10, s9
	v_add_u32_e32 v48, v47, v0
	v_add_u32_e32 v49, 0x1000, v0
	v_lshl_add_u64 v[0:1], v[12:13], 2, 64
	v_mov_b64_e32 v[2:3], s[8:9]
	v_mad_u64_u32 v[30:31], s[8:9], s40, v0, v[2:3]
	s_mul_i32 s5, s51, s4
	s_mul_hi_u32 s8, s50, s4
	s_add_i32 s5, s8, s5
	s_mul_i32 s4, s50, s4
	s_lshl_b64 s[4:5], s[4:5], 2
	s_lshl_b64 s[8:9], s[46:47], 2
	s_load_dword s54, s[0:1], 0x84
	s_add_u32 s4, s4, s8
	s_addc_u32 s5, s5, s9
	v_add_u32_e32 v20, 16, v14
	s_add_u32 s24, s44, s4
	v_ashrrev_i32_e32 v15, 31, v14
	s_mov_b32 s30, s25
	v_cmp_le_i32_e64 s[0:1], s25, v14
	v_cmp_gt_i32_e64 s[16:17], s25, v14
	v_cmp_gt_i32_e64 s[6:7], s25, v20
	v_sub_co_u32_e32 v22, vcc, v14, v12
	s_addc_u32 s25, s45, s5
	v_lshl_add_u64 v[18:19], v[14:15], 0, 16
	v_subb_co_u32_e32 v23, vcc, v15, v13, vcc
	v_mul_lo_u32 v1, s40, v1
	v_mul_lo_u32 v0, s41, v0
	s_add_u32 s36, s24, 64
	s_mov_b32 s53, s26
	v_add_u32_e32 v50, v49, v47
	v_cmp_le_i64_e64 s[14:15], s[30:31], v[18:19]
	v_ashrrev_i32_e32 v21, 31, v20
	v_lshl_add_u64 v[24:25], v[22:23], 0, 16
	v_lshl_add_u64 v[26:27], v[22:23], 0, -16
	v_lshlrev_b64 v[28:29], 2, v[14:15]
	v_add3_u32 v31, v0, v31, v1
	s_addc_u32 s37, s25, 0
	s_lshl_b64 s[40:41], s[48:49], 2
	v_lshl_add_u32 v32, s3, 5, v46
	s_waitcnt lgkmcnt(0)
	s_lshl_b32 s55, s54, 5
	v_mov_b32_e32 v51, 0
	v_mov_b32_e32 v52, 1.0
	s_mov_b64 s[42:43], 0x80
	s_branch .LBB3_4
.LBB3_3:                                ;   in Loop: Header=BB3_4 Depth=1
	s_or_b64 exec, exec, s[4:5]
	s_add_i32 s3, s54, s3
	s_cmp_le_i32 s3, s33
	v_add_u32_e32 v32, s55, v32
	s_cbranch_scc0 .LBB3_51
.LBB3_4:                                ; =>This Loop Header: Depth=1
                                        ;     Child Loop BB3_7 Depth 2
	v_lshl_add_u32 v34, s3, 5, v46
	v_ashrrev_i32_e32 v35, 31, v34
	s_andn2_b64 vcc, exec, s[22:23]
	v_mov_b32_e32 v9, 0
	v_mov_b32_e32 v8, 0
	;; [unrolled: 1-line block ×4, first 2 shown]
	s_cbranch_vccnz .LBB3_43
; %bb.5:                                ;   in Loop: Header=BB3_4 Depth=1
	v_ashrrev_i32_e32 v33, 31, v32
	v_mov_b64_e32 v[0:1], s[36:37]
	v_mad_u64_u32 v[36:37], s[4:5], s40, v32, v[0:1]
	v_mul_lo_u32 v0, s41, v32
	v_mul_lo_u32 v1, s40, v33
	v_add3_u32 v37, v0, v37, v1
	v_lshl_add_u64 v[0:1], v[32:33], 2, 64
	v_mov_b64_e32 v[2:3], s[24:25]
	v_mul_lo_u32 v1, s48, v1
	v_mul_lo_u32 v4, s49, v0
	v_mad_u64_u32 v[38:39], s[4:5], s48, v0, v[2:3]
	v_add3_u32 v39, v4, v39, v1
	v_mov_b32_e32 v1, s52
	v_sub_co_u32_e32 v0, vcc, s53, v34
	v_mov_b32_e32 v44, 0
	s_nop 0
	v_subb_co_u32_e32 v1, vcc, v1, v35, vcc
	s_mov_b64 s[44:45], 0
	v_cmp_lt_i64_e32 vcc, 0, v[0:1]
	v_cmp_lt_i64_e64 s[8:9], 16, v[0:1]
	v_mov_b64_e32 v[40:41], v[16:17]
	v_mov_b64_e32 v[42:43], v[30:31]
	v_mov_b32_e32 v45, v44
	v_mov_b32_e32 v8, v44
	;; [unrolled: 1-line block ×3, first 2 shown]
	s_branch .LBB3_7
.LBB3_6:                                ;   in Loop: Header=BB3_7 Depth=2
	s_or_b64 exec, exec, s[4:5]
	s_waitcnt lgkmcnt(0)
	s_barrier
	ds_read_b128 v[54:57], v49
	ds_read_b128 v[58:61], v49 offset:16
	ds_read_b128 v[4:7], v49 offset:32
	ds_read_b128 v[0:3], v49 offset:48
	ds_read2_b32 v[70:71], v47 offset1:16
	ds_read2_b32 v[72:73], v47 offset0:32 offset1:48
	ds_read2_b32 v[74:75], v47 offset0:64 offset1:80
	;; [unrolled: 1-line block ×4, first 2 shown]
	ds_read_b128 v[62:65], v49 offset:2048
	ds_read_b128 v[66:69], v49 offset:2064
	ds_read2_b32 v[80:81], v47 offset0:160 offset1:176
	ds_read2_b32 v[82:83], v47 offset0:192 offset1:208
	;; [unrolled: 1-line block ×3, first 2 shown]
	s_waitcnt lgkmcnt(9)
	v_pk_fma_f32 v[8:9], v[70:71], v[54:55], v[8:9] op_sel_hi:[1,0,1]
	v_add_u32_e32 v33, 0x400, v47
	s_waitcnt lgkmcnt(8)
	v_pk_fma_f32 v[8:9], v[72:73], v[54:55], v[8:9] op_sel:[0,1,0]
	ds_read2_b32 v[86:87], v33 offset1:16
	s_waitcnt lgkmcnt(8)
	v_pk_fma_f32 v[54:55], v[74:75], v[56:57], v[8:9] op_sel_hi:[1,0,1]
	v_mov_b32_e32 v56, v57
	s_waitcnt lgkmcnt(7)
	v_pk_fma_f32 v[54:55], v[76:77], v[56:57], v[54:55] op_sel_hi:[1,0,1]
	ds_read2_b32 v[88:89], v33 offset0:32 offset1:48
	s_waitcnt lgkmcnt(7)
	v_pk_fma_f32 v[54:55], v[78:79], v[58:59], v[54:55] op_sel_hi:[1,0,1]
	v_mov_b32_e32 v56, v61
	s_waitcnt lgkmcnt(4)
	v_pk_fma_f32 v[54:55], v[80:81], v[58:59], v[54:55] op_sel:[0,1,0]
	v_pk_fma_f32 v[44:45], v[70:71], v[62:63], v[44:45] op_sel_hi:[1,0,1]
	s_waitcnt lgkmcnt(3)
	v_pk_fma_f32 v[54:55], v[82:83], v[60:61], v[54:55] op_sel_hi:[1,0,1]
	v_pk_fma_f32 v[44:45], v[72:73], v[62:63], v[44:45] op_sel:[0,1,0]
	s_waitcnt lgkmcnt(2)
	v_pk_fma_f32 v[54:55], v[84:85], v[56:57], v[54:55] op_sel_hi:[1,0,1]
	v_pk_fma_f32 v[44:45], v[74:75], v[64:65], v[44:45] op_sel_hi:[1,0,1]
	s_waitcnt lgkmcnt(1)
	v_pk_fma_f32 v[54:55], v[86:87], v[4:5], v[54:55] op_sel_hi:[1,0,1]
	ds_read_b128 v[8:11], v49 offset:2080
	s_waitcnt lgkmcnt(1)
	v_pk_fma_f32 v[4:5], v[88:89], v[4:5], v[54:55] op_sel:[0,1,0]
	v_mov_b32_e32 v54, v65
	v_pk_fma_f32 v[44:45], v[76:77], v[54:55], v[44:45] op_sel_hi:[1,0,1]
	v_mov_b32_e32 v54, v69
	v_pk_fma_f32 v[44:45], v[78:79], v[66:67], v[44:45] op_sel_hi:[1,0,1]
	s_add_u32 s44, s44, 32
	v_pk_fma_f32 v[44:45], v[80:81], v[66:67], v[44:45] op_sel:[0,1,0]
	s_addc_u32 s45, s45, 0
	v_pk_fma_f32 v[44:45], v[82:83], v[68:69], v[44:45] op_sel_hi:[1,0,1]
	v_lshl_add_u64 v[42:43], v[42:43], 0, s[34:35]
	v_pk_fma_f32 v[44:45], v[84:85], v[54:55], v[44:45] op_sel_hi:[1,0,1]
	ds_read_b128 v[54:57], v49 offset:2096
	s_waitcnt lgkmcnt(1)
	v_pk_fma_f32 v[44:45], v[86:87], v[8:9], v[44:45] op_sel_hi:[1,0,1]
	v_lshl_add_u64 v[36:37], v[36:37], 0, s[42:43]
	v_pk_fma_f32 v[8:9], v[88:89], v[8:9], v[44:45] op_sel:[0,1,0]
	ds_read2_b32 v[44:45], v33 offset0:64 offset1:80
	ds_read2_b32 v[66:67], v33 offset0:96 offset1:112
	ds_read2_b32 v[68:69], v33 offset0:128 offset1:144
	ds_read2_b32 v[70:71], v33 offset0:160 offset1:176
	ds_read2_b32 v[72:73], v33 offset0:192 offset1:208
	ds_read2_b32 v[74:75], v33 offset0:224 offset1:240
	s_waitcnt lgkmcnt(5)
	v_pk_fma_f32 v[4:5], v[44:45], v[6:7], v[4:5] op_sel_hi:[1,0,1]
	v_mov_b32_e32 v6, v7
	v_add_u32_e32 v33, 0x800, v47
	s_waitcnt lgkmcnt(4)
	v_pk_fma_f32 v[4:5], v[66:67], v[6:7], v[4:5] op_sel_hi:[1,0,1]
	ds_read2_b32 v[76:77], v33 offset1:16
	ds_read2_b32 v[78:79], v33 offset0:32 offset1:48
	ds_read2_b32 v[80:81], v33 offset0:64 offset1:80
	;; [unrolled: 1-line block ×3, first 2 shown]
	ds_read_b128 v[58:61], v49 offset:64
	ds_read_b128 v[62:65], v49 offset:80
	s_waitcnt lgkmcnt(9)
	v_pk_fma_f32 v[4:5], v[68:69], v[0:1], v[4:5] op_sel_hi:[1,0,1]
	ds_read2_b32 v[84:85], v33 offset0:128 offset1:144
	s_waitcnt lgkmcnt(9)
	v_pk_fma_f32 v[0:1], v[70:71], v[0:1], v[4:5] op_sel:[0,1,0]
	v_pk_fma_f32 v[8:9], v[44:45], v[10:11], v[8:9] op_sel_hi:[1,0,1]
	s_waitcnt lgkmcnt(8)
	v_pk_fma_f32 v[0:1], v[72:73], v[2:3], v[0:1] op_sel_hi:[1,0,1]
	v_mov_b32_e32 v2, v3
	s_waitcnt lgkmcnt(7)
	v_pk_fma_f32 v[0:1], v[74:75], v[2:3], v[0:1] op_sel_hi:[1,0,1]
	s_waitcnt lgkmcnt(2)
	v_mov_b32_e32 v2, v61
	v_pk_fma_f32 v[0:1], v[76:77], v[58:59], v[0:1] op_sel_hi:[1,0,1]
	v_mov_b32_e32 v10, v11
	v_pk_fma_f32 v[0:1], v[78:79], v[58:59], v[0:1] op_sel:[0,1,0]
	v_pk_fma_f32 v[8:9], v[66:67], v[10:11], v[8:9] op_sel_hi:[1,0,1]
	v_pk_fma_f32 v[0:1], v[80:81], v[60:61], v[0:1] op_sel_hi:[1,0,1]
	;; [unrolled: 1-line block ×4, first 2 shown]
	v_pk_fma_f32 v[8:9], v[70:71], v[54:55], v[8:9] op_sel:[0,1,0]
	s_waitcnt lgkmcnt(0)
	v_pk_fma_f32 v[86:87], v[84:85], v[62:63], v[0:1] op_sel_hi:[1,0,1]
	ds_read_b128 v[0:3], v49 offset:2112
	ds_read_b128 v[4:7], v49 offset:2128
	v_pk_fma_f32 v[8:9], v[72:73], v[56:57], v[8:9] op_sel_hi:[1,0,1]
	v_mov_b32_e32 v10, v57
	ds_read2_b32 v[66:67], v33 offset0:160 offset1:176
	ds_read2_b32 v[68:69], v33 offset0:192 offset1:208
	;; [unrolled: 1-line block ×3, first 2 shown]
	v_pk_fma_f32 v[8:9], v[74:75], v[10:11], v[8:9] op_sel_hi:[1,0,1]
	v_add_u32_e32 v33, 0xc00, v47
	s_waitcnt lgkmcnt(4)
	v_pk_fma_f32 v[8:9], v[76:77], v[0:1], v[8:9] op_sel_hi:[1,0,1]
	s_waitcnt lgkmcnt(2)
	v_pk_fma_f32 v[62:63], v[66:67], v[62:63], v[86:87] op_sel:[0,1,0]
	v_pk_fma_f32 v[0:1], v[78:79], v[0:1], v[8:9] op_sel:[0,1,0]
	s_waitcnt lgkmcnt(1)
	v_pk_fma_f32 v[62:63], v[68:69], v[64:65], v[62:63] op_sel_hi:[1,0,1]
	v_pk_fma_f32 v[0:1], v[80:81], v[2:3], v[0:1] op_sel_hi:[1,0,1]
	v_mov_b32_e32 v2, v3
	v_mov_b32_e32 v64, v65
	v_pk_fma_f32 v[0:1], v[82:83], v[2:3], v[0:1] op_sel_hi:[1,0,1]
	s_waitcnt lgkmcnt(0)
	v_pk_fma_f32 v[62:63], v[70:71], v[64:65], v[62:63] op_sel_hi:[1,0,1]
	v_pk_fma_f32 v[44:45], v[84:85], v[4:5], v[0:1] op_sel_hi:[1,0,1]
	ds_read2_b32 v[72:73], v33 offset1:16
	ds_read2_b32 v[74:75], v33 offset0:32 offset1:48
	ds_read2_b32 v[76:77], v33 offset0:64 offset1:80
	;; [unrolled: 1-line block ×3, first 2 shown]
	ds_read_b128 v[0:3], v49 offset:96
	ds_read_b128 v[8:11], v49 offset:112
	ds_read2_b32 v[80:81], v33 offset0:128 offset1:144
	ds_read_b128 v[54:57], v49 offset:2144
	ds_read_b128 v[58:61], v49 offset:2160
	ds_read2_b32 v[82:83], v33 offset0:160 offset1:176
	ds_read2_b32 v[84:85], v33 offset0:192 offset1:208
	;; [unrolled: 1-line block ×3, first 2 shown]
	s_waitcnt lgkmcnt(7)
	v_pk_fma_f32 v[62:63], v[72:73], v[0:1], v[62:63] op_sel_hi:[1,0,1]
	v_lshl_add_u64 v[40:41], v[40:41], 0, s[34:35]
	v_pk_fma_f32 v[0:1], v[74:75], v[0:1], v[62:63] op_sel:[0,1,0]
	s_cmp_ge_i32 s44, s2
	v_pk_fma_f32 v[0:1], v[76:77], v[2:3], v[0:1] op_sel_hi:[1,0,1]
	v_mov_b32_e32 v2, v3
	v_pk_fma_f32 v[0:1], v[78:79], v[2:3], v[0:1] op_sel_hi:[1,0,1]
	s_waitcnt lgkmcnt(6)
	v_mov_b32_e32 v2, v11
	s_waitcnt lgkmcnt(5)
	v_pk_fma_f32 v[0:1], v[80:81], v[8:9], v[0:1] op_sel_hi:[1,0,1]
	v_lshl_add_u64 v[38:39], v[38:39], 0, s[42:43]
	s_waitcnt lgkmcnt(2)
	v_pk_fma_f32 v[0:1], v[82:83], v[8:9], v[0:1] op_sel:[0,1,0]
	s_waitcnt lgkmcnt(0)
	v_pk_fma_f32 v[0:1], v[84:85], v[10:11], v[0:1] op_sel_hi:[1,0,1]
	s_barrier
	v_pk_fma_f32 v[8:9], v[88:89], v[2:3], v[0:1] op_sel_hi:[1,0,1]
	v_pk_fma_f32 v[0:1], v[66:67], v[4:5], v[44:45] op_sel:[0,1,0]
	v_mov_b32_e32 v2, v7
	v_pk_fma_f32 v[0:1], v[68:69], v[6:7], v[0:1] op_sel_hi:[1,0,1]
	s_nop 0
	v_pk_fma_f32 v[0:1], v[70:71], v[2:3], v[0:1] op_sel_hi:[1,0,1]
	v_mov_b32_e32 v2, v57
	v_pk_fma_f32 v[0:1], v[72:73], v[54:55], v[0:1] op_sel_hi:[1,0,1]
	s_nop 0
	v_pk_fma_f32 v[0:1], v[74:75], v[54:55], v[0:1] op_sel:[0,1,0]
	s_nop 0
	v_pk_fma_f32 v[0:1], v[76:77], v[56:57], v[0:1] op_sel_hi:[1,0,1]
	s_nop 0
	v_pk_fma_f32 v[0:1], v[78:79], v[2:3], v[0:1] op_sel_hi:[1,0,1]
	v_mov_b32_e32 v2, v61
	v_pk_fma_f32 v[0:1], v[80:81], v[58:59], v[0:1] op_sel_hi:[1,0,1]
	s_nop 0
	v_pk_fma_f32 v[0:1], v[82:83], v[58:59], v[0:1] op_sel:[0,1,0]
	s_nop 0
	v_pk_fma_f32 v[0:1], v[84:85], v[60:61], v[0:1] op_sel_hi:[1,0,1]
	s_nop 0
	v_pk_fma_f32 v[44:45], v[88:89], v[2:3], v[0:1] op_sel_hi:[1,0,1]
	s_cbranch_scc1 .LBB3_43
.LBB3_7:                                ;   Parent Loop BB3_4 Depth=1
                                        ; =>  This Inner Loop Header: Depth=2
	v_lshl_add_u64 v[0:1], v[12:13], 0, s[44:45]
	v_cmp_le_i64_e64 s[12:13], s[30:31], v[0:1]
	v_cmp_eq_u64_e64 s[4:5], s[44:45], v[22:23]
	v_cmp_lt_i64_e64 s[10:11], v[0:1], v[14:15]
	s_and_b64 s[46:47], s[28:29], s[4:5]
	s_or_b64 s[4:5], s[12:13], s[10:11]
	s_or_b64 s[4:5], s[4:5], s[46:47]
	v_lshl_add_u64 v[2:3], v[40:41], 0, v[28:29]
	s_nor_b64 s[4:5], s[0:1], s[4:5]
                                        ; implicit-def: $vgpr4
	s_and_saveexec_b64 s[50:51], s[4:5]
	s_xor_b64 s[4:5], exec, s[50:51]
	s_cbranch_execz .LBB3_9
; %bb.8:                                ;   in Loop: Header=BB3_7 Depth=2
	global_load_dword v4, v[2:3], off
.LBB3_9:                                ;   in Loop: Header=BB3_7 Depth=2
	s_andn2_saveexec_b64 s[4:5], s[4:5]
	s_cbranch_execz .LBB3_11
; %bb.10:                               ;   in Loop: Header=BB3_7 Depth=2
	s_waitcnt vmcnt(0)
	v_cndmask_b32_e64 v4, 0, 1.0, s[46:47]
.LBB3_11:                               ;   in Loop: Header=BB3_7 Depth=2
	s_or_b64 exec, exec, s[4:5]
	v_cmp_eq_u64_e64 s[4:5], s[44:45], v[24:25]
	s_and_b64 s[50:51], s[28:29], s[4:5]
	v_cmp_gt_i64_e64 s[4:5], v[18:19], v[0:1]
	s_or_b64 s[4:5], s[12:13], s[4:5]
	s_or_b64 s[4:5], s[4:5], s[50:51]
	s_nor_b64 s[4:5], s[14:15], s[4:5]
	s_waitcnt vmcnt(0)
	ds_write_b32 v48, v4
	s_and_saveexec_b64 s[12:13], s[4:5]
	s_xor_b64 s[4:5], exec, s[12:13]
	s_cbranch_execz .LBB3_13
; %bb.12:                               ;   in Loop: Header=BB3_7 Depth=2
	global_load_dword v2, v[2:3], off offset:64
	s_waitcnt vmcnt(0)
	ds_write_b32 v48, v2 offset:64
.LBB3_13:                               ;   in Loop: Header=BB3_7 Depth=2
	s_andn2_saveexec_b64 s[4:5], s[4:5]
	s_cbranch_execz .LBB3_19
; %bb.14:                               ;   in Loop: Header=BB3_7 Depth=2
	s_xor_b64 s[12:13], s[50:51], -1
	s_and_saveexec_b64 s[50:51], s[12:13]
	s_xor_b64 s[12:13], exec, s[50:51]
; %bb.15:                               ;   in Loop: Header=BB3_7 Depth=2
	ds_write_b32 v48, v51 offset:64
; %bb.16:                               ;   in Loop: Header=BB3_7 Depth=2
	s_andn2_saveexec_b64 s[12:13], s[12:13]
; %bb.17:                               ;   in Loop: Header=BB3_7 Depth=2
	ds_write_b32 v48, v52 offset:64
; %bb.18:                               ;   in Loop: Header=BB3_7 Depth=2
	s_or_b64 exec, exec, s[12:13]
.LBB3_19:                               ;   in Loop: Header=BB3_7 Depth=2
	s_or_b64 exec, exec, s[4:5]
	v_lshl_add_u64 v[2:3], v[0:1], 0, 16
	v_cmp_eq_u64_e64 s[4:5], s[44:45], v[26:27]
	v_cmp_le_i64_e64 s[12:13], s[30:31], v[2:3]
	s_and_b64 s[50:51], s[28:29], s[4:5]
	v_cmp_lt_i64_e64 s[4:5], v[2:3], v[14:15]
	s_or_b64 s[4:5], s[12:13], s[4:5]
	s_or_b64 s[4:5], s[4:5], s[50:51]
	v_lshl_add_u64 v[0:1], v[42:43], 0, v[28:29]
	s_nor_b64 s[4:5], s[0:1], s[4:5]
                                        ; implicit-def: $vgpr2
	s_and_saveexec_b64 s[56:57], s[4:5]
	s_xor_b64 s[4:5], exec, s[56:57]
	s_cbranch_execz .LBB3_21
; %bb.20:                               ;   in Loop: Header=BB3_7 Depth=2
	global_load_dword v2, v[0:1], off
.LBB3_21:                               ;   in Loop: Header=BB3_7 Depth=2
	s_andn2_saveexec_b64 s[4:5], s[4:5]
	s_cbranch_execz .LBB3_23
; %bb.22:                               ;   in Loop: Header=BB3_7 Depth=2
	s_waitcnt vmcnt(0)
	v_cndmask_b32_e64 v2, 0, 1.0, s[50:51]
.LBB3_23:                               ;   in Loop: Header=BB3_7 Depth=2
	s_or_b64 exec, exec, s[4:5]
	s_or_b64 s[4:5], s[12:13], s[10:11]
	s_or_b64 s[4:5], s[4:5], s[46:47]
	s_nor_b64 s[4:5], s[14:15], s[4:5]
	s_waitcnt vmcnt(0)
	ds_write_b32 v48, v2 offset:2048
	s_and_saveexec_b64 s[10:11], s[4:5]
	s_xor_b64 s[4:5], exec, s[10:11]
	s_cbranch_execz .LBB3_25
; %bb.24:                               ;   in Loop: Header=BB3_7 Depth=2
	global_load_dword v0, v[0:1], off offset:64
	s_waitcnt vmcnt(0)
	ds_write_b32 v48, v0 offset:2112
.LBB3_25:                               ;   in Loop: Header=BB3_7 Depth=2
	s_andn2_saveexec_b64 s[4:5], s[4:5]
	s_cbranch_execz .LBB3_31
; %bb.26:                               ;   in Loop: Header=BB3_7 Depth=2
	s_xor_b64 s[10:11], s[46:47], -1
	s_and_saveexec_b64 s[12:13], s[10:11]
	s_xor_b64 s[10:11], exec, s[12:13]
; %bb.27:                               ;   in Loop: Header=BB3_7 Depth=2
	ds_write_b32 v48, v51 offset:2112
; %bb.28:                               ;   in Loop: Header=BB3_7 Depth=2
	s_andn2_saveexec_b64 s[10:11], s[10:11]
; %bb.29:                               ;   in Loop: Header=BB3_7 Depth=2
	ds_write_b32 v48, v52 offset:2112
; %bb.30:                               ;   in Loop: Header=BB3_7 Depth=2
	s_or_b64 exec, exec, s[10:11]
.LBB3_31:                               ;   in Loop: Header=BB3_7 Depth=2
	s_or_b64 exec, exec, s[4:5]
	v_lshl_add_u64 v[2:3], v[14:15], 0, s[44:45]
	v_cmp_gt_i64_e64 s[10:11], s[30:31], v[2:3]
	v_lshl_add_u64 v[0:1], v[36:37], 0, v[28:29]
	s_and_b64 s[12:13], vcc, s[10:11]
	v_mov_b32_e32 v4, 0
	s_and_saveexec_b64 s[4:5], s[12:13]
	s_cbranch_execz .LBB3_33
; %bb.32:                               ;   in Loop: Header=BB3_7 Depth=2
	global_load_dword v4, v[0:1], off offset:-64
.LBB3_33:                               ;   in Loop: Header=BB3_7 Depth=2
	s_or_b64 exec, exec, s[4:5]
	v_cmp_gt_i64_e64 s[12:13], s[38:39], v[2:3]
	s_and_b64 s[4:5], vcc, s[12:13]
	s_xor_b64 s[4:5], s[4:5], -1
	s_waitcnt vmcnt(0)
	ds_write_b32 v50, v4
	s_and_saveexec_b64 s[46:47], s[4:5]
	s_xor_b64 s[4:5], exec, s[46:47]
; %bb.34:                               ;   in Loop: Header=BB3_7 Depth=2
	ds_write_b32 v50, v51 offset:64
                                        ; implicit-def: $vgpr0_vgpr1
; %bb.35:                               ;   in Loop: Header=BB3_7 Depth=2
	s_andn2_saveexec_b64 s[4:5], s[4:5]
	s_cbranch_execz .LBB3_37
; %bb.36:                               ;   in Loop: Header=BB3_7 Depth=2
	global_load_dword v0, v[0:1], off
	s_waitcnt vmcnt(0)
	ds_write_b32 v50, v0 offset:64
.LBB3_37:                               ;   in Loop: Header=BB3_7 Depth=2
	s_or_b64 exec, exec, s[4:5]
	v_lshl_add_u64 v[0:1], v[38:39], 0, v[28:29]
	s_and_b64 s[10:11], s[8:9], s[10:11]
	v_mov_b32_e32 v2, 0
	s_and_saveexec_b64 s[4:5], s[10:11]
	s_cbranch_execz .LBB3_39
; %bb.38:                               ;   in Loop: Header=BB3_7 Depth=2
	global_load_dword v2, v[0:1], off
.LBB3_39:                               ;   in Loop: Header=BB3_7 Depth=2
	s_or_b64 exec, exec, s[4:5]
	s_and_b64 s[4:5], s[8:9], s[12:13]
	s_xor_b64 s[4:5], s[4:5], -1
	s_waitcnt vmcnt(0)
	ds_write_b32 v50, v2 offset:2048
	s_and_saveexec_b64 s[10:11], s[4:5]
	s_xor_b64 s[4:5], exec, s[10:11]
; %bb.40:                               ;   in Loop: Header=BB3_7 Depth=2
	ds_write_b32 v50, v51 offset:2112
                                        ; implicit-def: $vgpr0_vgpr1
; %bb.41:                               ;   in Loop: Header=BB3_7 Depth=2
	s_andn2_saveexec_b64 s[4:5], s[4:5]
	s_cbranch_execz .LBB3_6
; %bb.42:                               ;   in Loop: Header=BB3_7 Depth=2
	global_load_dword v0, v[0:1], off offset:64
	s_waitcnt vmcnt(0)
	ds_write_b32 v50, v0 offset:2112
	s_branch .LBB3_6
.LBB3_43:                               ;   in Loop: Header=BB3_4 Depth=1
	v_mul_lo_u32 v2, s21, v34
	v_mul_lo_u32 v3, s20, v35
	v_mad_u64_u32 v[0:1], s[4:5], s20, v34, 0
	v_cmp_gt_i32_e32 vcc, s26, v34
	v_add3_u32 v1, v1, v3, v2
	v_lshl_add_u64 v[0:1], v[0:1], 2, s[18:19]
	s_and_b64 s[8:9], s[16:17], vcc
	s_and_saveexec_b64 s[4:5], s[8:9]
	s_cbranch_execz .LBB3_45
; %bb.44:                               ;   in Loop: Header=BB3_4 Depth=1
	v_lshl_add_u64 v[2:3], v[14:15], 2, v[0:1]
	global_load_dword v4, v[2:3], off
	s_waitcnt vmcnt(0)
	v_fmac_f32_e32 v4, s27, v8
	global_store_dword v[2:3], v4, off
.LBB3_45:                               ;   in Loop: Header=BB3_4 Depth=1
	s_or_b64 exec, exec, s[4:5]
	s_and_b64 s[8:9], s[6:7], vcc
	s_and_saveexec_b64 s[4:5], s[8:9]
	s_cbranch_execz .LBB3_47
; %bb.46:                               ;   in Loop: Header=BB3_4 Depth=1
	v_lshl_add_u64 v[0:1], v[20:21], 2, v[0:1]
	global_load_dword v2, v[0:1], off
	s_waitcnt vmcnt(0)
	v_fmac_f32_e32 v2, s27, v9
	global_store_dword v[0:1], v2, off
.LBB3_47:                               ;   in Loop: Header=BB3_4 Depth=1
	s_or_b64 exec, exec, s[4:5]
	v_add_u32_e32 v0, 16, v34
	v_ashrrev_i32_e32 v1, 31, v0
	v_cmp_gt_i32_e32 vcc, s26, v0
	v_mul_lo_u32 v2, s20, v1
	v_mul_lo_u32 v3, s21, v0
	v_mad_u64_u32 v[0:1], s[4:5], s20, v0, 0
	v_add3_u32 v1, v1, v2, v3
	v_lshl_add_u64 v[0:1], v[0:1], 2, s[18:19]
	s_and_b64 s[8:9], s[16:17], vcc
	s_and_saveexec_b64 s[4:5], s[8:9]
	s_cbranch_execz .LBB3_49
; %bb.48:                               ;   in Loop: Header=BB3_4 Depth=1
	v_lshl_add_u64 v[2:3], v[14:15], 2, v[0:1]
	global_load_dword v4, v[2:3], off
	s_waitcnt vmcnt(0)
	v_fmac_f32_e32 v4, s27, v44
	global_store_dword v[2:3], v4, off
.LBB3_49:                               ;   in Loop: Header=BB3_4 Depth=1
	s_or_b64 exec, exec, s[4:5]
	s_and_b64 s[8:9], s[6:7], vcc
	s_and_saveexec_b64 s[4:5], s[8:9]
	s_cbranch_execz .LBB3_3
; %bb.50:                               ;   in Loop: Header=BB3_4 Depth=1
	v_lshl_add_u64 v[0:1], v[20:21], 2, v[0:1]
	global_load_dword v2, v[0:1], off
	s_waitcnt vmcnt(0)
	v_fmac_f32_e32 v2, s27, v45
	global_store_dword v[0:1], v2, off
	s_branch .LBB3_3
.LBB3_51:
	s_endpgm
	.section	.rodata,"a",@progbits
	.p2align	6, 0x0
	.amdhsa_kernel _ZL30rocblas_trmm_outofplace_kernelIfLi32ELi2ELb1ELb1ELb0ELb0EfKffEv17rocblas_diagonal_iiT6_lPT7_lllS4_lllPT8_llli
		.amdhsa_group_segment_fixed_size 8192
		.amdhsa_private_segment_fixed_size 0
		.amdhsa_kernarg_size 384
		.amdhsa_user_sgpr_count 2
		.amdhsa_user_sgpr_dispatch_ptr 0
		.amdhsa_user_sgpr_queue_ptr 0
		.amdhsa_user_sgpr_kernarg_segment_ptr 1
		.amdhsa_user_sgpr_dispatch_id 0
		.amdhsa_user_sgpr_kernarg_preload_length 0
		.amdhsa_user_sgpr_kernarg_preload_offset 0
		.amdhsa_user_sgpr_private_segment_size 0
		.amdhsa_uses_dynamic_stack 0
		.amdhsa_enable_private_segment 0
		.amdhsa_system_sgpr_workgroup_id_x 1
		.amdhsa_system_sgpr_workgroup_id_y 1
		.amdhsa_system_sgpr_workgroup_id_z 1
		.amdhsa_system_sgpr_workgroup_info 0
		.amdhsa_system_vgpr_workitem_id 1
		.amdhsa_next_free_vgpr 90
		.amdhsa_next_free_sgpr 58
		.amdhsa_accum_offset 92
		.amdhsa_reserve_vcc 1
		.amdhsa_float_round_mode_32 0
		.amdhsa_float_round_mode_16_64 0
		.amdhsa_float_denorm_mode_32 3
		.amdhsa_float_denorm_mode_16_64 3
		.amdhsa_dx10_clamp 1
		.amdhsa_ieee_mode 1
		.amdhsa_fp16_overflow 0
		.amdhsa_tg_split 0
		.amdhsa_exception_fp_ieee_invalid_op 0
		.amdhsa_exception_fp_denorm_src 0
		.amdhsa_exception_fp_ieee_div_zero 0
		.amdhsa_exception_fp_ieee_overflow 0
		.amdhsa_exception_fp_ieee_underflow 0
		.amdhsa_exception_fp_ieee_inexact 0
		.amdhsa_exception_int_div_zero 0
	.end_amdhsa_kernel
	.section	.text._ZL30rocblas_trmm_outofplace_kernelIfLi32ELi2ELb1ELb1ELb0ELb0EfKffEv17rocblas_diagonal_iiT6_lPT7_lllS4_lllPT8_llli,"axG",@progbits,_ZL30rocblas_trmm_outofplace_kernelIfLi32ELi2ELb1ELb1ELb0ELb0EfKffEv17rocblas_diagonal_iiT6_lPT7_lllS4_lllPT8_llli,comdat
.Lfunc_end3:
	.size	_ZL30rocblas_trmm_outofplace_kernelIfLi32ELi2ELb1ELb1ELb0ELb0EfKffEv17rocblas_diagonal_iiT6_lPT7_lllS4_lllPT8_llli, .Lfunc_end3-_ZL30rocblas_trmm_outofplace_kernelIfLi32ELi2ELb1ELb1ELb0ELb0EfKffEv17rocblas_diagonal_iiT6_lPT7_lllS4_lllPT8_llli
                                        ; -- End function
	.set _ZL30rocblas_trmm_outofplace_kernelIfLi32ELi2ELb1ELb1ELb0ELb0EfKffEv17rocblas_diagonal_iiT6_lPT7_lllS4_lllPT8_llli.num_vgpr, 90
	.set _ZL30rocblas_trmm_outofplace_kernelIfLi32ELi2ELb1ELb1ELb0ELb0EfKffEv17rocblas_diagonal_iiT6_lPT7_lllS4_lllPT8_llli.num_agpr, 0
	.set _ZL30rocblas_trmm_outofplace_kernelIfLi32ELi2ELb1ELb1ELb0ELb0EfKffEv17rocblas_diagonal_iiT6_lPT7_lllS4_lllPT8_llli.numbered_sgpr, 58
	.set _ZL30rocblas_trmm_outofplace_kernelIfLi32ELi2ELb1ELb1ELb0ELb0EfKffEv17rocblas_diagonal_iiT6_lPT7_lllS4_lllPT8_llli.num_named_barrier, 0
	.set _ZL30rocblas_trmm_outofplace_kernelIfLi32ELi2ELb1ELb1ELb0ELb0EfKffEv17rocblas_diagonal_iiT6_lPT7_lllS4_lllPT8_llli.private_seg_size, 0
	.set _ZL30rocblas_trmm_outofplace_kernelIfLi32ELi2ELb1ELb1ELb0ELb0EfKffEv17rocblas_diagonal_iiT6_lPT7_lllS4_lllPT8_llli.uses_vcc, 1
	.set _ZL30rocblas_trmm_outofplace_kernelIfLi32ELi2ELb1ELb1ELb0ELb0EfKffEv17rocblas_diagonal_iiT6_lPT7_lllS4_lllPT8_llli.uses_flat_scratch, 0
	.set _ZL30rocblas_trmm_outofplace_kernelIfLi32ELi2ELb1ELb1ELb0ELb0EfKffEv17rocblas_diagonal_iiT6_lPT7_lllS4_lllPT8_llli.has_dyn_sized_stack, 0
	.set _ZL30rocblas_trmm_outofplace_kernelIfLi32ELi2ELb1ELb1ELb0ELb0EfKffEv17rocblas_diagonal_iiT6_lPT7_lllS4_lllPT8_llli.has_recursion, 0
	.set _ZL30rocblas_trmm_outofplace_kernelIfLi32ELi2ELb1ELb1ELb0ELb0EfKffEv17rocblas_diagonal_iiT6_lPT7_lllS4_lllPT8_llli.has_indirect_call, 0
	.section	.AMDGPU.csdata,"",@progbits
; Kernel info:
; codeLenInByte = 2880
; TotalNumSgprs: 64
; NumVgprs: 90
; NumAgprs: 0
; TotalNumVgprs: 90
; ScratchSize: 0
; MemoryBound: 0
; FloatMode: 240
; IeeeMode: 1
; LDSByteSize: 8192 bytes/workgroup (compile time only)
; SGPRBlocks: 7
; VGPRBlocks: 11
; NumSGPRsForWavesPerEU: 64
; NumVGPRsForWavesPerEU: 90
; AccumOffset: 92
; Occupancy: 5
; WaveLimiterHint : 0
; COMPUTE_PGM_RSRC2:SCRATCH_EN: 0
; COMPUTE_PGM_RSRC2:USER_SGPR: 2
; COMPUTE_PGM_RSRC2:TRAP_HANDLER: 0
; COMPUTE_PGM_RSRC2:TGID_X_EN: 1
; COMPUTE_PGM_RSRC2:TGID_Y_EN: 1
; COMPUTE_PGM_RSRC2:TGID_Z_EN: 1
; COMPUTE_PGM_RSRC2:TIDIG_COMP_CNT: 1
; COMPUTE_PGM_RSRC3_GFX90A:ACCUM_OFFSET: 22
; COMPUTE_PGM_RSRC3_GFX90A:TG_SPLIT: 0
	.section	.text._ZL30rocblas_trmm_outofplace_kernelIfLi32ELi2ELb1ELb0ELb1ELb0EPKfS0_fEv17rocblas_diagonal_iiT6_lPT7_lllS5_lllPT8_llli,"axG",@progbits,_ZL30rocblas_trmm_outofplace_kernelIfLi32ELi2ELb1ELb0ELb1ELb0EPKfS0_fEv17rocblas_diagonal_iiT6_lPT7_lllS5_lllPT8_llli,comdat
	.globl	_ZL30rocblas_trmm_outofplace_kernelIfLi32ELi2ELb1ELb0ELb1ELb0EPKfS0_fEv17rocblas_diagonal_iiT6_lPT7_lllS5_lllPT8_llli ; -- Begin function _ZL30rocblas_trmm_outofplace_kernelIfLi32ELi2ELb1ELb0ELb1ELb0EPKfS0_fEv17rocblas_diagonal_iiT6_lPT7_lllS5_lllPT8_llli
	.p2align	8
	.type	_ZL30rocblas_trmm_outofplace_kernelIfLi32ELi2ELb1ELb0ELb1ELb0EPKfS0_fEv17rocblas_diagonal_iiT6_lPT7_lllS5_lllPT8_llli,@function
_ZL30rocblas_trmm_outofplace_kernelIfLi32ELi2ELb1ELb0ELb1ELb0EPKfS0_fEv17rocblas_diagonal_iiT6_lPT7_lllS5_lllPT8_llli: ; @_ZL30rocblas_trmm_outofplace_kernelIfLi32ELi2ELb1ELb0ELb1ELb0EPKfS0_fEv17rocblas_diagonal_iiT6_lPT7_lllS5_lllPT8_llli
; %bb.0:
	s_load_dwordx16 s[16:31], s[0:1], 0x10
	s_waitcnt lgkmcnt(0)
	s_mul_i32 s5, s19, s4
	s_mul_hi_u32 s6, s18, s4
	s_add_i32 s7, s6, s5
	s_mul_i32 s6, s18, s4
	s_lshl_b64 s[6:7], s[6:7], 2
	s_add_u32 s6, s16, s6
	s_addc_u32 s7, s17, s7
	s_load_dword s33, s[6:7], 0x0
	s_waitcnt lgkmcnt(0)
	v_cmp_eq_f32_e64 s[6:7], s33, 0
	s_and_b64 vcc, exec, s[6:7]
	s_cbranch_vccnz .LBB4_51
; %bb.1:
	s_load_dwordx4 s[44:47], s[0:1], 0x0
	s_waitcnt lgkmcnt(0)
	s_add_i32 s5, s46, -1
	s_ashr_i32 s6, s5, 31
	s_lshr_b32 s6, s6, 27
	s_add_i32 s5, s5, s6
	s_ashr_i32 s47, s5, 5
	s_cmp_gt_i32 s3, s47
	s_cbranch_scc1 .LBB4_51
; %bb.2:
	s_load_dwordx8 s[36:43], s[0:1], 0x50
	s_load_dwordx4 s[48:51], s[0:1], 0x70
	s_mul_i32 s5, s27, s4
	s_mul_hi_u32 s6, s26, s4
	s_add_i32 s7, s6, s5
	s_mul_i32 s6, s26, s4
	s_lshl_b64 s[8:9], s[6:7], 2
	s_add_u32 s5, s20, s8
	s_addc_u32 s7, s21, s9
	s_lshl_b64 s[10:11], s[22:23], 2
	s_add_u32 s6, s5, s10
	s_load_dword s52, s[0:1], 0x8c
	s_waitcnt lgkmcnt(0)
	s_mul_i32 s0, s51, s4
	s_mul_hi_u32 s1, s50, s4
	s_addc_u32 s7, s7, s11
	s_add_i32 s1, s1, s0
	s_mul_i32 s0, s50, s4
	s_lshl_b64 s[0:1], s[0:1], 2
	s_add_u32 s5, s40, s0
	s_addc_u32 s12, s41, s1
	s_lshl_b64 s[0:1], s[42:43], 2
	s_add_u32 s22, s5, s0
	v_bfe_u32 v46, v0, 10, 10
	s_addc_u32 s23, s12, s1
	s_lshl_b32 s2, s2, 5
	v_and_b32_e32 v4, 0x3ff, v0
	v_add_u32_e32 v12, s2, v46
	v_add_u32_e32 v14, s2, v4
	s_sub_i32 s2, s45, s2
	s_cmp_gt_i32 s2, 0
	s_cselect_b64 s[12:13], -1, 0
	s_cmpk_eq_i32 s44, 0x84
	s_cselect_b64 s[26:27], -1, 0
	s_ashr_i32 s35, s45, 31
	s_ashr_i32 s42, s46, 31
	s_add_u32 s40, s45, -16
	s_mul_i32 s5, s39, s4
	s_mul_hi_u32 s14, s38, s4
	v_ashrrev_i32_e32 v15, 31, v14
	s_addc_u32 s41, s35, -1
	s_add_i32 s5, s14, s5
	s_mul_i32 s4, s38, s4
	v_mul_lo_u32 v2, s24, v15
	v_mul_lo_u32 v3, s25, v14
	v_mad_u64_u32 v[0:1], s[0:1], s24, v14, 0
	s_lshl_b64 s[4:5], s[4:5], 2
	s_lshl_b64 s[14:15], s[30:31], 2
	v_ashrrev_i32_e32 v13, 31, v12
	v_add3_u32 v1, v1, v2, v3
	s_add_u32 s4, s4, s14
	v_lshl_add_u64 v[0:1], v[0:1], 2, s[6:7]
	v_lshlrev_b64 v[2:3], 2, v[12:13]
	s_addc_u32 s5, s5, s15
	v_lshl_add_u64 v[16:17], v[0:1], 0, v[2:3]
	v_lshlrev_b32_e32 v0, 7, v46
	v_lshlrev_b32_e32 v47, 2, v4
	s_add_u32 s4, s28, s4
	v_add_u32_e32 v48, v47, v0
	v_add_u32_e32 v49, 0x1000, v0
	v_lshlrev_b64 v[0:1], 2, v[14:15]
	s_addc_u32 s5, s29, s5
	s_lshl_b64 s[28:29], s[36:37], 2
	s_lshl_b32 s43, s52, 5
	v_lshl_add_u64 v[28:29], s[4:5], 0, v[0:1]
	s_add_u32 s4, s10, s8
	s_addc_u32 s5, s11, s9
	v_lshl_add_u64 v[0:1], v[0:1], 0, 64
	v_mov_b64_e32 v[4:5], s[4:5]
	v_mul_lo_u32 v6, s24, v1
	v_mul_lo_u32 v7, s25, v0
	v_mad_u64_u32 v[0:1], s[4:5], s24, v0, v[4:5]
	v_add3_u32 v1, v7, v1, v6
	v_sub_co_u32_e32 v22, vcc, v14, v12
	v_lshl_add_u64 v[0:1], v[0:1], 0, v[2:3]
	s_mov_b32 s34, s45
	v_lshl_add_u64 v[18:19], v[14:15], 0, 16
	v_add_u32_e32 v20, 16, v14
	v_subb_co_u32_e32 v23, vcc, v15, v13, vcc
	v_lshl_add_u64 v[34:35], s[20:21], 0, v[0:1]
	v_cndmask_b32_e64 v0, 0, 1, s[12:13]
	v_add_u32_e32 v50, v49, v47
	v_cmp_le_i32_e64 s[0:1], s45, v14
	v_cmp_le_i64_e64 s[16:17], s[34:35], v[18:19]
	v_cmp_gt_i32_e64 s[18:19], s45, v14
	v_cmp_gt_i32_e64 s[6:7], s45, v20
	v_ashrrev_i32_e32 v21, 31, v20
	v_lshl_add_u64 v[24:25], v[22:23], 0, 16
	v_lshl_add_u64 v[26:27], v[22:23], 0, -16
	v_lshl_add_u64 v[30:31], v[28:29], 0, 64
	v_lshl_add_u32 v32, s3, 5, v46
	v_mov_b32_e32 v51, 0
	v_mov_b32_e32 v52, 1.0
	v_cmp_ne_u32_e64 s[8:9], 1, v0
	v_add_u32_e32 v53, 0x400, v47
	v_add_u32_e32 v54, 0x800, v47
	;; [unrolled: 1-line block ×3, first 2 shown]
	s_branch .LBB4_4
.LBB4_3:                                ;   in Loop: Header=BB4_4 Depth=1
	s_or_b64 exec, exec, s[4:5]
	s_add_i32 s3, s52, s3
	s_cmp_le_i32 s3, s47
	v_add_u32_e32 v32, s43, v32
	s_cbranch_scc0 .LBB4_51
.LBB4_4:                                ; =>This Loop Header: Depth=1
                                        ;     Child Loop BB4_7 Depth 2
	v_lshl_add_u32 v36, s3, 5, v46
	v_ashrrev_i32_e32 v37, 31, v36
	s_and_b64 vcc, exec, s[8:9]
	v_mov_b32_e32 v45, 0
	v_mov_b32_e32 v44, 0
	;; [unrolled: 1-line block ×4, first 2 shown]
	s_cbranch_vccnz .LBB4_43
; %bb.5:                                ;   in Loop: Header=BB4_4 Depth=1
	v_ashrrev_i32_e32 v33, 31, v32
	v_mad_u64_u32 v[38:39], s[4:5], s28, v32, v[30:31]
	v_mul_lo_u32 v0, s29, v32
	v_mul_lo_u32 v1, s28, v33
	v_add3_u32 v39, v0, v39, v1
	v_lshl_add_u64 v[0:1], v[32:33], 2, 64
	v_mul_lo_u32 v1, s36, v1
	v_mul_lo_u32 v2, s37, v0
	v_mad_u64_u32 v[40:41], s[4:5], s36, v0, v[28:29]
	v_add3_u32 v41, v2, v41, v1
	v_mov_b32_e32 v1, s42
	v_sub_co_u32_e32 v0, vcc, s46, v36
	v_mov_b32_e32 v42, 0
	s_nop 0
	v_subb_co_u32_e32 v1, vcc, v1, v37, vcc
	s_mov_b64 s[20:21], 0
	v_cmp_lt_i64_e32 vcc, 0, v[0:1]
	v_cmp_lt_i64_e64 s[10:11], 16, v[0:1]
	s_mov_b64 s[24:25], 0
	v_mov_b32_e32 v43, v42
	v_mov_b32_e32 v44, v42
	;; [unrolled: 1-line block ×3, first 2 shown]
	s_branch .LBB4_7
.LBB4_6:                                ;   in Loop: Header=BB4_7 Depth=2
	s_or_b64 exec, exec, s[4:5]
	s_waitcnt lgkmcnt(0)
	s_barrier
	ds_read_b128 v[56:59], v49
	ds_read_b128 v[60:63], v49 offset:16
	ds_read_b128 v[4:7], v49 offset:32
	;; [unrolled: 1-line block ×3, first 2 shown]
	ds_read2_b32 v[72:73], v47 offset1:16
	ds_read2_b32 v[74:75], v47 offset0:32 offset1:48
	ds_read2_b32 v[76:77], v47 offset0:64 offset1:80
	;; [unrolled: 1-line block ×4, first 2 shown]
	ds_read_b128 v[64:67], v49 offset:2048
	ds_read_b128 v[68:71], v49 offset:2064
	ds_read2_b32 v[82:83], v47 offset0:160 offset1:176
	ds_read2_b32 v[84:85], v47 offset0:192 offset1:208
	;; [unrolled: 1-line block ×3, first 2 shown]
	ds_read2_b32 v[88:89], v53 offset1:16
	ds_read_b128 v[8:11], v49 offset:2080
	ds_read2_b32 v[90:91], v53 offset0:32 offset1:48
	s_waitcnt lgkmcnt(12)
	v_pk_fma_f32 v[44:45], v[72:73], v[56:57], v[44:45] op_sel_hi:[1,0,1]
	s_waitcnt lgkmcnt(7)
	v_pk_fma_f32 v[42:43], v[72:73], v[64:65], v[42:43] op_sel_hi:[1,0,1]
	v_pk_fma_f32 v[44:45], v[74:75], v[56:57], v[44:45] op_sel:[0,1,0]
	v_mov_b32_e32 v56, v59
	v_pk_fma_f32 v[44:45], v[76:77], v[58:59], v[44:45] op_sel_hi:[1,0,1]
	v_pk_fma_f32 v[42:43], v[74:75], v[64:65], v[42:43] op_sel:[0,1,0]
	v_pk_fma_f32 v[44:45], v[78:79], v[56:57], v[44:45] op_sel_hi:[1,0,1]
	v_mov_b32_e32 v56, v63
	v_pk_fma_f32 v[44:45], v[80:81], v[60:61], v[44:45] op_sel_hi:[1,0,1]
	v_pk_fma_f32 v[42:43], v[76:77], v[66:67], v[42:43] op_sel_hi:[1,0,1]
	s_waitcnt lgkmcnt(5)
	v_pk_fma_f32 v[44:45], v[82:83], v[60:61], v[44:45] op_sel:[0,1,0]
	s_add_u32 s24, s24, 32
	s_waitcnt lgkmcnt(4)
	v_pk_fma_f32 v[44:45], v[84:85], v[62:63], v[44:45] op_sel_hi:[1,0,1]
	s_addc_u32 s25, s25, 0
	s_waitcnt lgkmcnt(3)
	v_pk_fma_f32 v[44:45], v[86:87], v[56:57], v[44:45] op_sel_hi:[1,0,1]
	s_add_u32 s20, s20, 0x80
	s_waitcnt lgkmcnt(2)
	v_pk_fma_f32 v[44:45], v[88:89], v[4:5], v[44:45] op_sel_hi:[1,0,1]
	s_addc_u32 s21, s21, 0
	s_waitcnt lgkmcnt(0)
	v_pk_fma_f32 v[4:5], v[90:91], v[4:5], v[44:45] op_sel:[0,1,0]
	v_mov_b32_e32 v44, v67
	v_pk_fma_f32 v[42:43], v[78:79], v[44:45], v[42:43] op_sel_hi:[1,0,1]
	v_mov_b32_e32 v44, v71
	v_pk_fma_f32 v[42:43], v[80:81], v[68:69], v[42:43] op_sel_hi:[1,0,1]
	s_cmp_ge_i32 s24, s2
	v_pk_fma_f32 v[42:43], v[82:83], v[68:69], v[42:43] op_sel:[0,1,0]
	s_nop 0
	v_pk_fma_f32 v[42:43], v[84:85], v[70:71], v[42:43] op_sel_hi:[1,0,1]
	s_nop 0
	v_pk_fma_f32 v[56:57], v[86:87], v[44:45], v[42:43] op_sel_hi:[1,0,1]
	ds_read_b128 v[42:45], v49 offset:2096
	v_pk_fma_f32 v[56:57], v[88:89], v[8:9], v[56:57] op_sel_hi:[1,0,1]
	s_nop 0
	v_pk_fma_f32 v[8:9], v[90:91], v[8:9], v[56:57] op_sel:[0,1,0]
	ds_read2_b32 v[64:65], v53 offset0:64 offset1:80
	ds_read2_b32 v[66:67], v53 offset0:96 offset1:112
	;; [unrolled: 1-line block ×6, first 2 shown]
	ds_read2_b32 v[76:77], v54 offset1:16
	ds_read2_b32 v[78:79], v54 offset0:32 offset1:48
	ds_read2_b32 v[80:81], v54 offset0:64 offset1:80
	;; [unrolled: 1-line block ×3, first 2 shown]
	ds_read_b128 v[56:59], v49 offset:64
	ds_read_b128 v[60:63], v49 offset:80
	ds_read2_b32 v[84:85], v54 offset0:128 offset1:144
	s_waitcnt lgkmcnt(12)
	v_pk_fma_f32 v[4:5], v[64:65], v[6:7], v[4:5] op_sel_hi:[1,0,1]
	v_mov_b32_e32 v6, v7
	s_waitcnt lgkmcnt(11)
	v_pk_fma_f32 v[4:5], v[66:67], v[6:7], v[4:5] op_sel_hi:[1,0,1]
	v_pk_fma_f32 v[8:9], v[64:65], v[10:11], v[8:9] op_sel_hi:[1,0,1]
	s_waitcnt lgkmcnt(10)
	v_pk_fma_f32 v[4:5], v[68:69], v[0:1], v[4:5] op_sel_hi:[1,0,1]
	v_mov_b32_e32 v10, v11
	s_waitcnt lgkmcnt(9)
	v_pk_fma_f32 v[0:1], v[70:71], v[0:1], v[4:5] op_sel:[0,1,0]
	v_pk_fma_f32 v[8:9], v[66:67], v[10:11], v[8:9] op_sel_hi:[1,0,1]
	s_waitcnt lgkmcnt(8)
	v_pk_fma_f32 v[0:1], v[72:73], v[2:3], v[0:1] op_sel_hi:[1,0,1]
	v_mov_b32_e32 v2, v3
	s_waitcnt lgkmcnt(7)
	v_pk_fma_f32 v[0:1], v[74:75], v[2:3], v[0:1] op_sel_hi:[1,0,1]
	s_waitcnt lgkmcnt(2)
	v_mov_b32_e32 v2, v59
	v_pk_fma_f32 v[0:1], v[76:77], v[56:57], v[0:1] op_sel_hi:[1,0,1]
	v_pk_fma_f32 v[8:9], v[68:69], v[42:43], v[8:9] op_sel_hi:[1,0,1]
	v_pk_fma_f32 v[0:1], v[78:79], v[56:57], v[0:1] op_sel:[0,1,0]
	v_pk_fma_f32 v[8:9], v[70:71], v[42:43], v[8:9] op_sel:[0,1,0]
	v_pk_fma_f32 v[0:1], v[80:81], v[58:59], v[0:1] op_sel_hi:[1,0,1]
	v_pk_fma_f32 v[8:9], v[72:73], v[44:45], v[8:9] op_sel_hi:[1,0,1]
	;; [unrolled: 1-line block ×3, first 2 shown]
	v_mov_b32_e32 v10, v45
	s_waitcnt lgkmcnt(0)
	v_pk_fma_f32 v[86:87], v[84:85], v[60:61], v[0:1] op_sel_hi:[1,0,1]
	ds_read_b128 v[0:3], v49 offset:2112
	ds_read_b128 v[4:7], v49 offset:2128
	v_pk_fma_f32 v[8:9], v[74:75], v[10:11], v[8:9] op_sel_hi:[1,0,1]
	s_waitcnt lgkmcnt(1)
	v_pk_fma_f32 v[8:9], v[76:77], v[0:1], v[8:9] op_sel_hi:[1,0,1]
	s_nop 0
	v_pk_fma_f32 v[0:1], v[78:79], v[0:1], v[8:9] op_sel:[0,1,0]
	s_nop 0
	v_pk_fma_f32 v[0:1], v[80:81], v[2:3], v[0:1] op_sel_hi:[1,0,1]
	v_mov_b32_e32 v2, v3
	v_pk_fma_f32 v[0:1], v[82:83], v[2:3], v[0:1] op_sel_hi:[1,0,1]
	s_waitcnt lgkmcnt(0)
	v_pk_fma_f32 v[42:43], v[84:85], v[4:5], v[0:1] op_sel_hi:[1,0,1]
	ds_read2_b32 v[68:69], v54 offset0:160 offset1:176
	ds_read2_b32 v[70:71], v54 offset0:192 offset1:208
	;; [unrolled: 1-line block ×3, first 2 shown]
	ds_read2_b32 v[74:75], v55 offset1:16
	ds_read2_b32 v[76:77], v55 offset0:32 offset1:48
	ds_read2_b32 v[78:79], v55 offset0:64 offset1:80
	;; [unrolled: 1-line block ×3, first 2 shown]
	ds_read_b128 v[0:3], v49 offset:96
	ds_read_b128 v[8:11], v49 offset:112
	ds_read2_b32 v[82:83], v55 offset0:128 offset1:144
	ds_read_b128 v[56:59], v49 offset:2144
	ds_read_b128 v[64:67], v49 offset:2160
	ds_read2_b32 v[84:85], v55 offset0:160 offset1:176
	ds_read2_b32 v[88:89], v55 offset0:192 offset1:208
	;; [unrolled: 1-line block ×3, first 2 shown]
	s_waitcnt lgkmcnt(14)
	v_pk_fma_f32 v[44:45], v[68:69], v[60:61], v[86:87] op_sel:[0,1,0]
	v_mov_b32_e32 v60, v63
	s_waitcnt lgkmcnt(13)
	v_pk_fma_f32 v[44:45], v[70:71], v[62:63], v[44:45] op_sel_hi:[1,0,1]
	s_waitcnt lgkmcnt(0)
	v_pk_fma_f32 v[44:45], v[72:73], v[60:61], v[44:45] op_sel_hi:[1,0,1]
	s_barrier
	v_pk_fma_f32 v[44:45], v[74:75], v[0:1], v[44:45] op_sel_hi:[1,0,1]
	s_nop 0
	v_pk_fma_f32 v[0:1], v[76:77], v[0:1], v[44:45] op_sel:[0,1,0]
	s_nop 0
	v_pk_fma_f32 v[0:1], v[78:79], v[2:3], v[0:1] op_sel_hi:[1,0,1]
	v_mov_b32_e32 v2, v3
	v_pk_fma_f32 v[0:1], v[80:81], v[2:3], v[0:1] op_sel_hi:[1,0,1]
	v_mov_b32_e32 v2, v11
	v_pk_fma_f32 v[0:1], v[82:83], v[8:9], v[0:1] op_sel_hi:[1,0,1]
	s_nop 0
	v_pk_fma_f32 v[0:1], v[84:85], v[8:9], v[0:1] op_sel:[0,1,0]
	s_nop 0
	v_pk_fma_f32 v[0:1], v[88:89], v[10:11], v[0:1] op_sel_hi:[1,0,1]
	s_nop 0
	v_pk_fma_f32 v[44:45], v[90:91], v[2:3], v[0:1] op_sel_hi:[1,0,1]
	v_pk_fma_f32 v[0:1], v[68:69], v[4:5], v[42:43] op_sel:[0,1,0]
	v_mov_b32_e32 v2, v7
	v_pk_fma_f32 v[0:1], v[70:71], v[6:7], v[0:1] op_sel_hi:[1,0,1]
	s_nop 0
	v_pk_fma_f32 v[0:1], v[72:73], v[2:3], v[0:1] op_sel_hi:[1,0,1]
	v_mov_b32_e32 v2, v59
	v_pk_fma_f32 v[0:1], v[74:75], v[56:57], v[0:1] op_sel_hi:[1,0,1]
	s_nop 0
	v_pk_fma_f32 v[0:1], v[76:77], v[56:57], v[0:1] op_sel:[0,1,0]
	s_nop 0
	v_pk_fma_f32 v[0:1], v[78:79], v[58:59], v[0:1] op_sel_hi:[1,0,1]
	s_nop 0
	v_pk_fma_f32 v[0:1], v[80:81], v[2:3], v[0:1] op_sel_hi:[1,0,1]
	v_mov_b32_e32 v2, v67
	v_pk_fma_f32 v[0:1], v[82:83], v[64:65], v[0:1] op_sel_hi:[1,0,1]
	s_nop 0
	v_pk_fma_f32 v[0:1], v[84:85], v[64:65], v[0:1] op_sel:[0,1,0]
	s_nop 0
	v_pk_fma_f32 v[0:1], v[88:89], v[66:67], v[0:1] op_sel_hi:[1,0,1]
	s_nop 0
	v_pk_fma_f32 v[42:43], v[90:91], v[2:3], v[0:1] op_sel_hi:[1,0,1]
	s_cbranch_scc1 .LBB4_43
.LBB4_7:                                ;   Parent Loop BB4_4 Depth=1
                                        ; =>  This Inner Loop Header: Depth=2
	v_lshl_add_u64 v[4:5], v[12:13], 0, s[24:25]
	v_cmp_le_i64_e64 s[14:15], s[34:35], v[4:5]
	v_cmp_eq_u64_e64 s[4:5], s[24:25], v[22:23]
	v_cmp_lt_i64_e64 s[12:13], v[4:5], v[14:15]
	s_and_b64 s[30:31], s[26:27], s[4:5]
	s_or_b64 s[4:5], s[14:15], s[12:13]
	s_or_b64 s[4:5], s[4:5], s[30:31]
	v_lshl_add_u64 v[0:1], v[16:17], 0, s[20:21]
	s_nor_b64 s[4:5], s[0:1], s[4:5]
                                        ; implicit-def: $vgpr2
	s_and_saveexec_b64 s[38:39], s[4:5]
	s_xor_b64 s[4:5], exec, s[38:39]
	s_cbranch_execz .LBB4_9
; %bb.8:                                ;   in Loop: Header=BB4_7 Depth=2
	global_load_dword v2, v[0:1], off
.LBB4_9:                                ;   in Loop: Header=BB4_7 Depth=2
	s_andn2_saveexec_b64 s[4:5], s[4:5]
	s_cbranch_execz .LBB4_11
; %bb.10:                               ;   in Loop: Header=BB4_7 Depth=2
	s_waitcnt vmcnt(0)
	v_cndmask_b32_e64 v2, 0, 1.0, s[30:31]
.LBB4_11:                               ;   in Loop: Header=BB4_7 Depth=2
	s_or_b64 exec, exec, s[4:5]
	v_cmp_eq_u64_e64 s[4:5], s[24:25], v[24:25]
	s_and_b64 s[38:39], s[26:27], s[4:5]
	v_cmp_gt_i64_e64 s[4:5], v[18:19], v[4:5]
	s_or_b64 s[4:5], s[14:15], s[4:5]
	s_or_b64 s[4:5], s[4:5], s[38:39]
	s_waitcnt vmcnt(0)
	ds_write_b32 v48, v2
	s_nor_b64 s[4:5], s[16:17], s[4:5]
	v_lshl_add_u64 v[2:3], v[34:35], 0, s[20:21]
	s_and_saveexec_b64 s[14:15], s[4:5]
	s_xor_b64 s[4:5], exec, s[14:15]
	s_cbranch_execz .LBB4_13
; %bb.12:                               ;   in Loop: Header=BB4_7 Depth=2
	global_load_dword v6, v[2:3], off
	s_waitcnt vmcnt(0)
	ds_write_b32 v48, v6 offset:64
.LBB4_13:                               ;   in Loop: Header=BB4_7 Depth=2
	s_andn2_saveexec_b64 s[4:5], s[4:5]
	s_cbranch_execz .LBB4_19
; %bb.14:                               ;   in Loop: Header=BB4_7 Depth=2
	s_xor_b64 s[14:15], s[38:39], -1
	s_and_saveexec_b64 s[38:39], s[14:15]
	s_xor_b64 s[14:15], exec, s[38:39]
; %bb.15:                               ;   in Loop: Header=BB4_7 Depth=2
	ds_write_b32 v48, v51 offset:64
; %bb.16:                               ;   in Loop: Header=BB4_7 Depth=2
	s_andn2_saveexec_b64 s[14:15], s[14:15]
; %bb.17:                               ;   in Loop: Header=BB4_7 Depth=2
	ds_write_b32 v48, v52 offset:64
; %bb.18:                               ;   in Loop: Header=BB4_7 Depth=2
	s_or_b64 exec, exec, s[14:15]
.LBB4_19:                               ;   in Loop: Header=BB4_7 Depth=2
	s_or_b64 exec, exec, s[4:5]
	v_lshl_add_u64 v[4:5], v[4:5], 0, 16
	v_cmp_eq_u64_e64 s[4:5], s[24:25], v[26:27]
	v_cmp_le_i64_e64 s[14:15], s[34:35], v[4:5]
	s_and_b64 s[38:39], s[26:27], s[4:5]
	v_cmp_lt_i64_e64 s[4:5], v[4:5], v[14:15]
	s_or_b64 s[4:5], s[14:15], s[4:5]
	s_or_b64 s[4:5], s[4:5], s[38:39]
	s_nor_b64 s[4:5], s[0:1], s[4:5]
                                        ; implicit-def: $vgpr4
	s_and_saveexec_b64 s[44:45], s[4:5]
	s_xor_b64 s[4:5], exec, s[44:45]
	s_cbranch_execz .LBB4_21
; %bb.20:                               ;   in Loop: Header=BB4_7 Depth=2
	global_load_dword v4, v[0:1], off offset:64
.LBB4_21:                               ;   in Loop: Header=BB4_7 Depth=2
	s_andn2_saveexec_b64 s[4:5], s[4:5]
	s_cbranch_execz .LBB4_23
; %bb.22:                               ;   in Loop: Header=BB4_7 Depth=2
	s_waitcnt vmcnt(0)
	v_cndmask_b32_e64 v4, 0, 1.0, s[38:39]
.LBB4_23:                               ;   in Loop: Header=BB4_7 Depth=2
	s_or_b64 exec, exec, s[4:5]
	s_or_b64 s[4:5], s[14:15], s[12:13]
	s_or_b64 s[4:5], s[4:5], s[30:31]
	s_nor_b64 s[4:5], s[16:17], s[4:5]
	s_waitcnt vmcnt(0)
	ds_write_b32 v48, v4 offset:2048
	s_and_saveexec_b64 s[12:13], s[4:5]
	s_xor_b64 s[4:5], exec, s[12:13]
	s_cbranch_execz .LBB4_25
; %bb.24:                               ;   in Loop: Header=BB4_7 Depth=2
	global_load_dword v0, v[2:3], off offset:64
	s_waitcnt vmcnt(0)
	ds_write_b32 v48, v0 offset:2112
.LBB4_25:                               ;   in Loop: Header=BB4_7 Depth=2
	s_andn2_saveexec_b64 s[4:5], s[4:5]
	s_cbranch_execz .LBB4_31
; %bb.26:                               ;   in Loop: Header=BB4_7 Depth=2
	s_xor_b64 s[12:13], s[30:31], -1
	s_and_saveexec_b64 s[14:15], s[12:13]
	s_xor_b64 s[12:13], exec, s[14:15]
; %bb.27:                               ;   in Loop: Header=BB4_7 Depth=2
	ds_write_b32 v48, v51 offset:2112
; %bb.28:                               ;   in Loop: Header=BB4_7 Depth=2
	s_andn2_saveexec_b64 s[12:13], s[12:13]
; %bb.29:                               ;   in Loop: Header=BB4_7 Depth=2
	ds_write_b32 v48, v52 offset:2112
; %bb.30:                               ;   in Loop: Header=BB4_7 Depth=2
	s_or_b64 exec, exec, s[12:13]
.LBB4_31:                               ;   in Loop: Header=BB4_7 Depth=2
	s_or_b64 exec, exec, s[4:5]
	v_lshl_add_u64 v[2:3], v[14:15], 0, s[24:25]
	v_cmp_gt_i64_e64 s[12:13], s[34:35], v[2:3]
	v_lshl_add_u64 v[0:1], v[38:39], 0, s[20:21]
	s_and_b64 s[14:15], vcc, s[12:13]
	v_mov_b32_e32 v4, 0
	s_and_saveexec_b64 s[4:5], s[14:15]
	s_cbranch_execz .LBB4_33
; %bb.32:                               ;   in Loop: Header=BB4_7 Depth=2
	global_load_dword v4, v[0:1], off offset:-64
.LBB4_33:                               ;   in Loop: Header=BB4_7 Depth=2
	s_or_b64 exec, exec, s[4:5]
	v_cmp_gt_i64_e64 s[14:15], s[40:41], v[2:3]
	s_and_b64 s[4:5], vcc, s[14:15]
	s_xor_b64 s[4:5], s[4:5], -1
	s_waitcnt vmcnt(0)
	ds_write_b32 v50, v4
	s_and_saveexec_b64 s[30:31], s[4:5]
	s_xor_b64 s[4:5], exec, s[30:31]
; %bb.34:                               ;   in Loop: Header=BB4_7 Depth=2
	ds_write_b32 v50, v51 offset:64
                                        ; implicit-def: $vgpr0_vgpr1
; %bb.35:                               ;   in Loop: Header=BB4_7 Depth=2
	s_andn2_saveexec_b64 s[4:5], s[4:5]
	s_cbranch_execz .LBB4_37
; %bb.36:                               ;   in Loop: Header=BB4_7 Depth=2
	global_load_dword v0, v[0:1], off
	s_waitcnt vmcnt(0)
	ds_write_b32 v50, v0 offset:64
.LBB4_37:                               ;   in Loop: Header=BB4_7 Depth=2
	s_or_b64 exec, exec, s[4:5]
	v_lshl_add_u64 v[0:1], v[40:41], 0, s[20:21]
	s_and_b64 s[12:13], s[10:11], s[12:13]
	v_mov_b32_e32 v2, 0
	s_and_saveexec_b64 s[4:5], s[12:13]
	s_cbranch_execz .LBB4_39
; %bb.38:                               ;   in Loop: Header=BB4_7 Depth=2
	global_load_dword v2, v[0:1], off
.LBB4_39:                               ;   in Loop: Header=BB4_7 Depth=2
	s_or_b64 exec, exec, s[4:5]
	s_and_b64 s[4:5], s[10:11], s[14:15]
	s_xor_b64 s[4:5], s[4:5], -1
	s_waitcnt vmcnt(0)
	ds_write_b32 v50, v2 offset:2048
	s_and_saveexec_b64 s[12:13], s[4:5]
	s_xor_b64 s[4:5], exec, s[12:13]
; %bb.40:                               ;   in Loop: Header=BB4_7 Depth=2
	ds_write_b32 v50, v51 offset:2112
                                        ; implicit-def: $vgpr0_vgpr1
; %bb.41:                               ;   in Loop: Header=BB4_7 Depth=2
	s_andn2_saveexec_b64 s[4:5], s[4:5]
	s_cbranch_execz .LBB4_6
; %bb.42:                               ;   in Loop: Header=BB4_7 Depth=2
	global_load_dword v0, v[0:1], off offset:64
	s_waitcnt vmcnt(0)
	ds_write_b32 v50, v0 offset:2112
	s_branch .LBB4_6
.LBB4_43:                               ;   in Loop: Header=BB4_4 Depth=1
	v_mul_lo_u32 v2, s49, v36
	v_mul_lo_u32 v3, s48, v37
	v_mad_u64_u32 v[0:1], s[4:5], s48, v36, 0
	v_cmp_gt_i32_e32 vcc, s46, v36
	v_add3_u32 v1, v1, v3, v2
	v_lshl_add_u64 v[0:1], v[0:1], 2, s[22:23]
	s_and_b64 s[10:11], s[18:19], vcc
	s_and_saveexec_b64 s[4:5], s[10:11]
	s_cbranch_execz .LBB4_45
; %bb.44:                               ;   in Loop: Header=BB4_4 Depth=1
	v_lshl_add_u64 v[2:3], v[14:15], 2, v[0:1]
	global_load_dword v4, v[2:3], off
	s_waitcnt vmcnt(0)
	v_fmac_f32_e32 v4, s33, v44
	global_store_dword v[2:3], v4, off
.LBB4_45:                               ;   in Loop: Header=BB4_4 Depth=1
	s_or_b64 exec, exec, s[4:5]
	s_and_b64 s[10:11], s[6:7], vcc
	s_and_saveexec_b64 s[4:5], s[10:11]
	s_cbranch_execz .LBB4_47
; %bb.46:                               ;   in Loop: Header=BB4_4 Depth=1
	v_lshl_add_u64 v[0:1], v[20:21], 2, v[0:1]
	global_load_dword v2, v[0:1], off
	s_waitcnt vmcnt(0)
	v_fmac_f32_e32 v2, s33, v45
	global_store_dword v[0:1], v2, off
.LBB4_47:                               ;   in Loop: Header=BB4_4 Depth=1
	s_or_b64 exec, exec, s[4:5]
	v_add_u32_e32 v0, 16, v36
	v_ashrrev_i32_e32 v1, 31, v0
	v_cmp_gt_i32_e32 vcc, s46, v0
	v_mul_lo_u32 v2, s48, v1
	v_mul_lo_u32 v3, s49, v0
	v_mad_u64_u32 v[0:1], s[4:5], s48, v0, 0
	v_add3_u32 v1, v1, v2, v3
	v_lshl_add_u64 v[0:1], v[0:1], 2, s[22:23]
	s_and_b64 s[10:11], s[18:19], vcc
	s_and_saveexec_b64 s[4:5], s[10:11]
	s_cbranch_execz .LBB4_49
; %bb.48:                               ;   in Loop: Header=BB4_4 Depth=1
	v_lshl_add_u64 v[2:3], v[14:15], 2, v[0:1]
	global_load_dword v4, v[2:3], off
	s_waitcnt vmcnt(0)
	v_fmac_f32_e32 v4, s33, v42
	global_store_dword v[2:3], v4, off
.LBB4_49:                               ;   in Loop: Header=BB4_4 Depth=1
	s_or_b64 exec, exec, s[4:5]
	s_and_b64 s[10:11], s[6:7], vcc
	s_and_saveexec_b64 s[4:5], s[10:11]
	s_cbranch_execz .LBB4_3
; %bb.50:                               ;   in Loop: Header=BB4_4 Depth=1
	v_lshl_add_u64 v[0:1], v[20:21], 2, v[0:1]
	global_load_dword v2, v[0:1], off
	s_waitcnt vmcnt(0)
	v_fmac_f32_e32 v2, s33, v43
	global_store_dword v[0:1], v2, off
	s_branch .LBB4_3
.LBB4_51:
	s_endpgm
	.section	.rodata,"a",@progbits
	.p2align	6, 0x0
	.amdhsa_kernel _ZL30rocblas_trmm_outofplace_kernelIfLi32ELi2ELb1ELb0ELb1ELb0EPKfS0_fEv17rocblas_diagonal_iiT6_lPT7_lllS5_lllPT8_llli
		.amdhsa_group_segment_fixed_size 8192
		.amdhsa_private_segment_fixed_size 0
		.amdhsa_kernarg_size 392
		.amdhsa_user_sgpr_count 2
		.amdhsa_user_sgpr_dispatch_ptr 0
		.amdhsa_user_sgpr_queue_ptr 0
		.amdhsa_user_sgpr_kernarg_segment_ptr 1
		.amdhsa_user_sgpr_dispatch_id 0
		.amdhsa_user_sgpr_kernarg_preload_length 0
		.amdhsa_user_sgpr_kernarg_preload_offset 0
		.amdhsa_user_sgpr_private_segment_size 0
		.amdhsa_uses_dynamic_stack 0
		.amdhsa_enable_private_segment 0
		.amdhsa_system_sgpr_workgroup_id_x 1
		.amdhsa_system_sgpr_workgroup_id_y 1
		.amdhsa_system_sgpr_workgroup_id_z 1
		.amdhsa_system_sgpr_workgroup_info 0
		.amdhsa_system_vgpr_workitem_id 1
		.amdhsa_next_free_vgpr 92
		.amdhsa_next_free_sgpr 53
		.amdhsa_accum_offset 92
		.amdhsa_reserve_vcc 1
		.amdhsa_float_round_mode_32 0
		.amdhsa_float_round_mode_16_64 0
		.amdhsa_float_denorm_mode_32 3
		.amdhsa_float_denorm_mode_16_64 3
		.amdhsa_dx10_clamp 1
		.amdhsa_ieee_mode 1
		.amdhsa_fp16_overflow 0
		.amdhsa_tg_split 0
		.amdhsa_exception_fp_ieee_invalid_op 0
		.amdhsa_exception_fp_denorm_src 0
		.amdhsa_exception_fp_ieee_div_zero 0
		.amdhsa_exception_fp_ieee_overflow 0
		.amdhsa_exception_fp_ieee_underflow 0
		.amdhsa_exception_fp_ieee_inexact 0
		.amdhsa_exception_int_div_zero 0
	.end_amdhsa_kernel
	.section	.text._ZL30rocblas_trmm_outofplace_kernelIfLi32ELi2ELb1ELb0ELb1ELb0EPKfS0_fEv17rocblas_diagonal_iiT6_lPT7_lllS5_lllPT8_llli,"axG",@progbits,_ZL30rocblas_trmm_outofplace_kernelIfLi32ELi2ELb1ELb0ELb1ELb0EPKfS0_fEv17rocblas_diagonal_iiT6_lPT7_lllS5_lllPT8_llli,comdat
.Lfunc_end4:
	.size	_ZL30rocblas_trmm_outofplace_kernelIfLi32ELi2ELb1ELb0ELb1ELb0EPKfS0_fEv17rocblas_diagonal_iiT6_lPT7_lllS5_lllPT8_llli, .Lfunc_end4-_ZL30rocblas_trmm_outofplace_kernelIfLi32ELi2ELb1ELb0ELb1ELb0EPKfS0_fEv17rocblas_diagonal_iiT6_lPT7_lllS5_lllPT8_llli
                                        ; -- End function
	.set _ZL30rocblas_trmm_outofplace_kernelIfLi32ELi2ELb1ELb0ELb1ELb0EPKfS0_fEv17rocblas_diagonal_iiT6_lPT7_lllS5_lllPT8_llli.num_vgpr, 92
	.set _ZL30rocblas_trmm_outofplace_kernelIfLi32ELi2ELb1ELb0ELb1ELb0EPKfS0_fEv17rocblas_diagonal_iiT6_lPT7_lllS5_lllPT8_llli.num_agpr, 0
	.set _ZL30rocblas_trmm_outofplace_kernelIfLi32ELi2ELb1ELb0ELb1ELb0EPKfS0_fEv17rocblas_diagonal_iiT6_lPT7_lllS5_lllPT8_llli.numbered_sgpr, 53
	.set _ZL30rocblas_trmm_outofplace_kernelIfLi32ELi2ELb1ELb0ELb1ELb0EPKfS0_fEv17rocblas_diagonal_iiT6_lPT7_lllS5_lllPT8_llli.num_named_barrier, 0
	.set _ZL30rocblas_trmm_outofplace_kernelIfLi32ELi2ELb1ELb0ELb1ELb0EPKfS0_fEv17rocblas_diagonal_iiT6_lPT7_lllS5_lllPT8_llli.private_seg_size, 0
	.set _ZL30rocblas_trmm_outofplace_kernelIfLi32ELi2ELb1ELb0ELb1ELb0EPKfS0_fEv17rocblas_diagonal_iiT6_lPT7_lllS5_lllPT8_llli.uses_vcc, 1
	.set _ZL30rocblas_trmm_outofplace_kernelIfLi32ELi2ELb1ELb0ELb1ELb0EPKfS0_fEv17rocblas_diagonal_iiT6_lPT7_lllS5_lllPT8_llli.uses_flat_scratch, 0
	.set _ZL30rocblas_trmm_outofplace_kernelIfLi32ELi2ELb1ELb0ELb1ELb0EPKfS0_fEv17rocblas_diagonal_iiT6_lPT7_lllS5_lllPT8_llli.has_dyn_sized_stack, 0
	.set _ZL30rocblas_trmm_outofplace_kernelIfLi32ELi2ELb1ELb0ELb1ELb0EPKfS0_fEv17rocblas_diagonal_iiT6_lPT7_lllS5_lllPT8_llli.has_recursion, 0
	.set _ZL30rocblas_trmm_outofplace_kernelIfLi32ELi2ELb1ELb0ELb1ELb0EPKfS0_fEv17rocblas_diagonal_iiT6_lPT7_lllS5_lllPT8_llli.has_indirect_call, 0
	.section	.AMDGPU.csdata,"",@progbits
; Kernel info:
; codeLenInByte = 2936
; TotalNumSgprs: 59
; NumVgprs: 92
; NumAgprs: 0
; TotalNumVgprs: 92
; ScratchSize: 0
; MemoryBound: 0
; FloatMode: 240
; IeeeMode: 1
; LDSByteSize: 8192 bytes/workgroup (compile time only)
; SGPRBlocks: 7
; VGPRBlocks: 11
; NumSGPRsForWavesPerEU: 59
; NumVGPRsForWavesPerEU: 92
; AccumOffset: 92
; Occupancy: 5
; WaveLimiterHint : 0
; COMPUTE_PGM_RSRC2:SCRATCH_EN: 0
; COMPUTE_PGM_RSRC2:USER_SGPR: 2
; COMPUTE_PGM_RSRC2:TRAP_HANDLER: 0
; COMPUTE_PGM_RSRC2:TGID_X_EN: 1
; COMPUTE_PGM_RSRC2:TGID_Y_EN: 1
; COMPUTE_PGM_RSRC2:TGID_Z_EN: 1
; COMPUTE_PGM_RSRC2:TIDIG_COMP_CNT: 1
; COMPUTE_PGM_RSRC3_GFX90A:ACCUM_OFFSET: 22
; COMPUTE_PGM_RSRC3_GFX90A:TG_SPLIT: 0
	.section	.text._ZL30rocblas_trmm_outofplace_kernelIfLi32ELi2ELb1ELb0ELb1ELb0EfKffEv17rocblas_diagonal_iiT6_lPT7_lllS4_lllPT8_llli,"axG",@progbits,_ZL30rocblas_trmm_outofplace_kernelIfLi32ELi2ELb1ELb0ELb1ELb0EfKffEv17rocblas_diagonal_iiT6_lPT7_lllS4_lllPT8_llli,comdat
	.globl	_ZL30rocblas_trmm_outofplace_kernelIfLi32ELi2ELb1ELb0ELb1ELb0EfKffEv17rocblas_diagonal_iiT6_lPT7_lllS4_lllPT8_llli ; -- Begin function _ZL30rocblas_trmm_outofplace_kernelIfLi32ELi2ELb1ELb0ELb1ELb0EfKffEv17rocblas_diagonal_iiT6_lPT7_lllS4_lllPT8_llli
	.p2align	8
	.type	_ZL30rocblas_trmm_outofplace_kernelIfLi32ELi2ELb1ELb0ELb1ELb0EfKffEv17rocblas_diagonal_iiT6_lPT7_lllS4_lllPT8_llli,@function
_ZL30rocblas_trmm_outofplace_kernelIfLi32ELi2ELb1ELb0ELb1ELb0EfKffEv17rocblas_diagonal_iiT6_lPT7_lllS4_lllPT8_llli: ; @_ZL30rocblas_trmm_outofplace_kernelIfLi32ELi2ELb1ELb0ELb1ELb0EfKffEv17rocblas_diagonal_iiT6_lPT7_lllS4_lllPT8_llli
; %bb.0:
	s_load_dwordx4 s[24:27], s[0:1], 0x0
	s_waitcnt lgkmcnt(0)
	v_cmp_eq_f32_e64 s[6:7], s27, 0
	s_and_b64 vcc, exec, s[6:7]
	s_cbranch_vccnz .LBB5_51
; %bb.1:
	s_add_i32 s5, s26, -1
	s_ashr_i32 s6, s5, 31
	s_lshr_b32 s6, s6, 27
	s_add_i32 s5, s5, s6
	s_ashr_i32 s33, s5, 5
	s_cmp_gt_i32 s3, s33
	s_cbranch_scc1 .LBB5_51
; %bb.2:
	s_load_dwordx16 s[36:51], s[0:1], 0x18
	s_load_dwordx8 s[16:23], s[0:1], 0x58
	v_bfe_u32 v46, v0, 10, 10
	v_and_b32_e32 v4, 0x3ff, v0
	s_load_dword s54, s[0:1], 0x84
	s_waitcnt lgkmcnt(0)
	s_mul_i32 s5, s43, s4
	s_mul_hi_u32 s7, s42, s4
	s_mul_i32 s6, s42, s4
	s_add_i32 s7, s7, s5
	s_lshl_b64 s[8:9], s[6:7], 2
	s_add_u32 s5, s36, s8
	s_addc_u32 s7, s37, s9
	s_lshl_b64 s[10:11], s[38:39], 2
	s_add_u32 s6, s5, s10
	s_mul_i32 s5, s23, s4
	s_mul_hi_u32 s12, s22, s4
	s_addc_u32 s7, s7, s11
	s_add_i32 s13, s12, s5
	s_mul_i32 s12, s22, s4
	s_lshl_b64 s[12:13], s[12:13], 2
	s_add_u32 s5, s16, s12
	s_addc_u32 s14, s17, s13
	s_lshl_b64 s[12:13], s[18:19], 2
	s_add_u32 s22, s5, s12
	s_addc_u32 s23, s14, s13
	s_lshl_b32 s2, s2, 5
	v_add_u32_e32 v12, s2, v46
	v_add_u32_e32 v14, s2, v4
	s_sub_i32 s2, s25, s2
	v_mad_u64_u32 v[0:1], s[12:13], s40, v14, 0
	s_cmp_gt_i32 s2, 0
	s_cselect_b64 s[12:13], -1, 0
	s_cmpk_eq_i32 s24, 0x84
	s_cselect_b64 s[28:29], -1, 0
	s_ashr_i32 s31, s25, 31
	s_ashr_i32 s52, s26, 31
	s_add_u32 s34, s25, -16
	s_mul_i32 s5, s51, s4
	s_mul_hi_u32 s14, s50, s4
	v_ashrrev_i32_e32 v15, 31, v14
	s_addc_u32 s35, s31, -1
	s_add_i32 s5, s14, s5
	s_mul_i32 s4, s50, s4
	v_mul_lo_u32 v2, s40, v15
	v_mul_lo_u32 v3, s41, v14
	s_lshl_b64 s[4:5], s[4:5], 2
	s_lshl_b64 s[14:15], s[46:47], 2
	v_ashrrev_i32_e32 v13, 31, v12
	v_add3_u32 v1, v1, v2, v3
	s_add_u32 s4, s4, s14
	v_lshl_add_u64 v[0:1], v[0:1], 2, s[6:7]
	v_lshlrev_b64 v[2:3], 2, v[12:13]
	s_addc_u32 s5, s5, s15
	v_lshl_add_u64 v[16:17], v[0:1], 0, v[2:3]
	v_lshlrev_b32_e32 v0, 7, v46
	v_lshlrev_b32_e32 v47, 2, v4
	v_add_u32_e32 v20, 16, v14
	s_add_u32 s4, s44, s4
	s_mov_b32 s30, s25
	v_add_u32_e32 v48, v47, v0
	v_add_u32_e32 v49, 0x1000, v0
	v_cmp_le_i32_e64 s[0:1], s25, v14
	v_cmp_gt_i32_e64 s[18:19], s25, v14
	v_cmp_gt_i32_e64 s[6:7], s25, v20
	v_lshlrev_b64 v[0:1], 2, v[14:15]
	s_addc_u32 s5, s45, s5
	s_lshl_b64 s[24:25], s[48:49], 2
	s_lshl_b32 s44, s54, 5
	v_lshl_add_u64 v[28:29], s[4:5], 0, v[0:1]
	s_add_u32 s4, s10, s8
	s_addc_u32 s5, s11, s9
	v_lshl_add_u64 v[0:1], v[0:1], 0, 64
	v_mov_b64_e32 v[4:5], s[4:5]
	v_mul_lo_u32 v6, s40, v1
	v_mul_lo_u32 v7, s41, v0
	v_mad_u64_u32 v[0:1], s[4:5], s40, v0, v[4:5]
	v_add3_u32 v1, v7, v1, v6
	v_sub_co_u32_e32 v22, vcc, v14, v12
	v_lshl_add_u64 v[0:1], v[0:1], 0, v[2:3]
	v_lshl_add_u64 v[18:19], v[14:15], 0, 16
	v_subb_co_u32_e32 v23, vcc, v15, v13, vcc
	v_lshl_add_u64 v[34:35], s[36:37], 0, v[0:1]
	v_cndmask_b32_e64 v0, 0, 1, s[12:13]
	s_mov_b32 s53, s26
	v_add_u32_e32 v50, v49, v47
	v_cmp_le_i64_e64 s[16:17], s[30:31], v[18:19]
	v_ashrrev_i32_e32 v21, 31, v20
	v_lshl_add_u64 v[24:25], v[22:23], 0, 16
	v_lshl_add_u64 v[26:27], v[22:23], 0, -16
	v_lshl_add_u64 v[30:31], v[28:29], 0, 64
	v_lshl_add_u32 v32, s3, 5, v46
	v_mov_b32_e32 v51, 0
	v_mov_b32_e32 v52, 1.0
	v_cmp_ne_u32_e64 s[8:9], 1, v0
	v_add_u32_e32 v53, 0x400, v47
	v_add_u32_e32 v54, 0x800, v47
	;; [unrolled: 1-line block ×3, first 2 shown]
	s_branch .LBB5_4
.LBB5_3:                                ;   in Loop: Header=BB5_4 Depth=1
	s_or_b64 exec, exec, s[4:5]
	s_add_i32 s3, s54, s3
	s_cmp_le_i32 s3, s33
	v_add_u32_e32 v32, s44, v32
	s_cbranch_scc0 .LBB5_51
.LBB5_4:                                ; =>This Loop Header: Depth=1
                                        ;     Child Loop BB5_7 Depth 2
	v_lshl_add_u32 v36, s3, 5, v46
	v_ashrrev_i32_e32 v37, 31, v36
	s_and_b64 vcc, exec, s[8:9]
	v_mov_b32_e32 v45, 0
	v_mov_b32_e32 v44, 0
	;; [unrolled: 1-line block ×4, first 2 shown]
	s_cbranch_vccnz .LBB5_43
; %bb.5:                                ;   in Loop: Header=BB5_4 Depth=1
	v_ashrrev_i32_e32 v33, 31, v32
	v_mad_u64_u32 v[38:39], s[4:5], s24, v32, v[30:31]
	v_mul_lo_u32 v0, s25, v32
	v_mul_lo_u32 v1, s24, v33
	v_add3_u32 v39, v0, v39, v1
	v_lshl_add_u64 v[0:1], v[32:33], 2, 64
	v_mul_lo_u32 v1, s48, v1
	v_mul_lo_u32 v2, s49, v0
	v_mad_u64_u32 v[40:41], s[4:5], s48, v0, v[28:29]
	v_add3_u32 v41, v2, v41, v1
	v_mov_b32_e32 v1, s52
	v_sub_co_u32_e32 v0, vcc, s53, v36
	v_mov_b32_e32 v42, 0
	s_nop 0
	v_subb_co_u32_e32 v1, vcc, v1, v37, vcc
	s_mov_b64 s[36:37], 0
	v_cmp_lt_i64_e32 vcc, 0, v[0:1]
	v_cmp_lt_i64_e64 s[10:11], 16, v[0:1]
	s_mov_b64 s[38:39], 0
	v_mov_b32_e32 v43, v42
	v_mov_b32_e32 v44, v42
	;; [unrolled: 1-line block ×3, first 2 shown]
	s_branch .LBB5_7
.LBB5_6:                                ;   in Loop: Header=BB5_7 Depth=2
	s_or_b64 exec, exec, s[4:5]
	s_waitcnt lgkmcnt(0)
	s_barrier
	ds_read_b128 v[56:59], v49
	ds_read_b128 v[60:63], v49 offset:16
	ds_read_b128 v[4:7], v49 offset:32
	;; [unrolled: 1-line block ×3, first 2 shown]
	ds_read2_b32 v[72:73], v47 offset1:16
	ds_read2_b32 v[74:75], v47 offset0:32 offset1:48
	ds_read2_b32 v[76:77], v47 offset0:64 offset1:80
	;; [unrolled: 1-line block ×4, first 2 shown]
	ds_read_b128 v[64:67], v49 offset:2048
	ds_read_b128 v[68:71], v49 offset:2064
	ds_read2_b32 v[82:83], v47 offset0:160 offset1:176
	ds_read2_b32 v[84:85], v47 offset0:192 offset1:208
	;; [unrolled: 1-line block ×3, first 2 shown]
	ds_read2_b32 v[88:89], v53 offset1:16
	ds_read_b128 v[8:11], v49 offset:2080
	ds_read2_b32 v[90:91], v53 offset0:32 offset1:48
	s_waitcnt lgkmcnt(12)
	v_pk_fma_f32 v[44:45], v[72:73], v[56:57], v[44:45] op_sel_hi:[1,0,1]
	s_waitcnt lgkmcnt(7)
	v_pk_fma_f32 v[42:43], v[72:73], v[64:65], v[42:43] op_sel_hi:[1,0,1]
	v_pk_fma_f32 v[44:45], v[74:75], v[56:57], v[44:45] op_sel:[0,1,0]
	v_mov_b32_e32 v56, v59
	v_pk_fma_f32 v[44:45], v[76:77], v[58:59], v[44:45] op_sel_hi:[1,0,1]
	v_pk_fma_f32 v[42:43], v[74:75], v[64:65], v[42:43] op_sel:[0,1,0]
	v_pk_fma_f32 v[44:45], v[78:79], v[56:57], v[44:45] op_sel_hi:[1,0,1]
	v_mov_b32_e32 v56, v63
	v_pk_fma_f32 v[44:45], v[80:81], v[60:61], v[44:45] op_sel_hi:[1,0,1]
	v_pk_fma_f32 v[42:43], v[76:77], v[66:67], v[42:43] op_sel_hi:[1,0,1]
	s_waitcnt lgkmcnt(5)
	v_pk_fma_f32 v[44:45], v[82:83], v[60:61], v[44:45] op_sel:[0,1,0]
	s_add_u32 s38, s38, 32
	s_waitcnt lgkmcnt(4)
	v_pk_fma_f32 v[44:45], v[84:85], v[62:63], v[44:45] op_sel_hi:[1,0,1]
	s_addc_u32 s39, s39, 0
	s_waitcnt lgkmcnt(3)
	v_pk_fma_f32 v[44:45], v[86:87], v[56:57], v[44:45] op_sel_hi:[1,0,1]
	s_add_u32 s36, s36, 0x80
	s_waitcnt lgkmcnt(2)
	v_pk_fma_f32 v[44:45], v[88:89], v[4:5], v[44:45] op_sel_hi:[1,0,1]
	s_addc_u32 s37, s37, 0
	s_waitcnt lgkmcnt(0)
	v_pk_fma_f32 v[4:5], v[90:91], v[4:5], v[44:45] op_sel:[0,1,0]
	v_mov_b32_e32 v44, v67
	v_pk_fma_f32 v[42:43], v[78:79], v[44:45], v[42:43] op_sel_hi:[1,0,1]
	v_mov_b32_e32 v44, v71
	v_pk_fma_f32 v[42:43], v[80:81], v[68:69], v[42:43] op_sel_hi:[1,0,1]
	s_cmp_ge_i32 s38, s2
	v_pk_fma_f32 v[42:43], v[82:83], v[68:69], v[42:43] op_sel:[0,1,0]
	s_nop 0
	v_pk_fma_f32 v[42:43], v[84:85], v[70:71], v[42:43] op_sel_hi:[1,0,1]
	s_nop 0
	v_pk_fma_f32 v[56:57], v[86:87], v[44:45], v[42:43] op_sel_hi:[1,0,1]
	ds_read_b128 v[42:45], v49 offset:2096
	v_pk_fma_f32 v[56:57], v[88:89], v[8:9], v[56:57] op_sel_hi:[1,0,1]
	s_nop 0
	v_pk_fma_f32 v[8:9], v[90:91], v[8:9], v[56:57] op_sel:[0,1,0]
	ds_read2_b32 v[64:65], v53 offset0:64 offset1:80
	ds_read2_b32 v[66:67], v53 offset0:96 offset1:112
	;; [unrolled: 1-line block ×6, first 2 shown]
	ds_read2_b32 v[76:77], v54 offset1:16
	ds_read2_b32 v[78:79], v54 offset0:32 offset1:48
	ds_read2_b32 v[80:81], v54 offset0:64 offset1:80
	;; [unrolled: 1-line block ×3, first 2 shown]
	ds_read_b128 v[56:59], v49 offset:64
	ds_read_b128 v[60:63], v49 offset:80
	ds_read2_b32 v[84:85], v54 offset0:128 offset1:144
	s_waitcnt lgkmcnt(12)
	v_pk_fma_f32 v[4:5], v[64:65], v[6:7], v[4:5] op_sel_hi:[1,0,1]
	v_mov_b32_e32 v6, v7
	s_waitcnt lgkmcnt(11)
	v_pk_fma_f32 v[4:5], v[66:67], v[6:7], v[4:5] op_sel_hi:[1,0,1]
	v_pk_fma_f32 v[8:9], v[64:65], v[10:11], v[8:9] op_sel_hi:[1,0,1]
	s_waitcnt lgkmcnt(10)
	v_pk_fma_f32 v[4:5], v[68:69], v[0:1], v[4:5] op_sel_hi:[1,0,1]
	v_mov_b32_e32 v10, v11
	s_waitcnt lgkmcnt(9)
	v_pk_fma_f32 v[0:1], v[70:71], v[0:1], v[4:5] op_sel:[0,1,0]
	v_pk_fma_f32 v[8:9], v[66:67], v[10:11], v[8:9] op_sel_hi:[1,0,1]
	s_waitcnt lgkmcnt(8)
	v_pk_fma_f32 v[0:1], v[72:73], v[2:3], v[0:1] op_sel_hi:[1,0,1]
	v_mov_b32_e32 v2, v3
	s_waitcnt lgkmcnt(7)
	v_pk_fma_f32 v[0:1], v[74:75], v[2:3], v[0:1] op_sel_hi:[1,0,1]
	s_waitcnt lgkmcnt(2)
	v_mov_b32_e32 v2, v59
	v_pk_fma_f32 v[0:1], v[76:77], v[56:57], v[0:1] op_sel_hi:[1,0,1]
	v_pk_fma_f32 v[8:9], v[68:69], v[42:43], v[8:9] op_sel_hi:[1,0,1]
	v_pk_fma_f32 v[0:1], v[78:79], v[56:57], v[0:1] op_sel:[0,1,0]
	v_pk_fma_f32 v[8:9], v[70:71], v[42:43], v[8:9] op_sel:[0,1,0]
	v_pk_fma_f32 v[0:1], v[80:81], v[58:59], v[0:1] op_sel_hi:[1,0,1]
	v_pk_fma_f32 v[8:9], v[72:73], v[44:45], v[8:9] op_sel_hi:[1,0,1]
	v_pk_fma_f32 v[0:1], v[82:83], v[2:3], v[0:1] op_sel_hi:[1,0,1]
	v_mov_b32_e32 v10, v45
	s_waitcnt lgkmcnt(0)
	v_pk_fma_f32 v[86:87], v[84:85], v[60:61], v[0:1] op_sel_hi:[1,0,1]
	ds_read_b128 v[0:3], v49 offset:2112
	ds_read_b128 v[4:7], v49 offset:2128
	v_pk_fma_f32 v[8:9], v[74:75], v[10:11], v[8:9] op_sel_hi:[1,0,1]
	s_waitcnt lgkmcnt(1)
	v_pk_fma_f32 v[8:9], v[76:77], v[0:1], v[8:9] op_sel_hi:[1,0,1]
	s_nop 0
	v_pk_fma_f32 v[0:1], v[78:79], v[0:1], v[8:9] op_sel:[0,1,0]
	s_nop 0
	v_pk_fma_f32 v[0:1], v[80:81], v[2:3], v[0:1] op_sel_hi:[1,0,1]
	v_mov_b32_e32 v2, v3
	v_pk_fma_f32 v[0:1], v[82:83], v[2:3], v[0:1] op_sel_hi:[1,0,1]
	s_waitcnt lgkmcnt(0)
	v_pk_fma_f32 v[42:43], v[84:85], v[4:5], v[0:1] op_sel_hi:[1,0,1]
	ds_read2_b32 v[68:69], v54 offset0:160 offset1:176
	ds_read2_b32 v[70:71], v54 offset0:192 offset1:208
	;; [unrolled: 1-line block ×3, first 2 shown]
	ds_read2_b32 v[74:75], v55 offset1:16
	ds_read2_b32 v[76:77], v55 offset0:32 offset1:48
	ds_read2_b32 v[78:79], v55 offset0:64 offset1:80
	ds_read2_b32 v[80:81], v55 offset0:96 offset1:112
	ds_read_b128 v[0:3], v49 offset:96
	ds_read_b128 v[8:11], v49 offset:112
	ds_read2_b32 v[82:83], v55 offset0:128 offset1:144
	ds_read_b128 v[56:59], v49 offset:2144
	ds_read_b128 v[64:67], v49 offset:2160
	ds_read2_b32 v[84:85], v55 offset0:160 offset1:176
	ds_read2_b32 v[88:89], v55 offset0:192 offset1:208
	;; [unrolled: 1-line block ×3, first 2 shown]
	s_waitcnt lgkmcnt(14)
	v_pk_fma_f32 v[44:45], v[68:69], v[60:61], v[86:87] op_sel:[0,1,0]
	v_mov_b32_e32 v60, v63
	s_waitcnt lgkmcnt(13)
	v_pk_fma_f32 v[44:45], v[70:71], v[62:63], v[44:45] op_sel_hi:[1,0,1]
	s_waitcnt lgkmcnt(0)
	v_pk_fma_f32 v[44:45], v[72:73], v[60:61], v[44:45] op_sel_hi:[1,0,1]
	s_barrier
	v_pk_fma_f32 v[44:45], v[74:75], v[0:1], v[44:45] op_sel_hi:[1,0,1]
	s_nop 0
	v_pk_fma_f32 v[0:1], v[76:77], v[0:1], v[44:45] op_sel:[0,1,0]
	s_nop 0
	v_pk_fma_f32 v[0:1], v[78:79], v[2:3], v[0:1] op_sel_hi:[1,0,1]
	v_mov_b32_e32 v2, v3
	v_pk_fma_f32 v[0:1], v[80:81], v[2:3], v[0:1] op_sel_hi:[1,0,1]
	v_mov_b32_e32 v2, v11
	v_pk_fma_f32 v[0:1], v[82:83], v[8:9], v[0:1] op_sel_hi:[1,0,1]
	s_nop 0
	v_pk_fma_f32 v[0:1], v[84:85], v[8:9], v[0:1] op_sel:[0,1,0]
	s_nop 0
	v_pk_fma_f32 v[0:1], v[88:89], v[10:11], v[0:1] op_sel_hi:[1,0,1]
	s_nop 0
	v_pk_fma_f32 v[44:45], v[90:91], v[2:3], v[0:1] op_sel_hi:[1,0,1]
	v_pk_fma_f32 v[0:1], v[68:69], v[4:5], v[42:43] op_sel:[0,1,0]
	v_mov_b32_e32 v2, v7
	v_pk_fma_f32 v[0:1], v[70:71], v[6:7], v[0:1] op_sel_hi:[1,0,1]
	s_nop 0
	v_pk_fma_f32 v[0:1], v[72:73], v[2:3], v[0:1] op_sel_hi:[1,0,1]
	v_mov_b32_e32 v2, v59
	v_pk_fma_f32 v[0:1], v[74:75], v[56:57], v[0:1] op_sel_hi:[1,0,1]
	s_nop 0
	v_pk_fma_f32 v[0:1], v[76:77], v[56:57], v[0:1] op_sel:[0,1,0]
	s_nop 0
	v_pk_fma_f32 v[0:1], v[78:79], v[58:59], v[0:1] op_sel_hi:[1,0,1]
	s_nop 0
	v_pk_fma_f32 v[0:1], v[80:81], v[2:3], v[0:1] op_sel_hi:[1,0,1]
	v_mov_b32_e32 v2, v67
	v_pk_fma_f32 v[0:1], v[82:83], v[64:65], v[0:1] op_sel_hi:[1,0,1]
	s_nop 0
	v_pk_fma_f32 v[0:1], v[84:85], v[64:65], v[0:1] op_sel:[0,1,0]
	s_nop 0
	v_pk_fma_f32 v[0:1], v[88:89], v[66:67], v[0:1] op_sel_hi:[1,0,1]
	s_nop 0
	v_pk_fma_f32 v[42:43], v[90:91], v[2:3], v[0:1] op_sel_hi:[1,0,1]
	s_cbranch_scc1 .LBB5_43
.LBB5_7:                                ;   Parent Loop BB5_4 Depth=1
                                        ; =>  This Inner Loop Header: Depth=2
	v_lshl_add_u64 v[4:5], v[12:13], 0, s[38:39]
	v_cmp_le_i64_e64 s[14:15], s[30:31], v[4:5]
	v_cmp_eq_u64_e64 s[4:5], s[38:39], v[22:23]
	v_cmp_lt_i64_e64 s[12:13], v[4:5], v[14:15]
	s_and_b64 s[40:41], s[28:29], s[4:5]
	s_or_b64 s[4:5], s[14:15], s[12:13]
	s_or_b64 s[4:5], s[4:5], s[40:41]
	v_lshl_add_u64 v[0:1], v[16:17], 0, s[36:37]
	s_nor_b64 s[4:5], s[0:1], s[4:5]
                                        ; implicit-def: $vgpr2
	s_and_saveexec_b64 s[42:43], s[4:5]
	s_xor_b64 s[4:5], exec, s[42:43]
	s_cbranch_execz .LBB5_9
; %bb.8:                                ;   in Loop: Header=BB5_7 Depth=2
	global_load_dword v2, v[0:1], off
.LBB5_9:                                ;   in Loop: Header=BB5_7 Depth=2
	s_andn2_saveexec_b64 s[4:5], s[4:5]
	s_cbranch_execz .LBB5_11
; %bb.10:                               ;   in Loop: Header=BB5_7 Depth=2
	s_waitcnt vmcnt(0)
	v_cndmask_b32_e64 v2, 0, 1.0, s[40:41]
.LBB5_11:                               ;   in Loop: Header=BB5_7 Depth=2
	s_or_b64 exec, exec, s[4:5]
	v_cmp_eq_u64_e64 s[4:5], s[38:39], v[24:25]
	s_and_b64 s[42:43], s[28:29], s[4:5]
	v_cmp_gt_i64_e64 s[4:5], v[18:19], v[4:5]
	s_or_b64 s[4:5], s[14:15], s[4:5]
	s_or_b64 s[4:5], s[4:5], s[42:43]
	s_waitcnt vmcnt(0)
	ds_write_b32 v48, v2
	s_nor_b64 s[4:5], s[16:17], s[4:5]
	v_lshl_add_u64 v[2:3], v[34:35], 0, s[36:37]
	s_and_saveexec_b64 s[14:15], s[4:5]
	s_xor_b64 s[4:5], exec, s[14:15]
	s_cbranch_execz .LBB5_13
; %bb.12:                               ;   in Loop: Header=BB5_7 Depth=2
	global_load_dword v6, v[2:3], off
	s_waitcnt vmcnt(0)
	ds_write_b32 v48, v6 offset:64
.LBB5_13:                               ;   in Loop: Header=BB5_7 Depth=2
	s_andn2_saveexec_b64 s[4:5], s[4:5]
	s_cbranch_execz .LBB5_19
; %bb.14:                               ;   in Loop: Header=BB5_7 Depth=2
	s_xor_b64 s[14:15], s[42:43], -1
	s_and_saveexec_b64 s[42:43], s[14:15]
	s_xor_b64 s[14:15], exec, s[42:43]
; %bb.15:                               ;   in Loop: Header=BB5_7 Depth=2
	ds_write_b32 v48, v51 offset:64
; %bb.16:                               ;   in Loop: Header=BB5_7 Depth=2
	s_andn2_saveexec_b64 s[14:15], s[14:15]
; %bb.17:                               ;   in Loop: Header=BB5_7 Depth=2
	ds_write_b32 v48, v52 offset:64
; %bb.18:                               ;   in Loop: Header=BB5_7 Depth=2
	s_or_b64 exec, exec, s[14:15]
.LBB5_19:                               ;   in Loop: Header=BB5_7 Depth=2
	s_or_b64 exec, exec, s[4:5]
	v_lshl_add_u64 v[4:5], v[4:5], 0, 16
	v_cmp_eq_u64_e64 s[4:5], s[38:39], v[26:27]
	v_cmp_le_i64_e64 s[14:15], s[30:31], v[4:5]
	s_and_b64 s[42:43], s[28:29], s[4:5]
	v_cmp_lt_i64_e64 s[4:5], v[4:5], v[14:15]
	s_or_b64 s[4:5], s[14:15], s[4:5]
	s_or_b64 s[4:5], s[4:5], s[42:43]
	s_nor_b64 s[4:5], s[0:1], s[4:5]
                                        ; implicit-def: $vgpr4
	s_and_saveexec_b64 s[46:47], s[4:5]
	s_xor_b64 s[4:5], exec, s[46:47]
	s_cbranch_execz .LBB5_21
; %bb.20:                               ;   in Loop: Header=BB5_7 Depth=2
	global_load_dword v4, v[0:1], off offset:64
.LBB5_21:                               ;   in Loop: Header=BB5_7 Depth=2
	s_andn2_saveexec_b64 s[4:5], s[4:5]
	s_cbranch_execz .LBB5_23
; %bb.22:                               ;   in Loop: Header=BB5_7 Depth=2
	s_waitcnt vmcnt(0)
	v_cndmask_b32_e64 v4, 0, 1.0, s[42:43]
.LBB5_23:                               ;   in Loop: Header=BB5_7 Depth=2
	s_or_b64 exec, exec, s[4:5]
	s_or_b64 s[4:5], s[14:15], s[12:13]
	s_or_b64 s[4:5], s[4:5], s[40:41]
	s_nor_b64 s[4:5], s[16:17], s[4:5]
	s_waitcnt vmcnt(0)
	ds_write_b32 v48, v4 offset:2048
	s_and_saveexec_b64 s[12:13], s[4:5]
	s_xor_b64 s[4:5], exec, s[12:13]
	s_cbranch_execz .LBB5_25
; %bb.24:                               ;   in Loop: Header=BB5_7 Depth=2
	global_load_dword v0, v[2:3], off offset:64
	s_waitcnt vmcnt(0)
	ds_write_b32 v48, v0 offset:2112
.LBB5_25:                               ;   in Loop: Header=BB5_7 Depth=2
	s_andn2_saveexec_b64 s[4:5], s[4:5]
	s_cbranch_execz .LBB5_31
; %bb.26:                               ;   in Loop: Header=BB5_7 Depth=2
	s_xor_b64 s[12:13], s[40:41], -1
	s_and_saveexec_b64 s[14:15], s[12:13]
	s_xor_b64 s[12:13], exec, s[14:15]
; %bb.27:                               ;   in Loop: Header=BB5_7 Depth=2
	ds_write_b32 v48, v51 offset:2112
; %bb.28:                               ;   in Loop: Header=BB5_7 Depth=2
	s_andn2_saveexec_b64 s[12:13], s[12:13]
; %bb.29:                               ;   in Loop: Header=BB5_7 Depth=2
	ds_write_b32 v48, v52 offset:2112
; %bb.30:                               ;   in Loop: Header=BB5_7 Depth=2
	s_or_b64 exec, exec, s[12:13]
.LBB5_31:                               ;   in Loop: Header=BB5_7 Depth=2
	s_or_b64 exec, exec, s[4:5]
	v_lshl_add_u64 v[2:3], v[14:15], 0, s[38:39]
	v_cmp_gt_i64_e64 s[12:13], s[30:31], v[2:3]
	v_lshl_add_u64 v[0:1], v[38:39], 0, s[36:37]
	s_and_b64 s[14:15], vcc, s[12:13]
	v_mov_b32_e32 v4, 0
	s_and_saveexec_b64 s[4:5], s[14:15]
	s_cbranch_execz .LBB5_33
; %bb.32:                               ;   in Loop: Header=BB5_7 Depth=2
	global_load_dword v4, v[0:1], off offset:-64
.LBB5_33:                               ;   in Loop: Header=BB5_7 Depth=2
	s_or_b64 exec, exec, s[4:5]
	v_cmp_gt_i64_e64 s[14:15], s[34:35], v[2:3]
	s_and_b64 s[4:5], vcc, s[14:15]
	s_xor_b64 s[4:5], s[4:5], -1
	s_waitcnt vmcnt(0)
	ds_write_b32 v50, v4
	s_and_saveexec_b64 s[40:41], s[4:5]
	s_xor_b64 s[4:5], exec, s[40:41]
; %bb.34:                               ;   in Loop: Header=BB5_7 Depth=2
	ds_write_b32 v50, v51 offset:64
                                        ; implicit-def: $vgpr0_vgpr1
; %bb.35:                               ;   in Loop: Header=BB5_7 Depth=2
	s_andn2_saveexec_b64 s[4:5], s[4:5]
	s_cbranch_execz .LBB5_37
; %bb.36:                               ;   in Loop: Header=BB5_7 Depth=2
	global_load_dword v0, v[0:1], off
	s_waitcnt vmcnt(0)
	ds_write_b32 v50, v0 offset:64
.LBB5_37:                               ;   in Loop: Header=BB5_7 Depth=2
	s_or_b64 exec, exec, s[4:5]
	v_lshl_add_u64 v[0:1], v[40:41], 0, s[36:37]
	s_and_b64 s[12:13], s[10:11], s[12:13]
	v_mov_b32_e32 v2, 0
	s_and_saveexec_b64 s[4:5], s[12:13]
	s_cbranch_execz .LBB5_39
; %bb.38:                               ;   in Loop: Header=BB5_7 Depth=2
	global_load_dword v2, v[0:1], off
.LBB5_39:                               ;   in Loop: Header=BB5_7 Depth=2
	s_or_b64 exec, exec, s[4:5]
	s_and_b64 s[4:5], s[10:11], s[14:15]
	s_xor_b64 s[4:5], s[4:5], -1
	s_waitcnt vmcnt(0)
	ds_write_b32 v50, v2 offset:2048
	s_and_saveexec_b64 s[12:13], s[4:5]
	s_xor_b64 s[4:5], exec, s[12:13]
; %bb.40:                               ;   in Loop: Header=BB5_7 Depth=2
	ds_write_b32 v50, v51 offset:2112
                                        ; implicit-def: $vgpr0_vgpr1
; %bb.41:                               ;   in Loop: Header=BB5_7 Depth=2
	s_andn2_saveexec_b64 s[4:5], s[4:5]
	s_cbranch_execz .LBB5_6
; %bb.42:                               ;   in Loop: Header=BB5_7 Depth=2
	global_load_dword v0, v[0:1], off offset:64
	s_waitcnt vmcnt(0)
	ds_write_b32 v50, v0 offset:2112
	s_branch .LBB5_6
.LBB5_43:                               ;   in Loop: Header=BB5_4 Depth=1
	v_mul_lo_u32 v2, s21, v36
	v_mul_lo_u32 v3, s20, v37
	v_mad_u64_u32 v[0:1], s[4:5], s20, v36, 0
	v_cmp_gt_i32_e32 vcc, s26, v36
	v_add3_u32 v1, v1, v3, v2
	v_lshl_add_u64 v[0:1], v[0:1], 2, s[22:23]
	s_and_b64 s[10:11], s[18:19], vcc
	s_and_saveexec_b64 s[4:5], s[10:11]
	s_cbranch_execz .LBB5_45
; %bb.44:                               ;   in Loop: Header=BB5_4 Depth=1
	v_lshl_add_u64 v[2:3], v[14:15], 2, v[0:1]
	global_load_dword v4, v[2:3], off
	s_waitcnt vmcnt(0)
	v_fmac_f32_e32 v4, s27, v44
	global_store_dword v[2:3], v4, off
.LBB5_45:                               ;   in Loop: Header=BB5_4 Depth=1
	s_or_b64 exec, exec, s[4:5]
	s_and_b64 s[10:11], s[6:7], vcc
	s_and_saveexec_b64 s[4:5], s[10:11]
	s_cbranch_execz .LBB5_47
; %bb.46:                               ;   in Loop: Header=BB5_4 Depth=1
	v_lshl_add_u64 v[0:1], v[20:21], 2, v[0:1]
	global_load_dword v2, v[0:1], off
	s_waitcnt vmcnt(0)
	v_fmac_f32_e32 v2, s27, v45
	global_store_dword v[0:1], v2, off
.LBB5_47:                               ;   in Loop: Header=BB5_4 Depth=1
	s_or_b64 exec, exec, s[4:5]
	v_add_u32_e32 v0, 16, v36
	v_ashrrev_i32_e32 v1, 31, v0
	v_cmp_gt_i32_e32 vcc, s26, v0
	v_mul_lo_u32 v2, s20, v1
	v_mul_lo_u32 v3, s21, v0
	v_mad_u64_u32 v[0:1], s[4:5], s20, v0, 0
	v_add3_u32 v1, v1, v2, v3
	v_lshl_add_u64 v[0:1], v[0:1], 2, s[22:23]
	s_and_b64 s[10:11], s[18:19], vcc
	s_and_saveexec_b64 s[4:5], s[10:11]
	s_cbranch_execz .LBB5_49
; %bb.48:                               ;   in Loop: Header=BB5_4 Depth=1
	v_lshl_add_u64 v[2:3], v[14:15], 2, v[0:1]
	global_load_dword v4, v[2:3], off
	s_waitcnt vmcnt(0)
	v_fmac_f32_e32 v4, s27, v42
	global_store_dword v[2:3], v4, off
.LBB5_49:                               ;   in Loop: Header=BB5_4 Depth=1
	s_or_b64 exec, exec, s[4:5]
	s_and_b64 s[10:11], s[6:7], vcc
	s_and_saveexec_b64 s[4:5], s[10:11]
	s_cbranch_execz .LBB5_3
; %bb.50:                               ;   in Loop: Header=BB5_4 Depth=1
	v_lshl_add_u64 v[0:1], v[20:21], 2, v[0:1]
	global_load_dword v2, v[0:1], off
	s_waitcnt vmcnt(0)
	v_fmac_f32_e32 v2, s27, v43
	global_store_dword v[0:1], v2, off
	s_branch .LBB5_3
.LBB5_51:
	s_endpgm
	.section	.rodata,"a",@progbits
	.p2align	6, 0x0
	.amdhsa_kernel _ZL30rocblas_trmm_outofplace_kernelIfLi32ELi2ELb1ELb0ELb1ELb0EfKffEv17rocblas_diagonal_iiT6_lPT7_lllS4_lllPT8_llli
		.amdhsa_group_segment_fixed_size 8192
		.amdhsa_private_segment_fixed_size 0
		.amdhsa_kernarg_size 384
		.amdhsa_user_sgpr_count 2
		.amdhsa_user_sgpr_dispatch_ptr 0
		.amdhsa_user_sgpr_queue_ptr 0
		.amdhsa_user_sgpr_kernarg_segment_ptr 1
		.amdhsa_user_sgpr_dispatch_id 0
		.amdhsa_user_sgpr_kernarg_preload_length 0
		.amdhsa_user_sgpr_kernarg_preload_offset 0
		.amdhsa_user_sgpr_private_segment_size 0
		.amdhsa_uses_dynamic_stack 0
		.amdhsa_enable_private_segment 0
		.amdhsa_system_sgpr_workgroup_id_x 1
		.amdhsa_system_sgpr_workgroup_id_y 1
		.amdhsa_system_sgpr_workgroup_id_z 1
		.amdhsa_system_sgpr_workgroup_info 0
		.amdhsa_system_vgpr_workitem_id 1
		.amdhsa_next_free_vgpr 92
		.amdhsa_next_free_sgpr 55
		.amdhsa_accum_offset 92
		.amdhsa_reserve_vcc 1
		.amdhsa_float_round_mode_32 0
		.amdhsa_float_round_mode_16_64 0
		.amdhsa_float_denorm_mode_32 3
		.amdhsa_float_denorm_mode_16_64 3
		.amdhsa_dx10_clamp 1
		.amdhsa_ieee_mode 1
		.amdhsa_fp16_overflow 0
		.amdhsa_tg_split 0
		.amdhsa_exception_fp_ieee_invalid_op 0
		.amdhsa_exception_fp_denorm_src 0
		.amdhsa_exception_fp_ieee_div_zero 0
		.amdhsa_exception_fp_ieee_overflow 0
		.amdhsa_exception_fp_ieee_underflow 0
		.amdhsa_exception_fp_ieee_inexact 0
		.amdhsa_exception_int_div_zero 0
	.end_amdhsa_kernel
	.section	.text._ZL30rocblas_trmm_outofplace_kernelIfLi32ELi2ELb1ELb0ELb1ELb0EfKffEv17rocblas_diagonal_iiT6_lPT7_lllS4_lllPT8_llli,"axG",@progbits,_ZL30rocblas_trmm_outofplace_kernelIfLi32ELi2ELb1ELb0ELb1ELb0EfKffEv17rocblas_diagonal_iiT6_lPT7_lllS4_lllPT8_llli,comdat
.Lfunc_end5:
	.size	_ZL30rocblas_trmm_outofplace_kernelIfLi32ELi2ELb1ELb0ELb1ELb0EfKffEv17rocblas_diagonal_iiT6_lPT7_lllS4_lllPT8_llli, .Lfunc_end5-_ZL30rocblas_trmm_outofplace_kernelIfLi32ELi2ELb1ELb0ELb1ELb0EfKffEv17rocblas_diagonal_iiT6_lPT7_lllS4_lllPT8_llli
                                        ; -- End function
	.set _ZL30rocblas_trmm_outofplace_kernelIfLi32ELi2ELb1ELb0ELb1ELb0EfKffEv17rocblas_diagonal_iiT6_lPT7_lllS4_lllPT8_llli.num_vgpr, 92
	.set _ZL30rocblas_trmm_outofplace_kernelIfLi32ELi2ELb1ELb0ELb1ELb0EfKffEv17rocblas_diagonal_iiT6_lPT7_lllS4_lllPT8_llli.num_agpr, 0
	.set _ZL30rocblas_trmm_outofplace_kernelIfLi32ELi2ELb1ELb0ELb1ELb0EfKffEv17rocblas_diagonal_iiT6_lPT7_lllS4_lllPT8_llli.numbered_sgpr, 55
	.set _ZL30rocblas_trmm_outofplace_kernelIfLi32ELi2ELb1ELb0ELb1ELb0EfKffEv17rocblas_diagonal_iiT6_lPT7_lllS4_lllPT8_llli.num_named_barrier, 0
	.set _ZL30rocblas_trmm_outofplace_kernelIfLi32ELi2ELb1ELb0ELb1ELb0EfKffEv17rocblas_diagonal_iiT6_lPT7_lllS4_lllPT8_llli.private_seg_size, 0
	.set _ZL30rocblas_trmm_outofplace_kernelIfLi32ELi2ELb1ELb0ELb1ELb0EfKffEv17rocblas_diagonal_iiT6_lPT7_lllS4_lllPT8_llli.uses_vcc, 1
	.set _ZL30rocblas_trmm_outofplace_kernelIfLi32ELi2ELb1ELb0ELb1ELb0EfKffEv17rocblas_diagonal_iiT6_lPT7_lllS4_lllPT8_llli.uses_flat_scratch, 0
	.set _ZL30rocblas_trmm_outofplace_kernelIfLi32ELi2ELb1ELb0ELb1ELb0EfKffEv17rocblas_diagonal_iiT6_lPT7_lllS4_lllPT8_llli.has_dyn_sized_stack, 0
	.set _ZL30rocblas_trmm_outofplace_kernelIfLi32ELi2ELb1ELb0ELb1ELb0EfKffEv17rocblas_diagonal_iiT6_lPT7_lllS4_lllPT8_llli.has_recursion, 0
	.set _ZL30rocblas_trmm_outofplace_kernelIfLi32ELi2ELb1ELb0ELb1ELb0EfKffEv17rocblas_diagonal_iiT6_lPT7_lllS4_lllPT8_llli.has_indirect_call, 0
	.section	.AMDGPU.csdata,"",@progbits
; Kernel info:
; codeLenInByte = 2888
; TotalNumSgprs: 61
; NumVgprs: 92
; NumAgprs: 0
; TotalNumVgprs: 92
; ScratchSize: 0
; MemoryBound: 0
; FloatMode: 240
; IeeeMode: 1
; LDSByteSize: 8192 bytes/workgroup (compile time only)
; SGPRBlocks: 7
; VGPRBlocks: 11
; NumSGPRsForWavesPerEU: 61
; NumVGPRsForWavesPerEU: 92
; AccumOffset: 92
; Occupancy: 5
; WaveLimiterHint : 0
; COMPUTE_PGM_RSRC2:SCRATCH_EN: 0
; COMPUTE_PGM_RSRC2:USER_SGPR: 2
; COMPUTE_PGM_RSRC2:TRAP_HANDLER: 0
; COMPUTE_PGM_RSRC2:TGID_X_EN: 1
; COMPUTE_PGM_RSRC2:TGID_Y_EN: 1
; COMPUTE_PGM_RSRC2:TGID_Z_EN: 1
; COMPUTE_PGM_RSRC2:TIDIG_COMP_CNT: 1
; COMPUTE_PGM_RSRC3_GFX90A:ACCUM_OFFSET: 22
; COMPUTE_PGM_RSRC3_GFX90A:TG_SPLIT: 0
	.section	.text._ZL30rocblas_trmm_outofplace_kernelIfLi32ELi2ELb1ELb1ELb1ELb0EPKfS0_fEv17rocblas_diagonal_iiT6_lPT7_lllS5_lllPT8_llli,"axG",@progbits,_ZL30rocblas_trmm_outofplace_kernelIfLi32ELi2ELb1ELb1ELb1ELb0EPKfS0_fEv17rocblas_diagonal_iiT6_lPT7_lllS5_lllPT8_llli,comdat
	.globl	_ZL30rocblas_trmm_outofplace_kernelIfLi32ELi2ELb1ELb1ELb1ELb0EPKfS0_fEv17rocblas_diagonal_iiT6_lPT7_lllS5_lllPT8_llli ; -- Begin function _ZL30rocblas_trmm_outofplace_kernelIfLi32ELi2ELb1ELb1ELb1ELb0EPKfS0_fEv17rocblas_diagonal_iiT6_lPT7_lllS5_lllPT8_llli
	.p2align	8
	.type	_ZL30rocblas_trmm_outofplace_kernelIfLi32ELi2ELb1ELb1ELb1ELb0EPKfS0_fEv17rocblas_diagonal_iiT6_lPT7_lllS5_lllPT8_llli,@function
_ZL30rocblas_trmm_outofplace_kernelIfLi32ELi2ELb1ELb1ELb1ELb0EPKfS0_fEv17rocblas_diagonal_iiT6_lPT7_lllS5_lllPT8_llli: ; @_ZL30rocblas_trmm_outofplace_kernelIfLi32ELi2ELb1ELb1ELb1ELb0EPKfS0_fEv17rocblas_diagonal_iiT6_lPT7_lllS5_lllPT8_llli
; %bb.0:
	s_load_dwordx16 s[16:31], s[0:1], 0x10
	s_waitcnt lgkmcnt(0)
	s_mul_i32 s5, s19, s4
	s_mul_hi_u32 s6, s18, s4
	s_add_i32 s7, s6, s5
	s_mul_i32 s6, s18, s4
	s_lshl_b64 s[6:7], s[6:7], 2
	s_add_u32 s6, s16, s6
	s_addc_u32 s7, s17, s7
	s_load_dword s33, s[6:7], 0x0
	s_waitcnt lgkmcnt(0)
	v_cmp_eq_f32_e64 s[6:7], s33, 0
	s_and_b64 vcc, exec, s[6:7]
	s_cbranch_vccnz .LBB6_51
; %bb.1:
	s_load_dwordx4 s[44:47], s[0:1], 0x0
	s_waitcnt lgkmcnt(0)
	s_add_i32 s5, s46, -1
	s_ashr_i32 s6, s5, 31
	s_lshr_b32 s6, s6, 27
	s_add_i32 s5, s5, s6
	s_ashr_i32 s47, s5, 5
	s_cmp_gt_i32 s3, s47
	s_cbranch_scc1 .LBB6_51
; %bb.2:
	s_load_dwordx8 s[36:43], s[0:1], 0x50
	s_load_dwordx4 s[48:51], s[0:1], 0x70
	s_mul_i32 s5, s27, s4
	s_mul_hi_u32 s6, s26, s4
	s_add_i32 s7, s6, s5
	s_mul_i32 s6, s26, s4
	s_lshl_b64 s[8:9], s[6:7], 2
	s_add_u32 s5, s20, s8
	s_addc_u32 s7, s21, s9
	s_lshl_b64 s[10:11], s[22:23], 2
	s_add_u32 s6, s5, s10
	s_load_dword s52, s[0:1], 0x8c
	s_waitcnt lgkmcnt(0)
	s_mul_i32 s0, s51, s4
	s_mul_hi_u32 s1, s50, s4
	s_addc_u32 s7, s7, s11
	s_add_i32 s1, s1, s0
	s_mul_i32 s0, s50, s4
	s_lshl_b64 s[0:1], s[0:1], 2
	s_add_u32 s5, s40, s0
	s_addc_u32 s12, s41, s1
	s_lshl_b64 s[0:1], s[42:43], 2
	s_add_u32 s22, s5, s0
	s_addc_u32 s23, s12, s1
	s_lshl_b32 s42, s2, 5
	s_cmp_gt_i32 s2, -1
	s_cselect_b64 s[12:13], -1, 0
	s_cmpk_eq_i32 s44, 0x84
	s_cselect_b64 s[26:27], -1, 0
	s_ashr_i32 s35, s45, 31
	s_ashr_i32 s2, s46, 31
	s_add_u32 s40, s45, -16
	s_mul_i32 s5, s39, s4
	s_mul_hi_u32 s14, s38, s4
	s_addc_u32 s41, s35, -1
	s_add_i32 s5, s14, s5
	s_mul_i32 s4, s38, s4
	v_and_b32_e32 v14, 0x3ff, v0
	s_lshl_b64 s[4:5], s[4:5], 2
	s_lshl_b64 s[14:15], s[30:31], 2
	v_add_u32_e32 v16, s42, v14
	s_add_u32 s4, s4, s14
	v_ashrrev_i32_e32 v17, 31, v16
	s_addc_u32 s5, s5, s15
	v_bfe_u32 v12, v0, 10, 10
	v_mov_b32_e32 v13, 0
	v_mul_lo_u32 v2, s24, v17
	v_mul_lo_u32 v3, s25, v16
	v_mad_u64_u32 v[0:1], s[0:1], s24, v16, 0
	s_add_u32 s4, s28, s4
	v_add3_u32 v1, v1, v2, v3
	v_lshlrev_b32_e32 v20, 2, v14
	v_mov_b32_e32 v21, v13
	s_addc_u32 s5, s29, s5
	s_lshl_b64 s[28:29], s[36:37], 2
	s_lshl_b32 s43, s52, 5
	v_lshl_add_u64 v[0:1], v[0:1], 2, s[6:7]
	v_lshlrev_b32_e32 v2, 2, v12
	v_mov_b32_e32 v3, v13
	v_lshl_add_u64 v[32:33], s[4:5], 0, v[20:21]
	s_add_u32 s4, s10, s8
	v_lshl_add_u64 v[18:19], v[0:1], 0, v[2:3]
	v_lshlrev_b32_e32 v0, 7, v12
	s_addc_u32 s5, s11, s9
	v_add_u32_e32 v41, v20, v0
	v_add_u32_e32 v50, 0x1000, v0
	v_lshl_add_u64 v[0:1], v[16:17], 2, 64
	v_mov_b64_e32 v[4:5], s[4:5]
	v_mul_lo_u32 v6, s24, v1
	v_mul_lo_u32 v7, s25, v0
	v_mad_u64_u32 v[0:1], s[4:5], s24, v0, v[4:5]
	v_add3_u32 v1, v7, v1, v6
	v_sub_co_u32_e32 v26, vcc, v16, v12
	v_lshl_add_u64 v[0:1], v[0:1], 0, v[2:3]
	s_mov_b32 s34, s45
	v_lshl_add_u64 v[22:23], v[16:17], 0, 16
	v_add_u32_e32 v24, 16, v16
	v_subbrev_co_u32_e32 v27, vcc, 0, v17, vcc
	v_lshl_add_u64 v[38:39], s[20:21], 0, v[0:1]
	v_cndmask_b32_e64 v0, 0, 1, s[12:13]
	v_mov_b32_e32 v15, v13
	v_add_u32_e32 v51, v50, v20
	v_cmp_le_i32_e64 s[0:1], s45, v16
	v_cmp_le_i64_e64 s[16:17], s[34:35], v[22:23]
	v_cmp_gt_i32_e64 s[18:19], s45, v16
	v_cmp_gt_i32_e64 s[6:7], s45, v24
	v_ashrrev_i32_e32 v25, 31, v24
	v_lshl_add_u64 v[28:29], v[26:27], 0, 16
	v_lshl_add_u64 v[30:31], v[26:27], 0, -16
	v_lshl_add_u64 v[34:35], v[32:33], 0, 64
	v_lshl_add_u32 v36, s3, 5, v12
	v_mov_b32_e32 v52, 1.0
	v_cmp_ne_u32_e64 s[8:9], 1, v0
	v_add_u32_e32 v53, 0x400, v20
	v_add_u32_e32 v54, 0x800, v20
	;; [unrolled: 1-line block ×3, first 2 shown]
	s_branch .LBB6_4
.LBB6_3:                                ;   in Loop: Header=BB6_4 Depth=1
	s_or_b64 exec, exec, s[4:5]
	s_add_i32 s3, s52, s3
	s_cmp_le_i32 s3, s47
	v_add_u32_e32 v36, s43, v36
	s_cbranch_scc0 .LBB6_51
.LBB6_4:                                ; =>This Loop Header: Depth=1
                                        ;     Child Loop BB6_7 Depth 2
	v_lshl_add_u32 v40, s3, 5, v12
	v_ashrrev_i32_e32 v21, 31, v40
	s_and_b64 vcc, exec, s[8:9]
	v_mov_b32_e32 v49, 0
	v_mov_b32_e32 v48, 0
	;; [unrolled: 1-line block ×4, first 2 shown]
	s_cbranch_vccnz .LBB6_43
; %bb.5:                                ;   in Loop: Header=BB6_4 Depth=1
	v_ashrrev_i32_e32 v37, 31, v36
	v_mad_u64_u32 v[42:43], s[4:5], s28, v36, v[34:35]
	v_mul_lo_u32 v0, s29, v36
	v_mul_lo_u32 v1, s28, v37
	v_add3_u32 v43, v0, v43, v1
	v_lshl_add_u64 v[0:1], v[36:37], 2, 64
	v_mul_lo_u32 v1, s36, v1
	v_mul_lo_u32 v2, s37, v0
	v_mad_u64_u32 v[44:45], s[4:5], s36, v0, v[32:33]
	v_add3_u32 v45, v2, v45, v1
	v_mov_b32_e32 v1, s2
	v_sub_co_u32_e32 v0, vcc, s46, v40
	v_mov_b32_e32 v46, 0
	s_nop 0
	v_subb_co_u32_e32 v1, vcc, v1, v21, vcc
	s_mov_b64 s[20:21], 0
	v_cmp_lt_i64_e32 vcc, 0, v[0:1]
	v_cmp_lt_i64_e64 s[10:11], 16, v[0:1]
	s_mov_b64 s[24:25], 0
	v_mov_b32_e32 v47, v46
	v_mov_b32_e32 v48, v46
	;; [unrolled: 1-line block ×3, first 2 shown]
	s_branch .LBB6_7
.LBB6_6:                                ;   in Loop: Header=BB6_7 Depth=2
	s_or_b64 exec, exec, s[4:5]
	s_waitcnt lgkmcnt(0)
	s_barrier
	ds_read_b128 v[56:59], v50
	ds_read_b128 v[60:63], v50 offset:16
	ds_read_b128 v[4:7], v50 offset:32
	;; [unrolled: 1-line block ×3, first 2 shown]
	ds_read2_b32 v[72:73], v20 offset1:16
	ds_read2_b32 v[74:75], v20 offset0:32 offset1:48
	ds_read2_b32 v[76:77], v20 offset0:64 offset1:80
	;; [unrolled: 1-line block ×4, first 2 shown]
	ds_read_b128 v[64:67], v50 offset:2048
	ds_read_b128 v[68:71], v50 offset:2064
	ds_read2_b32 v[82:83], v20 offset0:160 offset1:176
	ds_read2_b32 v[84:85], v20 offset0:192 offset1:208
	;; [unrolled: 1-line block ×3, first 2 shown]
	ds_read2_b32 v[88:89], v53 offset1:16
	ds_read_b128 v[8:11], v50 offset:2080
	ds_read2_b32 v[90:91], v53 offset0:32 offset1:48
	s_waitcnt lgkmcnt(12)
	v_pk_fma_f32 v[48:49], v[72:73], v[56:57], v[48:49] op_sel_hi:[1,0,1]
	s_waitcnt lgkmcnt(7)
	v_pk_fma_f32 v[46:47], v[72:73], v[64:65], v[46:47] op_sel_hi:[1,0,1]
	v_pk_fma_f32 v[48:49], v[74:75], v[56:57], v[48:49] op_sel:[0,1,0]
	v_mov_b32_e32 v56, v59
	v_pk_fma_f32 v[48:49], v[76:77], v[58:59], v[48:49] op_sel_hi:[1,0,1]
	v_pk_fma_f32 v[46:47], v[74:75], v[64:65], v[46:47] op_sel:[0,1,0]
	v_pk_fma_f32 v[48:49], v[78:79], v[56:57], v[48:49] op_sel_hi:[1,0,1]
	v_mov_b32_e32 v56, v63
	v_pk_fma_f32 v[48:49], v[80:81], v[60:61], v[48:49] op_sel_hi:[1,0,1]
	v_pk_fma_f32 v[46:47], v[76:77], v[66:67], v[46:47] op_sel_hi:[1,0,1]
	s_waitcnt lgkmcnt(5)
	v_pk_fma_f32 v[48:49], v[82:83], v[60:61], v[48:49] op_sel:[0,1,0]
	s_add_u32 s24, s24, 32
	s_waitcnt lgkmcnt(4)
	v_pk_fma_f32 v[48:49], v[84:85], v[62:63], v[48:49] op_sel_hi:[1,0,1]
	s_addc_u32 s25, s25, 0
	s_waitcnt lgkmcnt(3)
	v_pk_fma_f32 v[48:49], v[86:87], v[56:57], v[48:49] op_sel_hi:[1,0,1]
	s_sub_i32 s4, s24, 32
	s_waitcnt lgkmcnt(2)
	v_pk_fma_f32 v[48:49], v[88:89], v[4:5], v[48:49] op_sel_hi:[1,0,1]
	s_add_u32 s20, s20, 0x80
	s_waitcnt lgkmcnt(0)
	v_pk_fma_f32 v[4:5], v[90:91], v[4:5], v[48:49] op_sel:[0,1,0]
	v_mov_b32_e32 v48, v67
	v_pk_fma_f32 v[46:47], v[78:79], v[48:49], v[46:47] op_sel_hi:[1,0,1]
	v_mov_b32_e32 v48, v71
	v_pk_fma_f32 v[46:47], v[80:81], v[68:69], v[46:47] op_sel_hi:[1,0,1]
	s_addc_u32 s21, s21, 0
	v_pk_fma_f32 v[46:47], v[82:83], v[68:69], v[46:47] op_sel:[0,1,0]
	s_cmp_ge_i32 s4, s42
	v_pk_fma_f32 v[46:47], v[84:85], v[70:71], v[46:47] op_sel_hi:[1,0,1]
	s_nop 0
	v_pk_fma_f32 v[56:57], v[86:87], v[48:49], v[46:47] op_sel_hi:[1,0,1]
	ds_read_b128 v[46:49], v50 offset:2096
	v_pk_fma_f32 v[56:57], v[88:89], v[8:9], v[56:57] op_sel_hi:[1,0,1]
	s_nop 0
	v_pk_fma_f32 v[8:9], v[90:91], v[8:9], v[56:57] op_sel:[0,1,0]
	ds_read2_b32 v[64:65], v53 offset0:64 offset1:80
	ds_read2_b32 v[66:67], v53 offset0:96 offset1:112
	;; [unrolled: 1-line block ×6, first 2 shown]
	ds_read2_b32 v[76:77], v54 offset1:16
	ds_read2_b32 v[78:79], v54 offset0:32 offset1:48
	ds_read2_b32 v[80:81], v54 offset0:64 offset1:80
	;; [unrolled: 1-line block ×3, first 2 shown]
	ds_read_b128 v[56:59], v50 offset:64
	ds_read_b128 v[60:63], v50 offset:80
	ds_read2_b32 v[84:85], v54 offset0:128 offset1:144
	s_waitcnt lgkmcnt(12)
	v_pk_fma_f32 v[4:5], v[64:65], v[6:7], v[4:5] op_sel_hi:[1,0,1]
	v_mov_b32_e32 v6, v7
	s_waitcnt lgkmcnt(11)
	v_pk_fma_f32 v[4:5], v[66:67], v[6:7], v[4:5] op_sel_hi:[1,0,1]
	v_pk_fma_f32 v[8:9], v[64:65], v[10:11], v[8:9] op_sel_hi:[1,0,1]
	s_waitcnt lgkmcnt(10)
	v_pk_fma_f32 v[4:5], v[68:69], v[0:1], v[4:5] op_sel_hi:[1,0,1]
	v_mov_b32_e32 v10, v11
	s_waitcnt lgkmcnt(9)
	v_pk_fma_f32 v[0:1], v[70:71], v[0:1], v[4:5] op_sel:[0,1,0]
	v_pk_fma_f32 v[8:9], v[66:67], v[10:11], v[8:9] op_sel_hi:[1,0,1]
	s_waitcnt lgkmcnt(8)
	v_pk_fma_f32 v[0:1], v[72:73], v[2:3], v[0:1] op_sel_hi:[1,0,1]
	v_mov_b32_e32 v2, v3
	s_waitcnt lgkmcnt(7)
	v_pk_fma_f32 v[0:1], v[74:75], v[2:3], v[0:1] op_sel_hi:[1,0,1]
	s_waitcnt lgkmcnt(2)
	v_mov_b32_e32 v2, v59
	v_pk_fma_f32 v[0:1], v[76:77], v[56:57], v[0:1] op_sel_hi:[1,0,1]
	v_pk_fma_f32 v[8:9], v[68:69], v[46:47], v[8:9] op_sel_hi:[1,0,1]
	v_pk_fma_f32 v[0:1], v[78:79], v[56:57], v[0:1] op_sel:[0,1,0]
	v_pk_fma_f32 v[8:9], v[70:71], v[46:47], v[8:9] op_sel:[0,1,0]
	v_pk_fma_f32 v[0:1], v[80:81], v[58:59], v[0:1] op_sel_hi:[1,0,1]
	v_pk_fma_f32 v[8:9], v[72:73], v[48:49], v[8:9] op_sel_hi:[1,0,1]
	;; [unrolled: 1-line block ×3, first 2 shown]
	v_mov_b32_e32 v10, v49
	s_waitcnt lgkmcnt(0)
	v_pk_fma_f32 v[86:87], v[84:85], v[60:61], v[0:1] op_sel_hi:[1,0,1]
	ds_read_b128 v[0:3], v50 offset:2112
	ds_read_b128 v[4:7], v50 offset:2128
	v_pk_fma_f32 v[8:9], v[74:75], v[10:11], v[8:9] op_sel_hi:[1,0,1]
	s_waitcnt lgkmcnt(1)
	v_pk_fma_f32 v[8:9], v[76:77], v[0:1], v[8:9] op_sel_hi:[1,0,1]
	s_nop 0
	v_pk_fma_f32 v[0:1], v[78:79], v[0:1], v[8:9] op_sel:[0,1,0]
	s_nop 0
	v_pk_fma_f32 v[0:1], v[80:81], v[2:3], v[0:1] op_sel_hi:[1,0,1]
	v_mov_b32_e32 v2, v3
	v_pk_fma_f32 v[0:1], v[82:83], v[2:3], v[0:1] op_sel_hi:[1,0,1]
	s_waitcnt lgkmcnt(0)
	v_pk_fma_f32 v[46:47], v[84:85], v[4:5], v[0:1] op_sel_hi:[1,0,1]
	ds_read2_b32 v[68:69], v54 offset0:160 offset1:176
	ds_read2_b32 v[70:71], v54 offset0:192 offset1:208
	;; [unrolled: 1-line block ×3, first 2 shown]
	ds_read2_b32 v[74:75], v55 offset1:16
	ds_read2_b32 v[76:77], v55 offset0:32 offset1:48
	ds_read2_b32 v[78:79], v55 offset0:64 offset1:80
	ds_read2_b32 v[80:81], v55 offset0:96 offset1:112
	ds_read_b128 v[0:3], v50 offset:96
	ds_read_b128 v[8:11], v50 offset:112
	ds_read2_b32 v[82:83], v55 offset0:128 offset1:144
	ds_read_b128 v[56:59], v50 offset:2144
	ds_read_b128 v[64:67], v50 offset:2160
	ds_read2_b32 v[84:85], v55 offset0:160 offset1:176
	ds_read2_b32 v[88:89], v55 offset0:192 offset1:208
	;; [unrolled: 1-line block ×3, first 2 shown]
	s_waitcnt lgkmcnt(14)
	v_pk_fma_f32 v[48:49], v[68:69], v[60:61], v[86:87] op_sel:[0,1,0]
	v_mov_b32_e32 v60, v63
	s_waitcnt lgkmcnt(13)
	v_pk_fma_f32 v[48:49], v[70:71], v[62:63], v[48:49] op_sel_hi:[1,0,1]
	s_waitcnt lgkmcnt(0)
	v_pk_fma_f32 v[48:49], v[72:73], v[60:61], v[48:49] op_sel_hi:[1,0,1]
	s_barrier
	v_pk_fma_f32 v[48:49], v[74:75], v[0:1], v[48:49] op_sel_hi:[1,0,1]
	s_nop 0
	v_pk_fma_f32 v[0:1], v[76:77], v[0:1], v[48:49] op_sel:[0,1,0]
	s_nop 0
	v_pk_fma_f32 v[0:1], v[78:79], v[2:3], v[0:1] op_sel_hi:[1,0,1]
	v_mov_b32_e32 v2, v3
	v_pk_fma_f32 v[0:1], v[80:81], v[2:3], v[0:1] op_sel_hi:[1,0,1]
	v_mov_b32_e32 v2, v11
	v_pk_fma_f32 v[0:1], v[82:83], v[8:9], v[0:1] op_sel_hi:[1,0,1]
	s_nop 0
	v_pk_fma_f32 v[0:1], v[84:85], v[8:9], v[0:1] op_sel:[0,1,0]
	s_nop 0
	v_pk_fma_f32 v[0:1], v[88:89], v[10:11], v[0:1] op_sel_hi:[1,0,1]
	s_nop 0
	v_pk_fma_f32 v[48:49], v[90:91], v[2:3], v[0:1] op_sel_hi:[1,0,1]
	v_pk_fma_f32 v[0:1], v[68:69], v[4:5], v[46:47] op_sel:[0,1,0]
	v_mov_b32_e32 v2, v7
	v_pk_fma_f32 v[0:1], v[70:71], v[6:7], v[0:1] op_sel_hi:[1,0,1]
	s_nop 0
	v_pk_fma_f32 v[0:1], v[72:73], v[2:3], v[0:1] op_sel_hi:[1,0,1]
	v_mov_b32_e32 v2, v59
	v_pk_fma_f32 v[0:1], v[74:75], v[56:57], v[0:1] op_sel_hi:[1,0,1]
	s_nop 0
	v_pk_fma_f32 v[0:1], v[76:77], v[56:57], v[0:1] op_sel:[0,1,0]
	s_nop 0
	v_pk_fma_f32 v[0:1], v[78:79], v[58:59], v[0:1] op_sel_hi:[1,0,1]
	s_nop 0
	v_pk_fma_f32 v[0:1], v[80:81], v[2:3], v[0:1] op_sel_hi:[1,0,1]
	v_mov_b32_e32 v2, v67
	v_pk_fma_f32 v[0:1], v[82:83], v[64:65], v[0:1] op_sel_hi:[1,0,1]
	s_nop 0
	v_pk_fma_f32 v[0:1], v[84:85], v[64:65], v[0:1] op_sel:[0,1,0]
	s_nop 0
	v_pk_fma_f32 v[0:1], v[88:89], v[66:67], v[0:1] op_sel_hi:[1,0,1]
	s_nop 0
	v_pk_fma_f32 v[46:47], v[90:91], v[2:3], v[0:1] op_sel_hi:[1,0,1]
	s_cbranch_scc1 .LBB6_43
.LBB6_7:                                ;   Parent Loop BB6_4 Depth=1
                                        ; =>  This Inner Loop Header: Depth=2
	v_lshl_add_u64 v[4:5], v[12:13], 0, s[24:25]
	v_cmp_le_i64_e64 s[14:15], s[34:35], v[4:5]
	v_cmp_eq_u64_e64 s[4:5], s[24:25], v[26:27]
	v_cmp_gt_i64_e64 s[12:13], v[4:5], v[16:17]
	s_and_b64 s[30:31], s[26:27], s[4:5]
	s_or_b64 s[4:5], s[14:15], s[12:13]
	s_or_b64 s[4:5], s[4:5], s[30:31]
	v_lshl_add_u64 v[0:1], v[18:19], 0, s[20:21]
	s_nor_b64 s[4:5], s[0:1], s[4:5]
                                        ; implicit-def: $vgpr2
	s_and_saveexec_b64 s[38:39], s[4:5]
	s_xor_b64 s[4:5], exec, s[38:39]
	s_cbranch_execz .LBB6_9
; %bb.8:                                ;   in Loop: Header=BB6_7 Depth=2
	global_load_dword v2, v[0:1], off
.LBB6_9:                                ;   in Loop: Header=BB6_7 Depth=2
	s_andn2_saveexec_b64 s[4:5], s[4:5]
	s_cbranch_execz .LBB6_11
; %bb.10:                               ;   in Loop: Header=BB6_7 Depth=2
	s_waitcnt vmcnt(0)
	v_cndmask_b32_e64 v2, 0, 1.0, s[30:31]
.LBB6_11:                               ;   in Loop: Header=BB6_7 Depth=2
	s_or_b64 exec, exec, s[4:5]
	v_cmp_eq_u64_e64 s[4:5], s[24:25], v[28:29]
	s_and_b64 s[38:39], s[26:27], s[4:5]
	v_cmp_lt_i64_e64 s[4:5], v[22:23], v[4:5]
	s_or_b64 s[4:5], s[14:15], s[4:5]
	s_or_b64 s[4:5], s[4:5], s[38:39]
	s_waitcnt vmcnt(0)
	ds_write_b32 v41, v2
	s_nor_b64 s[4:5], s[16:17], s[4:5]
	v_lshl_add_u64 v[2:3], v[38:39], 0, s[20:21]
	s_and_saveexec_b64 s[14:15], s[4:5]
	s_xor_b64 s[4:5], exec, s[14:15]
	s_cbranch_execz .LBB6_13
; %bb.12:                               ;   in Loop: Header=BB6_7 Depth=2
	global_load_dword v6, v[2:3], off
	s_waitcnt vmcnt(0)
	ds_write_b32 v41, v6 offset:64
.LBB6_13:                               ;   in Loop: Header=BB6_7 Depth=2
	s_andn2_saveexec_b64 s[4:5], s[4:5]
	s_cbranch_execz .LBB6_19
; %bb.14:                               ;   in Loop: Header=BB6_7 Depth=2
	s_xor_b64 s[14:15], s[38:39], -1
	s_and_saveexec_b64 s[38:39], s[14:15]
	s_xor_b64 s[14:15], exec, s[38:39]
; %bb.15:                               ;   in Loop: Header=BB6_7 Depth=2
	ds_write_b32 v41, v13 offset:64
; %bb.16:                               ;   in Loop: Header=BB6_7 Depth=2
	s_andn2_saveexec_b64 s[14:15], s[14:15]
; %bb.17:                               ;   in Loop: Header=BB6_7 Depth=2
	ds_write_b32 v41, v52 offset:64
; %bb.18:                               ;   in Loop: Header=BB6_7 Depth=2
	s_or_b64 exec, exec, s[14:15]
.LBB6_19:                               ;   in Loop: Header=BB6_7 Depth=2
	s_or_b64 exec, exec, s[4:5]
	v_lshl_add_u64 v[4:5], v[4:5], 0, 16
	v_cmp_eq_u64_e64 s[4:5], s[24:25], v[30:31]
	v_cmp_le_i64_e64 s[14:15], s[34:35], v[4:5]
	s_and_b64 s[38:39], s[26:27], s[4:5]
	v_cmp_gt_i64_e64 s[4:5], v[4:5], v[16:17]
	s_or_b64 s[4:5], s[14:15], s[4:5]
	s_or_b64 s[4:5], s[4:5], s[38:39]
	s_nor_b64 s[4:5], s[0:1], s[4:5]
                                        ; implicit-def: $vgpr4
	s_and_saveexec_b64 s[44:45], s[4:5]
	s_xor_b64 s[4:5], exec, s[44:45]
	s_cbranch_execz .LBB6_21
; %bb.20:                               ;   in Loop: Header=BB6_7 Depth=2
	global_load_dword v4, v[0:1], off offset:64
.LBB6_21:                               ;   in Loop: Header=BB6_7 Depth=2
	s_andn2_saveexec_b64 s[4:5], s[4:5]
	s_cbranch_execz .LBB6_23
; %bb.22:                               ;   in Loop: Header=BB6_7 Depth=2
	s_waitcnt vmcnt(0)
	v_cndmask_b32_e64 v4, 0, 1.0, s[38:39]
.LBB6_23:                               ;   in Loop: Header=BB6_7 Depth=2
	s_or_b64 exec, exec, s[4:5]
	s_or_b64 s[4:5], s[14:15], s[12:13]
	s_or_b64 s[4:5], s[4:5], s[30:31]
	s_nor_b64 s[4:5], s[16:17], s[4:5]
	s_waitcnt vmcnt(0)
	ds_write_b32 v41, v4 offset:2048
	s_and_saveexec_b64 s[12:13], s[4:5]
	s_xor_b64 s[4:5], exec, s[12:13]
	s_cbranch_execz .LBB6_25
; %bb.24:                               ;   in Loop: Header=BB6_7 Depth=2
	global_load_dword v0, v[2:3], off offset:64
	s_waitcnt vmcnt(0)
	ds_write_b32 v41, v0 offset:2112
.LBB6_25:                               ;   in Loop: Header=BB6_7 Depth=2
	s_andn2_saveexec_b64 s[4:5], s[4:5]
	s_cbranch_execz .LBB6_31
; %bb.26:                               ;   in Loop: Header=BB6_7 Depth=2
	s_xor_b64 s[12:13], s[30:31], -1
	s_and_saveexec_b64 s[14:15], s[12:13]
	s_xor_b64 s[12:13], exec, s[14:15]
; %bb.27:                               ;   in Loop: Header=BB6_7 Depth=2
	ds_write_b32 v41, v13 offset:2112
; %bb.28:                               ;   in Loop: Header=BB6_7 Depth=2
	s_andn2_saveexec_b64 s[12:13], s[12:13]
; %bb.29:                               ;   in Loop: Header=BB6_7 Depth=2
	ds_write_b32 v41, v52 offset:2112
; %bb.30:                               ;   in Loop: Header=BB6_7 Depth=2
	s_or_b64 exec, exec, s[12:13]
.LBB6_31:                               ;   in Loop: Header=BB6_7 Depth=2
	s_or_b64 exec, exec, s[4:5]
	v_lshl_add_u64 v[2:3], v[14:15], 0, s[24:25]
	v_cmp_gt_i64_e64 s[12:13], s[34:35], v[2:3]
	v_lshl_add_u64 v[0:1], v[42:43], 0, s[20:21]
	s_and_b64 s[14:15], vcc, s[12:13]
	v_mov_b32_e32 v4, 0
	s_and_saveexec_b64 s[4:5], s[14:15]
	s_cbranch_execz .LBB6_33
; %bb.32:                               ;   in Loop: Header=BB6_7 Depth=2
	global_load_dword v4, v[0:1], off offset:-64
.LBB6_33:                               ;   in Loop: Header=BB6_7 Depth=2
	s_or_b64 exec, exec, s[4:5]
	v_cmp_gt_i64_e64 s[14:15], s[40:41], v[2:3]
	s_and_b64 s[4:5], vcc, s[14:15]
	s_xor_b64 s[4:5], s[4:5], -1
	s_waitcnt vmcnt(0)
	ds_write_b32 v51, v4
	s_and_saveexec_b64 s[30:31], s[4:5]
	s_xor_b64 s[4:5], exec, s[30:31]
; %bb.34:                               ;   in Loop: Header=BB6_7 Depth=2
	ds_write_b32 v51, v13 offset:64
                                        ; implicit-def: $vgpr0_vgpr1
; %bb.35:                               ;   in Loop: Header=BB6_7 Depth=2
	s_andn2_saveexec_b64 s[4:5], s[4:5]
	s_cbranch_execz .LBB6_37
; %bb.36:                               ;   in Loop: Header=BB6_7 Depth=2
	global_load_dword v0, v[0:1], off
	s_waitcnt vmcnt(0)
	ds_write_b32 v51, v0 offset:64
.LBB6_37:                               ;   in Loop: Header=BB6_7 Depth=2
	s_or_b64 exec, exec, s[4:5]
	v_lshl_add_u64 v[0:1], v[44:45], 0, s[20:21]
	s_and_b64 s[12:13], s[10:11], s[12:13]
	v_mov_b32_e32 v2, 0
	s_and_saveexec_b64 s[4:5], s[12:13]
	s_cbranch_execz .LBB6_39
; %bb.38:                               ;   in Loop: Header=BB6_7 Depth=2
	global_load_dword v2, v[0:1], off
.LBB6_39:                               ;   in Loop: Header=BB6_7 Depth=2
	s_or_b64 exec, exec, s[4:5]
	s_and_b64 s[4:5], s[10:11], s[14:15]
	s_xor_b64 s[4:5], s[4:5], -1
	s_waitcnt vmcnt(0)
	ds_write_b32 v51, v2 offset:2048
	s_and_saveexec_b64 s[12:13], s[4:5]
	s_xor_b64 s[4:5], exec, s[12:13]
; %bb.40:                               ;   in Loop: Header=BB6_7 Depth=2
	ds_write_b32 v51, v13 offset:2112
                                        ; implicit-def: $vgpr0_vgpr1
; %bb.41:                               ;   in Loop: Header=BB6_7 Depth=2
	s_andn2_saveexec_b64 s[4:5], s[4:5]
	s_cbranch_execz .LBB6_6
; %bb.42:                               ;   in Loop: Header=BB6_7 Depth=2
	global_load_dword v0, v[0:1], off offset:64
	s_waitcnt vmcnt(0)
	ds_write_b32 v51, v0 offset:2112
	s_branch .LBB6_6
.LBB6_43:                               ;   in Loop: Header=BB6_4 Depth=1
	v_mul_lo_u32 v2, s49, v40
	v_mul_lo_u32 v3, s48, v21
	v_mad_u64_u32 v[0:1], s[4:5], s48, v40, 0
	v_cmp_gt_i32_e32 vcc, s46, v40
	v_add3_u32 v1, v1, v3, v2
	v_lshl_add_u64 v[0:1], v[0:1], 2, s[22:23]
	s_and_b64 s[10:11], s[18:19], vcc
	s_and_saveexec_b64 s[4:5], s[10:11]
	s_cbranch_execz .LBB6_45
; %bb.44:                               ;   in Loop: Header=BB6_4 Depth=1
	v_lshl_add_u64 v[2:3], v[16:17], 2, v[0:1]
	global_load_dword v4, v[2:3], off
	s_waitcnt vmcnt(0)
	v_fmac_f32_e32 v4, s33, v48
	global_store_dword v[2:3], v4, off
.LBB6_45:                               ;   in Loop: Header=BB6_4 Depth=1
	s_or_b64 exec, exec, s[4:5]
	s_and_b64 s[10:11], s[6:7], vcc
	s_and_saveexec_b64 s[4:5], s[10:11]
	s_cbranch_execz .LBB6_47
; %bb.46:                               ;   in Loop: Header=BB6_4 Depth=1
	v_lshl_add_u64 v[0:1], v[24:25], 2, v[0:1]
	global_load_dword v2, v[0:1], off
	s_waitcnt vmcnt(0)
	v_fmac_f32_e32 v2, s33, v49
	global_store_dword v[0:1], v2, off
.LBB6_47:                               ;   in Loop: Header=BB6_4 Depth=1
	s_or_b64 exec, exec, s[4:5]
	v_add_u32_e32 v0, 16, v40
	v_ashrrev_i32_e32 v1, 31, v0
	v_cmp_gt_i32_e32 vcc, s46, v0
	v_mul_lo_u32 v2, s48, v1
	v_mul_lo_u32 v3, s49, v0
	v_mad_u64_u32 v[0:1], s[4:5], s48, v0, 0
	v_add3_u32 v1, v1, v2, v3
	v_lshl_add_u64 v[0:1], v[0:1], 2, s[22:23]
	s_and_b64 s[10:11], s[18:19], vcc
	s_and_saveexec_b64 s[4:5], s[10:11]
	s_cbranch_execz .LBB6_49
; %bb.48:                               ;   in Loop: Header=BB6_4 Depth=1
	v_lshl_add_u64 v[2:3], v[16:17], 2, v[0:1]
	global_load_dword v4, v[2:3], off
	s_waitcnt vmcnt(0)
	v_fmac_f32_e32 v4, s33, v46
	global_store_dword v[2:3], v4, off
.LBB6_49:                               ;   in Loop: Header=BB6_4 Depth=1
	s_or_b64 exec, exec, s[4:5]
	s_and_b64 s[10:11], s[6:7], vcc
	s_and_saveexec_b64 s[4:5], s[10:11]
	s_cbranch_execz .LBB6_3
; %bb.50:                               ;   in Loop: Header=BB6_4 Depth=1
	v_lshl_add_u64 v[0:1], v[24:25], 2, v[0:1]
	global_load_dword v2, v[0:1], off
	s_waitcnt vmcnt(0)
	v_fmac_f32_e32 v2, s33, v47
	global_store_dword v[0:1], v2, off
	s_branch .LBB6_3
.LBB6_51:
	s_endpgm
	.section	.rodata,"a",@progbits
	.p2align	6, 0x0
	.amdhsa_kernel _ZL30rocblas_trmm_outofplace_kernelIfLi32ELi2ELb1ELb1ELb1ELb0EPKfS0_fEv17rocblas_diagonal_iiT6_lPT7_lllS5_lllPT8_llli
		.amdhsa_group_segment_fixed_size 8192
		.amdhsa_private_segment_fixed_size 0
		.amdhsa_kernarg_size 392
		.amdhsa_user_sgpr_count 2
		.amdhsa_user_sgpr_dispatch_ptr 0
		.amdhsa_user_sgpr_queue_ptr 0
		.amdhsa_user_sgpr_kernarg_segment_ptr 1
		.amdhsa_user_sgpr_dispatch_id 0
		.amdhsa_user_sgpr_kernarg_preload_length 0
		.amdhsa_user_sgpr_kernarg_preload_offset 0
		.amdhsa_user_sgpr_private_segment_size 0
		.amdhsa_uses_dynamic_stack 0
		.amdhsa_enable_private_segment 0
		.amdhsa_system_sgpr_workgroup_id_x 1
		.amdhsa_system_sgpr_workgroup_id_y 1
		.amdhsa_system_sgpr_workgroup_id_z 1
		.amdhsa_system_sgpr_workgroup_info 0
		.amdhsa_system_vgpr_workitem_id 1
		.amdhsa_next_free_vgpr 92
		.amdhsa_next_free_sgpr 53
		.amdhsa_accum_offset 92
		.amdhsa_reserve_vcc 1
		.amdhsa_float_round_mode_32 0
		.amdhsa_float_round_mode_16_64 0
		.amdhsa_float_denorm_mode_32 3
		.amdhsa_float_denorm_mode_16_64 3
		.amdhsa_dx10_clamp 1
		.amdhsa_ieee_mode 1
		.amdhsa_fp16_overflow 0
		.amdhsa_tg_split 0
		.amdhsa_exception_fp_ieee_invalid_op 0
		.amdhsa_exception_fp_denorm_src 0
		.amdhsa_exception_fp_ieee_div_zero 0
		.amdhsa_exception_fp_ieee_overflow 0
		.amdhsa_exception_fp_ieee_underflow 0
		.amdhsa_exception_fp_ieee_inexact 0
		.amdhsa_exception_int_div_zero 0
	.end_amdhsa_kernel
	.section	.text._ZL30rocblas_trmm_outofplace_kernelIfLi32ELi2ELb1ELb1ELb1ELb0EPKfS0_fEv17rocblas_diagonal_iiT6_lPT7_lllS5_lllPT8_llli,"axG",@progbits,_ZL30rocblas_trmm_outofplace_kernelIfLi32ELi2ELb1ELb1ELb1ELb0EPKfS0_fEv17rocblas_diagonal_iiT6_lPT7_lllS5_lllPT8_llli,comdat
.Lfunc_end6:
	.size	_ZL30rocblas_trmm_outofplace_kernelIfLi32ELi2ELb1ELb1ELb1ELb0EPKfS0_fEv17rocblas_diagonal_iiT6_lPT7_lllS5_lllPT8_llli, .Lfunc_end6-_ZL30rocblas_trmm_outofplace_kernelIfLi32ELi2ELb1ELb1ELb1ELb0EPKfS0_fEv17rocblas_diagonal_iiT6_lPT7_lllS5_lllPT8_llli
                                        ; -- End function
	.set _ZL30rocblas_trmm_outofplace_kernelIfLi32ELi2ELb1ELb1ELb1ELb0EPKfS0_fEv17rocblas_diagonal_iiT6_lPT7_lllS5_lllPT8_llli.num_vgpr, 92
	.set _ZL30rocblas_trmm_outofplace_kernelIfLi32ELi2ELb1ELb1ELb1ELb0EPKfS0_fEv17rocblas_diagonal_iiT6_lPT7_lllS5_lllPT8_llli.num_agpr, 0
	.set _ZL30rocblas_trmm_outofplace_kernelIfLi32ELi2ELb1ELb1ELb1ELb0EPKfS0_fEv17rocblas_diagonal_iiT6_lPT7_lllS5_lllPT8_llli.numbered_sgpr, 53
	.set _ZL30rocblas_trmm_outofplace_kernelIfLi32ELi2ELb1ELb1ELb1ELb0EPKfS0_fEv17rocblas_diagonal_iiT6_lPT7_lllS5_lllPT8_llli.num_named_barrier, 0
	.set _ZL30rocblas_trmm_outofplace_kernelIfLi32ELi2ELb1ELb1ELb1ELb0EPKfS0_fEv17rocblas_diagonal_iiT6_lPT7_lllS5_lllPT8_llli.private_seg_size, 0
	.set _ZL30rocblas_trmm_outofplace_kernelIfLi32ELi2ELb1ELb1ELb1ELb0EPKfS0_fEv17rocblas_diagonal_iiT6_lPT7_lllS5_lllPT8_llli.uses_vcc, 1
	.set _ZL30rocblas_trmm_outofplace_kernelIfLi32ELi2ELb1ELb1ELb1ELb0EPKfS0_fEv17rocblas_diagonal_iiT6_lPT7_lllS5_lllPT8_llli.uses_flat_scratch, 0
	.set _ZL30rocblas_trmm_outofplace_kernelIfLi32ELi2ELb1ELb1ELb1ELb0EPKfS0_fEv17rocblas_diagonal_iiT6_lPT7_lllS5_lllPT8_llli.has_dyn_sized_stack, 0
	.set _ZL30rocblas_trmm_outofplace_kernelIfLi32ELi2ELb1ELb1ELb1ELb0EPKfS0_fEv17rocblas_diagonal_iiT6_lPT7_lllS5_lllPT8_llli.has_recursion, 0
	.set _ZL30rocblas_trmm_outofplace_kernelIfLi32ELi2ELb1ELb1ELb1ELb0EPKfS0_fEv17rocblas_diagonal_iiT6_lPT7_lllS5_lllPT8_llli.has_indirect_call, 0
	.section	.AMDGPU.csdata,"",@progbits
; Kernel info:
; codeLenInByte = 2924
; TotalNumSgprs: 59
; NumVgprs: 92
; NumAgprs: 0
; TotalNumVgprs: 92
; ScratchSize: 0
; MemoryBound: 0
; FloatMode: 240
; IeeeMode: 1
; LDSByteSize: 8192 bytes/workgroup (compile time only)
; SGPRBlocks: 7
; VGPRBlocks: 11
; NumSGPRsForWavesPerEU: 59
; NumVGPRsForWavesPerEU: 92
; AccumOffset: 92
; Occupancy: 5
; WaveLimiterHint : 0
; COMPUTE_PGM_RSRC2:SCRATCH_EN: 0
; COMPUTE_PGM_RSRC2:USER_SGPR: 2
; COMPUTE_PGM_RSRC2:TRAP_HANDLER: 0
; COMPUTE_PGM_RSRC2:TGID_X_EN: 1
; COMPUTE_PGM_RSRC2:TGID_Y_EN: 1
; COMPUTE_PGM_RSRC2:TGID_Z_EN: 1
; COMPUTE_PGM_RSRC2:TIDIG_COMP_CNT: 1
; COMPUTE_PGM_RSRC3_GFX90A:ACCUM_OFFSET: 22
; COMPUTE_PGM_RSRC3_GFX90A:TG_SPLIT: 0
	.section	.text._ZL30rocblas_trmm_outofplace_kernelIfLi32ELi2ELb1ELb1ELb1ELb0EfKffEv17rocblas_diagonal_iiT6_lPT7_lllS4_lllPT8_llli,"axG",@progbits,_ZL30rocblas_trmm_outofplace_kernelIfLi32ELi2ELb1ELb1ELb1ELb0EfKffEv17rocblas_diagonal_iiT6_lPT7_lllS4_lllPT8_llli,comdat
	.globl	_ZL30rocblas_trmm_outofplace_kernelIfLi32ELi2ELb1ELb1ELb1ELb0EfKffEv17rocblas_diagonal_iiT6_lPT7_lllS4_lllPT8_llli ; -- Begin function _ZL30rocblas_trmm_outofplace_kernelIfLi32ELi2ELb1ELb1ELb1ELb0EfKffEv17rocblas_diagonal_iiT6_lPT7_lllS4_lllPT8_llli
	.p2align	8
	.type	_ZL30rocblas_trmm_outofplace_kernelIfLi32ELi2ELb1ELb1ELb1ELb0EfKffEv17rocblas_diagonal_iiT6_lPT7_lllS4_lllPT8_llli,@function
_ZL30rocblas_trmm_outofplace_kernelIfLi32ELi2ELb1ELb1ELb1ELb0EfKffEv17rocblas_diagonal_iiT6_lPT7_lllS4_lllPT8_llli: ; @_ZL30rocblas_trmm_outofplace_kernelIfLi32ELi2ELb1ELb1ELb1ELb0EfKffEv17rocblas_diagonal_iiT6_lPT7_lllS4_lllPT8_llli
; %bb.0:
	s_load_dwordx4 s[24:27], s[0:1], 0x0
	s_waitcnt lgkmcnt(0)
	v_cmp_eq_f32_e64 s[6:7], s27, 0
	s_and_b64 vcc, exec, s[6:7]
	s_cbranch_vccnz .LBB7_51
; %bb.1:
	s_add_i32 s5, s26, -1
	s_ashr_i32 s6, s5, 31
	s_lshr_b32 s6, s6, 27
	s_add_i32 s5, s5, s6
	s_ashr_i32 s33, s5, 5
	s_cmp_gt_i32 s3, s33
	s_cbranch_scc1 .LBB7_51
; %bb.2:
	s_load_dwordx16 s[36:51], s[0:1], 0x18
	s_load_dwordx8 s[16:23], s[0:1], 0x58
	v_and_b32_e32 v14, 0x3ff, v0
	v_bfe_u32 v12, v0, 10, 10
	s_load_dword s54, s[0:1], 0x84
	s_waitcnt lgkmcnt(0)
	s_mul_i32 s5, s43, s4
	s_mul_hi_u32 s7, s42, s4
	s_mul_i32 s6, s42, s4
	s_add_i32 s7, s7, s5
	s_lshl_b64 s[8:9], s[6:7], 2
	s_add_u32 s5, s36, s8
	s_addc_u32 s7, s37, s9
	s_lshl_b64 s[10:11], s[38:39], 2
	s_add_u32 s6, s5, s10
	s_mul_i32 s5, s23, s4
	s_mul_hi_u32 s12, s22, s4
	s_addc_u32 s7, s7, s11
	s_add_i32 s13, s12, s5
	s_mul_i32 s12, s22, s4
	s_lshl_b64 s[12:13], s[12:13], 2
	s_add_u32 s5, s16, s12
	s_addc_u32 s14, s17, s13
	s_lshl_b64 s[12:13], s[18:19], 2
	s_add_u32 s22, s5, s12
	s_addc_u32 s23, s14, s13
	s_lshl_b32 s52, s2, 5
	v_add_u32_e32 v16, s52, v14
	v_mad_u64_u32 v[0:1], s[12:13], s40, v16, 0
	s_cmp_gt_i32 s2, -1
	s_cselect_b64 s[12:13], -1, 0
	s_cmpk_eq_i32 s24, 0x84
	s_cselect_b64 s[28:29], -1, 0
	s_ashr_i32 s31, s25, 31
	s_ashr_i32 s2, s26, 31
	s_add_u32 s34, s25, -16
	s_mul_i32 s5, s51, s4
	s_mul_hi_u32 s14, s50, s4
	s_addc_u32 s35, s31, -1
	s_add_i32 s5, s14, s5
	s_mul_i32 s4, s50, s4
	s_lshl_b64 s[4:5], s[4:5], 2
	s_lshl_b64 s[14:15], s[46:47], 2
	v_ashrrev_i32_e32 v17, 31, v16
	s_add_u32 s4, s4, s14
	v_mul_lo_u32 v2, s40, v17
	v_mul_lo_u32 v3, s41, v16
	s_addc_u32 s5, s5, s15
	v_mov_b32_e32 v13, 0
	v_add3_u32 v1, v1, v2, v3
	v_add_u32_e32 v24, 16, v16
	s_add_u32 s4, s44, s4
	v_lshl_add_u64 v[0:1], v[0:1], 2, s[6:7]
	s_mov_b32 s30, s25
	v_lshlrev_b32_e32 v20, 2, v14
	v_cmp_le_i32_e64 s[0:1], s25, v16
	v_cmp_gt_i32_e64 s[18:19], s25, v16
	v_cmp_gt_i32_e64 s[6:7], s25, v24
	v_mov_b32_e32 v21, v13
	s_addc_u32 s5, s45, s5
	s_lshl_b64 s[24:25], s[48:49], 2
	s_lshl_b32 s44, s54, 5
	v_lshlrev_b32_e32 v2, 2, v12
	v_mov_b32_e32 v3, v13
	v_lshl_add_u64 v[32:33], s[4:5], 0, v[20:21]
	s_add_u32 s4, s10, s8
	v_lshl_add_u64 v[18:19], v[0:1], 0, v[2:3]
	v_lshlrev_b32_e32 v0, 7, v12
	s_addc_u32 s5, s11, s9
	v_add_u32_e32 v41, v20, v0
	v_add_u32_e32 v50, 0x1000, v0
	v_lshl_add_u64 v[0:1], v[16:17], 2, 64
	v_mov_b64_e32 v[4:5], s[4:5]
	v_mul_lo_u32 v6, s40, v1
	v_mul_lo_u32 v7, s41, v0
	v_mad_u64_u32 v[0:1], s[4:5], s40, v0, v[4:5]
	v_add3_u32 v1, v7, v1, v6
	v_sub_co_u32_e32 v26, vcc, v16, v12
	v_lshl_add_u64 v[0:1], v[0:1], 0, v[2:3]
	v_lshl_add_u64 v[22:23], v[16:17], 0, 16
	v_subbrev_co_u32_e32 v27, vcc, 0, v17, vcc
	v_lshl_add_u64 v[38:39], s[36:37], 0, v[0:1]
	v_cndmask_b32_e64 v0, 0, 1, s[12:13]
	v_mov_b32_e32 v15, v13
	s_mov_b32 s53, s26
	v_add_u32_e32 v51, v50, v20
	v_cmp_le_i64_e64 s[16:17], s[30:31], v[22:23]
	v_ashrrev_i32_e32 v25, 31, v24
	v_lshl_add_u64 v[28:29], v[26:27], 0, 16
	v_lshl_add_u64 v[30:31], v[26:27], 0, -16
	v_lshl_add_u64 v[34:35], v[32:33], 0, 64
	v_lshl_add_u32 v36, s3, 5, v12
	v_mov_b32_e32 v52, 1.0
	v_cmp_ne_u32_e64 s[8:9], 1, v0
	v_add_u32_e32 v53, 0x400, v20
	v_add_u32_e32 v54, 0x800, v20
	;; [unrolled: 1-line block ×3, first 2 shown]
	s_branch .LBB7_4
.LBB7_3:                                ;   in Loop: Header=BB7_4 Depth=1
	s_or_b64 exec, exec, s[4:5]
	s_add_i32 s3, s54, s3
	s_cmp_le_i32 s3, s33
	v_add_u32_e32 v36, s44, v36
	s_cbranch_scc0 .LBB7_51
.LBB7_4:                                ; =>This Loop Header: Depth=1
                                        ;     Child Loop BB7_7 Depth 2
	v_lshl_add_u32 v40, s3, 5, v12
	v_ashrrev_i32_e32 v21, 31, v40
	s_and_b64 vcc, exec, s[8:9]
	v_mov_b32_e32 v49, 0
	v_mov_b32_e32 v48, 0
	;; [unrolled: 1-line block ×4, first 2 shown]
	s_cbranch_vccnz .LBB7_43
; %bb.5:                                ;   in Loop: Header=BB7_4 Depth=1
	v_ashrrev_i32_e32 v37, 31, v36
	v_mad_u64_u32 v[42:43], s[4:5], s24, v36, v[34:35]
	v_mul_lo_u32 v0, s25, v36
	v_mul_lo_u32 v1, s24, v37
	v_add3_u32 v43, v0, v43, v1
	v_lshl_add_u64 v[0:1], v[36:37], 2, 64
	v_mul_lo_u32 v1, s48, v1
	v_mul_lo_u32 v2, s49, v0
	v_mad_u64_u32 v[44:45], s[4:5], s48, v0, v[32:33]
	v_add3_u32 v45, v2, v45, v1
	v_mov_b32_e32 v1, s2
	v_sub_co_u32_e32 v0, vcc, s53, v40
	v_mov_b32_e32 v46, 0
	s_nop 0
	v_subb_co_u32_e32 v1, vcc, v1, v21, vcc
	s_mov_b64 s[36:37], 0
	v_cmp_lt_i64_e32 vcc, 0, v[0:1]
	v_cmp_lt_i64_e64 s[10:11], 16, v[0:1]
	s_mov_b64 s[38:39], 0
	v_mov_b32_e32 v47, v46
	v_mov_b32_e32 v48, v46
	v_mov_b32_e32 v49, v46
	s_branch .LBB7_7
.LBB7_6:                                ;   in Loop: Header=BB7_7 Depth=2
	s_or_b64 exec, exec, s[4:5]
	s_waitcnt lgkmcnt(0)
	s_barrier
	ds_read_b128 v[56:59], v50
	ds_read_b128 v[60:63], v50 offset:16
	ds_read_b128 v[4:7], v50 offset:32
	;; [unrolled: 1-line block ×3, first 2 shown]
	ds_read2_b32 v[72:73], v20 offset1:16
	ds_read2_b32 v[74:75], v20 offset0:32 offset1:48
	ds_read2_b32 v[76:77], v20 offset0:64 offset1:80
	;; [unrolled: 1-line block ×4, first 2 shown]
	ds_read_b128 v[64:67], v50 offset:2048
	ds_read_b128 v[68:71], v50 offset:2064
	ds_read2_b32 v[82:83], v20 offset0:160 offset1:176
	ds_read2_b32 v[84:85], v20 offset0:192 offset1:208
	;; [unrolled: 1-line block ×3, first 2 shown]
	ds_read2_b32 v[88:89], v53 offset1:16
	ds_read_b128 v[8:11], v50 offset:2080
	ds_read2_b32 v[90:91], v53 offset0:32 offset1:48
	s_waitcnt lgkmcnt(12)
	v_pk_fma_f32 v[48:49], v[72:73], v[56:57], v[48:49] op_sel_hi:[1,0,1]
	s_waitcnt lgkmcnt(7)
	v_pk_fma_f32 v[46:47], v[72:73], v[64:65], v[46:47] op_sel_hi:[1,0,1]
	v_pk_fma_f32 v[48:49], v[74:75], v[56:57], v[48:49] op_sel:[0,1,0]
	v_mov_b32_e32 v56, v59
	v_pk_fma_f32 v[48:49], v[76:77], v[58:59], v[48:49] op_sel_hi:[1,0,1]
	v_pk_fma_f32 v[46:47], v[74:75], v[64:65], v[46:47] op_sel:[0,1,0]
	v_pk_fma_f32 v[48:49], v[78:79], v[56:57], v[48:49] op_sel_hi:[1,0,1]
	v_mov_b32_e32 v56, v63
	v_pk_fma_f32 v[48:49], v[80:81], v[60:61], v[48:49] op_sel_hi:[1,0,1]
	v_pk_fma_f32 v[46:47], v[76:77], v[66:67], v[46:47] op_sel_hi:[1,0,1]
	s_waitcnt lgkmcnt(5)
	v_pk_fma_f32 v[48:49], v[82:83], v[60:61], v[48:49] op_sel:[0,1,0]
	s_add_u32 s38, s38, 32
	s_waitcnt lgkmcnt(4)
	v_pk_fma_f32 v[48:49], v[84:85], v[62:63], v[48:49] op_sel_hi:[1,0,1]
	s_addc_u32 s39, s39, 0
	s_waitcnt lgkmcnt(3)
	v_pk_fma_f32 v[48:49], v[86:87], v[56:57], v[48:49] op_sel_hi:[1,0,1]
	s_sub_i32 s4, s38, 32
	s_waitcnt lgkmcnt(2)
	v_pk_fma_f32 v[48:49], v[88:89], v[4:5], v[48:49] op_sel_hi:[1,0,1]
	s_add_u32 s36, s36, 0x80
	s_waitcnt lgkmcnt(0)
	v_pk_fma_f32 v[4:5], v[90:91], v[4:5], v[48:49] op_sel:[0,1,0]
	v_mov_b32_e32 v48, v67
	v_pk_fma_f32 v[46:47], v[78:79], v[48:49], v[46:47] op_sel_hi:[1,0,1]
	v_mov_b32_e32 v48, v71
	v_pk_fma_f32 v[46:47], v[80:81], v[68:69], v[46:47] op_sel_hi:[1,0,1]
	s_addc_u32 s37, s37, 0
	v_pk_fma_f32 v[46:47], v[82:83], v[68:69], v[46:47] op_sel:[0,1,0]
	s_cmp_ge_i32 s4, s52
	v_pk_fma_f32 v[46:47], v[84:85], v[70:71], v[46:47] op_sel_hi:[1,0,1]
	s_nop 0
	v_pk_fma_f32 v[56:57], v[86:87], v[48:49], v[46:47] op_sel_hi:[1,0,1]
	ds_read_b128 v[46:49], v50 offset:2096
	v_pk_fma_f32 v[56:57], v[88:89], v[8:9], v[56:57] op_sel_hi:[1,0,1]
	s_nop 0
	v_pk_fma_f32 v[8:9], v[90:91], v[8:9], v[56:57] op_sel:[0,1,0]
	ds_read2_b32 v[64:65], v53 offset0:64 offset1:80
	ds_read2_b32 v[66:67], v53 offset0:96 offset1:112
	;; [unrolled: 1-line block ×6, first 2 shown]
	ds_read2_b32 v[76:77], v54 offset1:16
	ds_read2_b32 v[78:79], v54 offset0:32 offset1:48
	ds_read2_b32 v[80:81], v54 offset0:64 offset1:80
	;; [unrolled: 1-line block ×3, first 2 shown]
	ds_read_b128 v[56:59], v50 offset:64
	ds_read_b128 v[60:63], v50 offset:80
	ds_read2_b32 v[84:85], v54 offset0:128 offset1:144
	s_waitcnt lgkmcnt(12)
	v_pk_fma_f32 v[4:5], v[64:65], v[6:7], v[4:5] op_sel_hi:[1,0,1]
	v_mov_b32_e32 v6, v7
	s_waitcnt lgkmcnt(11)
	v_pk_fma_f32 v[4:5], v[66:67], v[6:7], v[4:5] op_sel_hi:[1,0,1]
	v_pk_fma_f32 v[8:9], v[64:65], v[10:11], v[8:9] op_sel_hi:[1,0,1]
	s_waitcnt lgkmcnt(10)
	v_pk_fma_f32 v[4:5], v[68:69], v[0:1], v[4:5] op_sel_hi:[1,0,1]
	v_mov_b32_e32 v10, v11
	s_waitcnt lgkmcnt(9)
	v_pk_fma_f32 v[0:1], v[70:71], v[0:1], v[4:5] op_sel:[0,1,0]
	v_pk_fma_f32 v[8:9], v[66:67], v[10:11], v[8:9] op_sel_hi:[1,0,1]
	s_waitcnt lgkmcnt(8)
	v_pk_fma_f32 v[0:1], v[72:73], v[2:3], v[0:1] op_sel_hi:[1,0,1]
	v_mov_b32_e32 v2, v3
	s_waitcnt lgkmcnt(7)
	v_pk_fma_f32 v[0:1], v[74:75], v[2:3], v[0:1] op_sel_hi:[1,0,1]
	s_waitcnt lgkmcnt(2)
	v_mov_b32_e32 v2, v59
	v_pk_fma_f32 v[0:1], v[76:77], v[56:57], v[0:1] op_sel_hi:[1,0,1]
	v_pk_fma_f32 v[8:9], v[68:69], v[46:47], v[8:9] op_sel_hi:[1,0,1]
	v_pk_fma_f32 v[0:1], v[78:79], v[56:57], v[0:1] op_sel:[0,1,0]
	v_pk_fma_f32 v[8:9], v[70:71], v[46:47], v[8:9] op_sel:[0,1,0]
	v_pk_fma_f32 v[0:1], v[80:81], v[58:59], v[0:1] op_sel_hi:[1,0,1]
	v_pk_fma_f32 v[8:9], v[72:73], v[48:49], v[8:9] op_sel_hi:[1,0,1]
	;; [unrolled: 1-line block ×3, first 2 shown]
	v_mov_b32_e32 v10, v49
	s_waitcnt lgkmcnt(0)
	v_pk_fma_f32 v[86:87], v[84:85], v[60:61], v[0:1] op_sel_hi:[1,0,1]
	ds_read_b128 v[0:3], v50 offset:2112
	ds_read_b128 v[4:7], v50 offset:2128
	v_pk_fma_f32 v[8:9], v[74:75], v[10:11], v[8:9] op_sel_hi:[1,0,1]
	s_waitcnt lgkmcnt(1)
	v_pk_fma_f32 v[8:9], v[76:77], v[0:1], v[8:9] op_sel_hi:[1,0,1]
	s_nop 0
	v_pk_fma_f32 v[0:1], v[78:79], v[0:1], v[8:9] op_sel:[0,1,0]
	s_nop 0
	v_pk_fma_f32 v[0:1], v[80:81], v[2:3], v[0:1] op_sel_hi:[1,0,1]
	v_mov_b32_e32 v2, v3
	v_pk_fma_f32 v[0:1], v[82:83], v[2:3], v[0:1] op_sel_hi:[1,0,1]
	s_waitcnt lgkmcnt(0)
	v_pk_fma_f32 v[46:47], v[84:85], v[4:5], v[0:1] op_sel_hi:[1,0,1]
	ds_read2_b32 v[68:69], v54 offset0:160 offset1:176
	ds_read2_b32 v[70:71], v54 offset0:192 offset1:208
	;; [unrolled: 1-line block ×3, first 2 shown]
	ds_read2_b32 v[74:75], v55 offset1:16
	ds_read2_b32 v[76:77], v55 offset0:32 offset1:48
	ds_read2_b32 v[78:79], v55 offset0:64 offset1:80
	;; [unrolled: 1-line block ×3, first 2 shown]
	ds_read_b128 v[0:3], v50 offset:96
	ds_read_b128 v[8:11], v50 offset:112
	ds_read2_b32 v[82:83], v55 offset0:128 offset1:144
	ds_read_b128 v[56:59], v50 offset:2144
	ds_read_b128 v[64:67], v50 offset:2160
	ds_read2_b32 v[84:85], v55 offset0:160 offset1:176
	ds_read2_b32 v[88:89], v55 offset0:192 offset1:208
	;; [unrolled: 1-line block ×3, first 2 shown]
	s_waitcnt lgkmcnt(14)
	v_pk_fma_f32 v[48:49], v[68:69], v[60:61], v[86:87] op_sel:[0,1,0]
	v_mov_b32_e32 v60, v63
	s_waitcnt lgkmcnt(13)
	v_pk_fma_f32 v[48:49], v[70:71], v[62:63], v[48:49] op_sel_hi:[1,0,1]
	s_waitcnt lgkmcnt(0)
	v_pk_fma_f32 v[48:49], v[72:73], v[60:61], v[48:49] op_sel_hi:[1,0,1]
	s_barrier
	v_pk_fma_f32 v[48:49], v[74:75], v[0:1], v[48:49] op_sel_hi:[1,0,1]
	s_nop 0
	v_pk_fma_f32 v[0:1], v[76:77], v[0:1], v[48:49] op_sel:[0,1,0]
	s_nop 0
	v_pk_fma_f32 v[0:1], v[78:79], v[2:3], v[0:1] op_sel_hi:[1,0,1]
	v_mov_b32_e32 v2, v3
	v_pk_fma_f32 v[0:1], v[80:81], v[2:3], v[0:1] op_sel_hi:[1,0,1]
	v_mov_b32_e32 v2, v11
	v_pk_fma_f32 v[0:1], v[82:83], v[8:9], v[0:1] op_sel_hi:[1,0,1]
	s_nop 0
	v_pk_fma_f32 v[0:1], v[84:85], v[8:9], v[0:1] op_sel:[0,1,0]
	s_nop 0
	v_pk_fma_f32 v[0:1], v[88:89], v[10:11], v[0:1] op_sel_hi:[1,0,1]
	s_nop 0
	v_pk_fma_f32 v[48:49], v[90:91], v[2:3], v[0:1] op_sel_hi:[1,0,1]
	v_pk_fma_f32 v[0:1], v[68:69], v[4:5], v[46:47] op_sel:[0,1,0]
	v_mov_b32_e32 v2, v7
	v_pk_fma_f32 v[0:1], v[70:71], v[6:7], v[0:1] op_sel_hi:[1,0,1]
	s_nop 0
	v_pk_fma_f32 v[0:1], v[72:73], v[2:3], v[0:1] op_sel_hi:[1,0,1]
	v_mov_b32_e32 v2, v59
	v_pk_fma_f32 v[0:1], v[74:75], v[56:57], v[0:1] op_sel_hi:[1,0,1]
	s_nop 0
	v_pk_fma_f32 v[0:1], v[76:77], v[56:57], v[0:1] op_sel:[0,1,0]
	s_nop 0
	v_pk_fma_f32 v[0:1], v[78:79], v[58:59], v[0:1] op_sel_hi:[1,0,1]
	s_nop 0
	v_pk_fma_f32 v[0:1], v[80:81], v[2:3], v[0:1] op_sel_hi:[1,0,1]
	v_mov_b32_e32 v2, v67
	v_pk_fma_f32 v[0:1], v[82:83], v[64:65], v[0:1] op_sel_hi:[1,0,1]
	s_nop 0
	v_pk_fma_f32 v[0:1], v[84:85], v[64:65], v[0:1] op_sel:[0,1,0]
	s_nop 0
	v_pk_fma_f32 v[0:1], v[88:89], v[66:67], v[0:1] op_sel_hi:[1,0,1]
	s_nop 0
	v_pk_fma_f32 v[46:47], v[90:91], v[2:3], v[0:1] op_sel_hi:[1,0,1]
	s_cbranch_scc1 .LBB7_43
.LBB7_7:                                ;   Parent Loop BB7_4 Depth=1
                                        ; =>  This Inner Loop Header: Depth=2
	v_lshl_add_u64 v[4:5], v[12:13], 0, s[38:39]
	v_cmp_le_i64_e64 s[14:15], s[30:31], v[4:5]
	v_cmp_eq_u64_e64 s[4:5], s[38:39], v[26:27]
	v_cmp_gt_i64_e64 s[12:13], v[4:5], v[16:17]
	s_and_b64 s[40:41], s[28:29], s[4:5]
	s_or_b64 s[4:5], s[14:15], s[12:13]
	s_or_b64 s[4:5], s[4:5], s[40:41]
	v_lshl_add_u64 v[0:1], v[18:19], 0, s[36:37]
	s_nor_b64 s[4:5], s[0:1], s[4:5]
                                        ; implicit-def: $vgpr2
	s_and_saveexec_b64 s[42:43], s[4:5]
	s_xor_b64 s[4:5], exec, s[42:43]
	s_cbranch_execz .LBB7_9
; %bb.8:                                ;   in Loop: Header=BB7_7 Depth=2
	global_load_dword v2, v[0:1], off
.LBB7_9:                                ;   in Loop: Header=BB7_7 Depth=2
	s_andn2_saveexec_b64 s[4:5], s[4:5]
	s_cbranch_execz .LBB7_11
; %bb.10:                               ;   in Loop: Header=BB7_7 Depth=2
	s_waitcnt vmcnt(0)
	v_cndmask_b32_e64 v2, 0, 1.0, s[40:41]
.LBB7_11:                               ;   in Loop: Header=BB7_7 Depth=2
	s_or_b64 exec, exec, s[4:5]
	v_cmp_eq_u64_e64 s[4:5], s[38:39], v[28:29]
	s_and_b64 s[42:43], s[28:29], s[4:5]
	v_cmp_lt_i64_e64 s[4:5], v[22:23], v[4:5]
	s_or_b64 s[4:5], s[14:15], s[4:5]
	s_or_b64 s[4:5], s[4:5], s[42:43]
	s_waitcnt vmcnt(0)
	ds_write_b32 v41, v2
	s_nor_b64 s[4:5], s[16:17], s[4:5]
	v_lshl_add_u64 v[2:3], v[38:39], 0, s[36:37]
	s_and_saveexec_b64 s[14:15], s[4:5]
	s_xor_b64 s[4:5], exec, s[14:15]
	s_cbranch_execz .LBB7_13
; %bb.12:                               ;   in Loop: Header=BB7_7 Depth=2
	global_load_dword v6, v[2:3], off
	s_waitcnt vmcnt(0)
	ds_write_b32 v41, v6 offset:64
.LBB7_13:                               ;   in Loop: Header=BB7_7 Depth=2
	s_andn2_saveexec_b64 s[4:5], s[4:5]
	s_cbranch_execz .LBB7_19
; %bb.14:                               ;   in Loop: Header=BB7_7 Depth=2
	s_xor_b64 s[14:15], s[42:43], -1
	s_and_saveexec_b64 s[42:43], s[14:15]
	s_xor_b64 s[14:15], exec, s[42:43]
; %bb.15:                               ;   in Loop: Header=BB7_7 Depth=2
	ds_write_b32 v41, v13 offset:64
; %bb.16:                               ;   in Loop: Header=BB7_7 Depth=2
	s_andn2_saveexec_b64 s[14:15], s[14:15]
; %bb.17:                               ;   in Loop: Header=BB7_7 Depth=2
	ds_write_b32 v41, v52 offset:64
; %bb.18:                               ;   in Loop: Header=BB7_7 Depth=2
	s_or_b64 exec, exec, s[14:15]
.LBB7_19:                               ;   in Loop: Header=BB7_7 Depth=2
	s_or_b64 exec, exec, s[4:5]
	v_lshl_add_u64 v[4:5], v[4:5], 0, 16
	v_cmp_eq_u64_e64 s[4:5], s[38:39], v[30:31]
	v_cmp_le_i64_e64 s[14:15], s[30:31], v[4:5]
	s_and_b64 s[42:43], s[28:29], s[4:5]
	v_cmp_gt_i64_e64 s[4:5], v[4:5], v[16:17]
	s_or_b64 s[4:5], s[14:15], s[4:5]
	s_or_b64 s[4:5], s[4:5], s[42:43]
	s_nor_b64 s[4:5], s[0:1], s[4:5]
                                        ; implicit-def: $vgpr4
	s_and_saveexec_b64 s[46:47], s[4:5]
	s_xor_b64 s[4:5], exec, s[46:47]
	s_cbranch_execz .LBB7_21
; %bb.20:                               ;   in Loop: Header=BB7_7 Depth=2
	global_load_dword v4, v[0:1], off offset:64
.LBB7_21:                               ;   in Loop: Header=BB7_7 Depth=2
	s_andn2_saveexec_b64 s[4:5], s[4:5]
	s_cbranch_execz .LBB7_23
; %bb.22:                               ;   in Loop: Header=BB7_7 Depth=2
	s_waitcnt vmcnt(0)
	v_cndmask_b32_e64 v4, 0, 1.0, s[42:43]
.LBB7_23:                               ;   in Loop: Header=BB7_7 Depth=2
	s_or_b64 exec, exec, s[4:5]
	s_or_b64 s[4:5], s[14:15], s[12:13]
	s_or_b64 s[4:5], s[4:5], s[40:41]
	s_nor_b64 s[4:5], s[16:17], s[4:5]
	s_waitcnt vmcnt(0)
	ds_write_b32 v41, v4 offset:2048
	s_and_saveexec_b64 s[12:13], s[4:5]
	s_xor_b64 s[4:5], exec, s[12:13]
	s_cbranch_execz .LBB7_25
; %bb.24:                               ;   in Loop: Header=BB7_7 Depth=2
	global_load_dword v0, v[2:3], off offset:64
	s_waitcnt vmcnt(0)
	ds_write_b32 v41, v0 offset:2112
.LBB7_25:                               ;   in Loop: Header=BB7_7 Depth=2
	s_andn2_saveexec_b64 s[4:5], s[4:5]
	s_cbranch_execz .LBB7_31
; %bb.26:                               ;   in Loop: Header=BB7_7 Depth=2
	s_xor_b64 s[12:13], s[40:41], -1
	s_and_saveexec_b64 s[14:15], s[12:13]
	s_xor_b64 s[12:13], exec, s[14:15]
; %bb.27:                               ;   in Loop: Header=BB7_7 Depth=2
	ds_write_b32 v41, v13 offset:2112
; %bb.28:                               ;   in Loop: Header=BB7_7 Depth=2
	s_andn2_saveexec_b64 s[12:13], s[12:13]
; %bb.29:                               ;   in Loop: Header=BB7_7 Depth=2
	ds_write_b32 v41, v52 offset:2112
; %bb.30:                               ;   in Loop: Header=BB7_7 Depth=2
	s_or_b64 exec, exec, s[12:13]
.LBB7_31:                               ;   in Loop: Header=BB7_7 Depth=2
	s_or_b64 exec, exec, s[4:5]
	v_lshl_add_u64 v[2:3], v[14:15], 0, s[38:39]
	v_cmp_gt_i64_e64 s[12:13], s[30:31], v[2:3]
	v_lshl_add_u64 v[0:1], v[42:43], 0, s[36:37]
	s_and_b64 s[14:15], vcc, s[12:13]
	v_mov_b32_e32 v4, 0
	s_and_saveexec_b64 s[4:5], s[14:15]
	s_cbranch_execz .LBB7_33
; %bb.32:                               ;   in Loop: Header=BB7_7 Depth=2
	global_load_dword v4, v[0:1], off offset:-64
.LBB7_33:                               ;   in Loop: Header=BB7_7 Depth=2
	s_or_b64 exec, exec, s[4:5]
	v_cmp_gt_i64_e64 s[14:15], s[34:35], v[2:3]
	s_and_b64 s[4:5], vcc, s[14:15]
	s_xor_b64 s[4:5], s[4:5], -1
	s_waitcnt vmcnt(0)
	ds_write_b32 v51, v4
	s_and_saveexec_b64 s[40:41], s[4:5]
	s_xor_b64 s[4:5], exec, s[40:41]
; %bb.34:                               ;   in Loop: Header=BB7_7 Depth=2
	ds_write_b32 v51, v13 offset:64
                                        ; implicit-def: $vgpr0_vgpr1
; %bb.35:                               ;   in Loop: Header=BB7_7 Depth=2
	s_andn2_saveexec_b64 s[4:5], s[4:5]
	s_cbranch_execz .LBB7_37
; %bb.36:                               ;   in Loop: Header=BB7_7 Depth=2
	global_load_dword v0, v[0:1], off
	s_waitcnt vmcnt(0)
	ds_write_b32 v51, v0 offset:64
.LBB7_37:                               ;   in Loop: Header=BB7_7 Depth=2
	s_or_b64 exec, exec, s[4:5]
	v_lshl_add_u64 v[0:1], v[44:45], 0, s[36:37]
	s_and_b64 s[12:13], s[10:11], s[12:13]
	v_mov_b32_e32 v2, 0
	s_and_saveexec_b64 s[4:5], s[12:13]
	s_cbranch_execz .LBB7_39
; %bb.38:                               ;   in Loop: Header=BB7_7 Depth=2
	global_load_dword v2, v[0:1], off
.LBB7_39:                               ;   in Loop: Header=BB7_7 Depth=2
	s_or_b64 exec, exec, s[4:5]
	s_and_b64 s[4:5], s[10:11], s[14:15]
	s_xor_b64 s[4:5], s[4:5], -1
	s_waitcnt vmcnt(0)
	ds_write_b32 v51, v2 offset:2048
	s_and_saveexec_b64 s[12:13], s[4:5]
	s_xor_b64 s[4:5], exec, s[12:13]
; %bb.40:                               ;   in Loop: Header=BB7_7 Depth=2
	ds_write_b32 v51, v13 offset:2112
                                        ; implicit-def: $vgpr0_vgpr1
; %bb.41:                               ;   in Loop: Header=BB7_7 Depth=2
	s_andn2_saveexec_b64 s[4:5], s[4:5]
	s_cbranch_execz .LBB7_6
; %bb.42:                               ;   in Loop: Header=BB7_7 Depth=2
	global_load_dword v0, v[0:1], off offset:64
	s_waitcnt vmcnt(0)
	ds_write_b32 v51, v0 offset:2112
	s_branch .LBB7_6
.LBB7_43:                               ;   in Loop: Header=BB7_4 Depth=1
	v_mul_lo_u32 v2, s21, v40
	v_mul_lo_u32 v3, s20, v21
	v_mad_u64_u32 v[0:1], s[4:5], s20, v40, 0
	v_cmp_gt_i32_e32 vcc, s26, v40
	v_add3_u32 v1, v1, v3, v2
	v_lshl_add_u64 v[0:1], v[0:1], 2, s[22:23]
	s_and_b64 s[10:11], s[18:19], vcc
	s_and_saveexec_b64 s[4:5], s[10:11]
	s_cbranch_execz .LBB7_45
; %bb.44:                               ;   in Loop: Header=BB7_4 Depth=1
	v_lshl_add_u64 v[2:3], v[16:17], 2, v[0:1]
	global_load_dword v4, v[2:3], off
	s_waitcnt vmcnt(0)
	v_fmac_f32_e32 v4, s27, v48
	global_store_dword v[2:3], v4, off
.LBB7_45:                               ;   in Loop: Header=BB7_4 Depth=1
	s_or_b64 exec, exec, s[4:5]
	s_and_b64 s[10:11], s[6:7], vcc
	s_and_saveexec_b64 s[4:5], s[10:11]
	s_cbranch_execz .LBB7_47
; %bb.46:                               ;   in Loop: Header=BB7_4 Depth=1
	v_lshl_add_u64 v[0:1], v[24:25], 2, v[0:1]
	global_load_dword v2, v[0:1], off
	s_waitcnt vmcnt(0)
	v_fmac_f32_e32 v2, s27, v49
	global_store_dword v[0:1], v2, off
.LBB7_47:                               ;   in Loop: Header=BB7_4 Depth=1
	s_or_b64 exec, exec, s[4:5]
	v_add_u32_e32 v0, 16, v40
	v_ashrrev_i32_e32 v1, 31, v0
	v_cmp_gt_i32_e32 vcc, s26, v0
	v_mul_lo_u32 v2, s20, v1
	v_mul_lo_u32 v3, s21, v0
	v_mad_u64_u32 v[0:1], s[4:5], s20, v0, 0
	v_add3_u32 v1, v1, v2, v3
	v_lshl_add_u64 v[0:1], v[0:1], 2, s[22:23]
	s_and_b64 s[10:11], s[18:19], vcc
	s_and_saveexec_b64 s[4:5], s[10:11]
	s_cbranch_execz .LBB7_49
; %bb.48:                               ;   in Loop: Header=BB7_4 Depth=1
	v_lshl_add_u64 v[2:3], v[16:17], 2, v[0:1]
	global_load_dword v4, v[2:3], off
	s_waitcnt vmcnt(0)
	v_fmac_f32_e32 v4, s27, v46
	global_store_dword v[2:3], v4, off
.LBB7_49:                               ;   in Loop: Header=BB7_4 Depth=1
	s_or_b64 exec, exec, s[4:5]
	s_and_b64 s[10:11], s[6:7], vcc
	s_and_saveexec_b64 s[4:5], s[10:11]
	s_cbranch_execz .LBB7_3
; %bb.50:                               ;   in Loop: Header=BB7_4 Depth=1
	v_lshl_add_u64 v[0:1], v[24:25], 2, v[0:1]
	global_load_dword v2, v[0:1], off
	s_waitcnt vmcnt(0)
	v_fmac_f32_e32 v2, s27, v47
	global_store_dword v[0:1], v2, off
	s_branch .LBB7_3
.LBB7_51:
	s_endpgm
	.section	.rodata,"a",@progbits
	.p2align	6, 0x0
	.amdhsa_kernel _ZL30rocblas_trmm_outofplace_kernelIfLi32ELi2ELb1ELb1ELb1ELb0EfKffEv17rocblas_diagonal_iiT6_lPT7_lllS4_lllPT8_llli
		.amdhsa_group_segment_fixed_size 8192
		.amdhsa_private_segment_fixed_size 0
		.amdhsa_kernarg_size 384
		.amdhsa_user_sgpr_count 2
		.amdhsa_user_sgpr_dispatch_ptr 0
		.amdhsa_user_sgpr_queue_ptr 0
		.amdhsa_user_sgpr_kernarg_segment_ptr 1
		.amdhsa_user_sgpr_dispatch_id 0
		.amdhsa_user_sgpr_kernarg_preload_length 0
		.amdhsa_user_sgpr_kernarg_preload_offset 0
		.amdhsa_user_sgpr_private_segment_size 0
		.amdhsa_uses_dynamic_stack 0
		.amdhsa_enable_private_segment 0
		.amdhsa_system_sgpr_workgroup_id_x 1
		.amdhsa_system_sgpr_workgroup_id_y 1
		.amdhsa_system_sgpr_workgroup_id_z 1
		.amdhsa_system_sgpr_workgroup_info 0
		.amdhsa_system_vgpr_workitem_id 1
		.amdhsa_next_free_vgpr 92
		.amdhsa_next_free_sgpr 55
		.amdhsa_accum_offset 92
		.amdhsa_reserve_vcc 1
		.amdhsa_float_round_mode_32 0
		.amdhsa_float_round_mode_16_64 0
		.amdhsa_float_denorm_mode_32 3
		.amdhsa_float_denorm_mode_16_64 3
		.amdhsa_dx10_clamp 1
		.amdhsa_ieee_mode 1
		.amdhsa_fp16_overflow 0
		.amdhsa_tg_split 0
		.amdhsa_exception_fp_ieee_invalid_op 0
		.amdhsa_exception_fp_denorm_src 0
		.amdhsa_exception_fp_ieee_div_zero 0
		.amdhsa_exception_fp_ieee_overflow 0
		.amdhsa_exception_fp_ieee_underflow 0
		.amdhsa_exception_fp_ieee_inexact 0
		.amdhsa_exception_int_div_zero 0
	.end_amdhsa_kernel
	.section	.text._ZL30rocblas_trmm_outofplace_kernelIfLi32ELi2ELb1ELb1ELb1ELb0EfKffEv17rocblas_diagonal_iiT6_lPT7_lllS4_lllPT8_llli,"axG",@progbits,_ZL30rocblas_trmm_outofplace_kernelIfLi32ELi2ELb1ELb1ELb1ELb0EfKffEv17rocblas_diagonal_iiT6_lPT7_lllS4_lllPT8_llli,comdat
.Lfunc_end7:
	.size	_ZL30rocblas_trmm_outofplace_kernelIfLi32ELi2ELb1ELb1ELb1ELb0EfKffEv17rocblas_diagonal_iiT6_lPT7_lllS4_lllPT8_llli, .Lfunc_end7-_ZL30rocblas_trmm_outofplace_kernelIfLi32ELi2ELb1ELb1ELb1ELb0EfKffEv17rocblas_diagonal_iiT6_lPT7_lllS4_lllPT8_llli
                                        ; -- End function
	.set _ZL30rocblas_trmm_outofplace_kernelIfLi32ELi2ELb1ELb1ELb1ELb0EfKffEv17rocblas_diagonal_iiT6_lPT7_lllS4_lllPT8_llli.num_vgpr, 92
	.set _ZL30rocblas_trmm_outofplace_kernelIfLi32ELi2ELb1ELb1ELb1ELb0EfKffEv17rocblas_diagonal_iiT6_lPT7_lllS4_lllPT8_llli.num_agpr, 0
	.set _ZL30rocblas_trmm_outofplace_kernelIfLi32ELi2ELb1ELb1ELb1ELb0EfKffEv17rocblas_diagonal_iiT6_lPT7_lllS4_lllPT8_llli.numbered_sgpr, 55
	.set _ZL30rocblas_trmm_outofplace_kernelIfLi32ELi2ELb1ELb1ELb1ELb0EfKffEv17rocblas_diagonal_iiT6_lPT7_lllS4_lllPT8_llli.num_named_barrier, 0
	.set _ZL30rocblas_trmm_outofplace_kernelIfLi32ELi2ELb1ELb1ELb1ELb0EfKffEv17rocblas_diagonal_iiT6_lPT7_lllS4_lllPT8_llli.private_seg_size, 0
	.set _ZL30rocblas_trmm_outofplace_kernelIfLi32ELi2ELb1ELb1ELb1ELb0EfKffEv17rocblas_diagonal_iiT6_lPT7_lllS4_lllPT8_llli.uses_vcc, 1
	.set _ZL30rocblas_trmm_outofplace_kernelIfLi32ELi2ELb1ELb1ELb1ELb0EfKffEv17rocblas_diagonal_iiT6_lPT7_lllS4_lllPT8_llli.uses_flat_scratch, 0
	.set _ZL30rocblas_trmm_outofplace_kernelIfLi32ELi2ELb1ELb1ELb1ELb0EfKffEv17rocblas_diagonal_iiT6_lPT7_lllS4_lllPT8_llli.has_dyn_sized_stack, 0
	.set _ZL30rocblas_trmm_outofplace_kernelIfLi32ELi2ELb1ELb1ELb1ELb0EfKffEv17rocblas_diagonal_iiT6_lPT7_lllS4_lllPT8_llli.has_recursion, 0
	.set _ZL30rocblas_trmm_outofplace_kernelIfLi32ELi2ELb1ELb1ELb1ELb0EfKffEv17rocblas_diagonal_iiT6_lPT7_lllS4_lllPT8_llli.has_indirect_call, 0
	.section	.AMDGPU.csdata,"",@progbits
; Kernel info:
; codeLenInByte = 2876
; TotalNumSgprs: 61
; NumVgprs: 92
; NumAgprs: 0
; TotalNumVgprs: 92
; ScratchSize: 0
; MemoryBound: 0
; FloatMode: 240
; IeeeMode: 1
; LDSByteSize: 8192 bytes/workgroup (compile time only)
; SGPRBlocks: 7
; VGPRBlocks: 11
; NumSGPRsForWavesPerEU: 61
; NumVGPRsForWavesPerEU: 92
; AccumOffset: 92
; Occupancy: 5
; WaveLimiterHint : 0
; COMPUTE_PGM_RSRC2:SCRATCH_EN: 0
; COMPUTE_PGM_RSRC2:USER_SGPR: 2
; COMPUTE_PGM_RSRC2:TRAP_HANDLER: 0
; COMPUTE_PGM_RSRC2:TGID_X_EN: 1
; COMPUTE_PGM_RSRC2:TGID_Y_EN: 1
; COMPUTE_PGM_RSRC2:TGID_Z_EN: 1
; COMPUTE_PGM_RSRC2:TIDIG_COMP_CNT: 1
; COMPUTE_PGM_RSRC3_GFX90A:ACCUM_OFFSET: 22
; COMPUTE_PGM_RSRC3_GFX90A:TG_SPLIT: 0
	.section	.text._ZL30rocblas_trmm_outofplace_kernelIfLi32ELi2ELb1ELb0ELb1ELb1EPKfS0_fEv17rocblas_diagonal_iiT6_lPT7_lllS5_lllPT8_llli,"axG",@progbits,_ZL30rocblas_trmm_outofplace_kernelIfLi32ELi2ELb1ELb0ELb1ELb1EPKfS0_fEv17rocblas_diagonal_iiT6_lPT7_lllS5_lllPT8_llli,comdat
	.globl	_ZL30rocblas_trmm_outofplace_kernelIfLi32ELi2ELb1ELb0ELb1ELb1EPKfS0_fEv17rocblas_diagonal_iiT6_lPT7_lllS5_lllPT8_llli ; -- Begin function _ZL30rocblas_trmm_outofplace_kernelIfLi32ELi2ELb1ELb0ELb1ELb1EPKfS0_fEv17rocblas_diagonal_iiT6_lPT7_lllS5_lllPT8_llli
	.p2align	8
	.type	_ZL30rocblas_trmm_outofplace_kernelIfLi32ELi2ELb1ELb0ELb1ELb1EPKfS0_fEv17rocblas_diagonal_iiT6_lPT7_lllS5_lllPT8_llli,@function
_ZL30rocblas_trmm_outofplace_kernelIfLi32ELi2ELb1ELb0ELb1ELb1EPKfS0_fEv17rocblas_diagonal_iiT6_lPT7_lllS5_lllPT8_llli: ; @_ZL30rocblas_trmm_outofplace_kernelIfLi32ELi2ELb1ELb0ELb1ELb1EPKfS0_fEv17rocblas_diagonal_iiT6_lPT7_lllS5_lllPT8_llli
; %bb.0:
	s_load_dwordx16 s[16:31], s[0:1], 0x10
	s_waitcnt lgkmcnt(0)
	s_mul_i32 s5, s19, s4
	s_mul_hi_u32 s6, s18, s4
	s_add_i32 s7, s6, s5
	s_mul_i32 s6, s18, s4
	s_lshl_b64 s[6:7], s[6:7], 2
	s_add_u32 s6, s16, s6
	s_addc_u32 s7, s17, s7
	s_load_dword s33, s[6:7], 0x0
	s_waitcnt lgkmcnt(0)
	v_cmp_eq_f32_e64 s[6:7], s33, 0
	s_and_b64 vcc, exec, s[6:7]
	s_cbranch_vccnz .LBB8_51
; %bb.1:
	s_load_dwordx4 s[44:47], s[0:1], 0x0
	s_waitcnt lgkmcnt(0)
	s_add_i32 s5, s46, -1
	s_ashr_i32 s6, s5, 31
	s_lshr_b32 s6, s6, 27
	s_add_i32 s5, s5, s6
	s_ashr_i32 s47, s5, 5
	s_cmp_gt_i32 s3, s47
	s_cbranch_scc1 .LBB8_51
; %bb.2:
	s_load_dwordx8 s[36:43], s[0:1], 0x50
	s_load_dwordx4 s[48:51], s[0:1], 0x70
	s_mul_i32 s5, s27, s4
	s_mul_hi_u32 s6, s26, s4
	s_add_i32 s7, s6, s5
	s_mul_i32 s6, s26, s4
	s_lshl_b64 s[8:9], s[6:7], 2
	s_add_u32 s5, s20, s8
	s_addc_u32 s7, s21, s9
	s_lshl_b64 s[10:11], s[22:23], 2
	s_add_u32 s6, s5, s10
	s_load_dword s52, s[0:1], 0x8c
	s_waitcnt lgkmcnt(0)
	s_mul_i32 s0, s51, s4
	s_mul_hi_u32 s1, s50, s4
	s_addc_u32 s7, s7, s11
	s_add_i32 s1, s1, s0
	s_mul_i32 s0, s50, s4
	s_lshl_b64 s[0:1], s[0:1], 2
	s_add_u32 s5, s40, s0
	s_addc_u32 s12, s41, s1
	s_lshl_b64 s[0:1], s[42:43], 2
	s_add_u32 s22, s5, s0
	v_bfe_u32 v46, v0, 10, 10
	s_addc_u32 s23, s12, s1
	s_lshl_b32 s2, s2, 5
	v_and_b32_e32 v4, 0x3ff, v0
	v_add_u32_e32 v12, s2, v46
	v_add_u32_e32 v14, s2, v4
	s_sub_i32 s2, s45, s2
	s_cmp_gt_i32 s2, 0
	s_cselect_b64 s[12:13], -1, 0
	s_cmpk_eq_i32 s44, 0x84
	s_cselect_b64 s[26:27], -1, 0
	s_ashr_i32 s35, s45, 31
	s_ashr_i32 s42, s46, 31
	s_add_u32 s40, s45, -16
	s_mul_i32 s5, s39, s4
	s_mul_hi_u32 s14, s38, s4
	v_ashrrev_i32_e32 v15, 31, v14
	s_addc_u32 s41, s35, -1
	s_add_i32 s5, s14, s5
	s_mul_i32 s4, s38, s4
	v_mul_lo_u32 v2, s24, v15
	v_mul_lo_u32 v3, s25, v14
	v_mad_u64_u32 v[0:1], s[0:1], s24, v14, 0
	s_lshl_b64 s[4:5], s[4:5], 2
	s_lshl_b64 s[14:15], s[30:31], 2
	v_ashrrev_i32_e32 v13, 31, v12
	v_add3_u32 v1, v1, v2, v3
	s_add_u32 s4, s4, s14
	v_lshl_add_u64 v[0:1], v[0:1], 2, s[6:7]
	v_lshlrev_b64 v[2:3], 2, v[12:13]
	s_addc_u32 s5, s5, s15
	v_lshl_add_u64 v[16:17], v[0:1], 0, v[2:3]
	v_lshlrev_b32_e32 v0, 7, v46
	v_lshlrev_b32_e32 v47, 2, v4
	s_add_u32 s4, s28, s4
	v_add_u32_e32 v48, v47, v0
	v_add_u32_e32 v49, 0x1000, v0
	v_lshlrev_b64 v[0:1], 2, v[14:15]
	s_addc_u32 s5, s29, s5
	s_lshl_b64 s[28:29], s[36:37], 2
	s_lshl_b32 s43, s52, 5
	v_lshl_add_u64 v[28:29], s[4:5], 0, v[0:1]
	s_add_u32 s4, s10, s8
	s_addc_u32 s5, s11, s9
	v_lshl_add_u64 v[0:1], v[0:1], 0, 64
	v_mov_b64_e32 v[4:5], s[4:5]
	v_mul_lo_u32 v6, s24, v1
	v_mul_lo_u32 v7, s25, v0
	v_mad_u64_u32 v[0:1], s[4:5], s24, v0, v[4:5]
	v_add3_u32 v1, v7, v1, v6
	v_sub_co_u32_e32 v22, vcc, v14, v12
	v_lshl_add_u64 v[0:1], v[0:1], 0, v[2:3]
	s_mov_b32 s34, s45
	v_lshl_add_u64 v[18:19], v[14:15], 0, 16
	v_add_u32_e32 v20, 16, v14
	v_subb_co_u32_e32 v23, vcc, v15, v13, vcc
	v_lshl_add_u64 v[34:35], s[20:21], 0, v[0:1]
	v_cndmask_b32_e64 v0, 0, 1, s[12:13]
	v_add_u32_e32 v50, v49, v47
	v_cmp_le_i32_e64 s[0:1], s45, v14
	v_cmp_le_i64_e64 s[16:17], s[34:35], v[18:19]
	v_cmp_gt_i32_e64 s[18:19], s45, v14
	v_cmp_gt_i32_e64 s[6:7], s45, v20
	v_ashrrev_i32_e32 v21, 31, v20
	v_lshl_add_u64 v[24:25], v[22:23], 0, 16
	v_lshl_add_u64 v[26:27], v[22:23], 0, -16
	v_lshl_add_u64 v[30:31], v[28:29], 0, 64
	v_lshl_add_u32 v32, s3, 5, v46
	v_mov_b32_e32 v51, 0
	v_mov_b32_e32 v52, 1.0
	v_cmp_ne_u32_e64 s[8:9], 1, v0
	v_add_u32_e32 v53, 0x400, v47
	v_add_u32_e32 v54, 0x800, v47
	;; [unrolled: 1-line block ×3, first 2 shown]
	s_branch .LBB8_4
.LBB8_3:                                ;   in Loop: Header=BB8_4 Depth=1
	s_or_b64 exec, exec, s[4:5]
	s_add_i32 s3, s52, s3
	s_cmp_le_i32 s3, s47
	v_add_u32_e32 v32, s43, v32
	s_cbranch_scc0 .LBB8_51
.LBB8_4:                                ; =>This Loop Header: Depth=1
                                        ;     Child Loop BB8_7 Depth 2
	v_lshl_add_u32 v36, s3, 5, v46
	v_ashrrev_i32_e32 v37, 31, v36
	s_and_b64 vcc, exec, s[8:9]
	v_mov_b32_e32 v45, 0
	v_mov_b32_e32 v44, 0
	;; [unrolled: 1-line block ×4, first 2 shown]
	s_cbranch_vccnz .LBB8_43
; %bb.5:                                ;   in Loop: Header=BB8_4 Depth=1
	v_ashrrev_i32_e32 v33, 31, v32
	v_mad_u64_u32 v[38:39], s[4:5], s28, v32, v[30:31]
	v_mul_lo_u32 v0, s29, v32
	v_mul_lo_u32 v1, s28, v33
	v_add3_u32 v39, v0, v39, v1
	v_lshl_add_u64 v[0:1], v[32:33], 2, 64
	v_mul_lo_u32 v1, s36, v1
	v_mul_lo_u32 v2, s37, v0
	v_mad_u64_u32 v[40:41], s[4:5], s36, v0, v[28:29]
	v_add3_u32 v41, v2, v41, v1
	v_mov_b32_e32 v1, s42
	v_sub_co_u32_e32 v0, vcc, s46, v36
	v_mov_b32_e32 v42, 0
	s_nop 0
	v_subb_co_u32_e32 v1, vcc, v1, v37, vcc
	s_mov_b64 s[20:21], 0
	v_cmp_lt_i64_e32 vcc, 0, v[0:1]
	v_cmp_lt_i64_e64 s[10:11], 16, v[0:1]
	s_mov_b64 s[24:25], 0
	v_mov_b32_e32 v43, v42
	v_mov_b32_e32 v44, v42
	;; [unrolled: 1-line block ×3, first 2 shown]
	s_branch .LBB8_7
.LBB8_6:                                ;   in Loop: Header=BB8_7 Depth=2
	s_or_b64 exec, exec, s[4:5]
	s_waitcnt lgkmcnt(0)
	s_barrier
	ds_read_b128 v[56:59], v49
	ds_read_b128 v[60:63], v49 offset:16
	ds_read_b128 v[4:7], v49 offset:32
	;; [unrolled: 1-line block ×3, first 2 shown]
	ds_read2_b32 v[72:73], v47 offset1:16
	ds_read2_b32 v[74:75], v47 offset0:32 offset1:48
	ds_read2_b32 v[76:77], v47 offset0:64 offset1:80
	;; [unrolled: 1-line block ×4, first 2 shown]
	ds_read_b128 v[64:67], v49 offset:2048
	ds_read_b128 v[68:71], v49 offset:2064
	ds_read2_b32 v[82:83], v47 offset0:160 offset1:176
	ds_read2_b32 v[84:85], v47 offset0:192 offset1:208
	ds_read2_b32 v[86:87], v47 offset0:224 offset1:240
	ds_read2_b32 v[88:89], v53 offset1:16
	ds_read_b128 v[8:11], v49 offset:2080
	ds_read2_b32 v[90:91], v53 offset0:32 offset1:48
	s_waitcnt lgkmcnt(12)
	v_pk_fma_f32 v[44:45], v[72:73], v[56:57], v[44:45] op_sel_hi:[1,0,1]
	s_waitcnt lgkmcnt(7)
	v_pk_fma_f32 v[42:43], v[72:73], v[64:65], v[42:43] op_sel_hi:[1,0,1]
	v_pk_fma_f32 v[44:45], v[74:75], v[56:57], v[44:45] op_sel:[0,1,0]
	v_mov_b32_e32 v56, v59
	v_pk_fma_f32 v[44:45], v[76:77], v[58:59], v[44:45] op_sel_hi:[1,0,1]
	v_pk_fma_f32 v[42:43], v[74:75], v[64:65], v[42:43] op_sel:[0,1,0]
	v_pk_fma_f32 v[44:45], v[78:79], v[56:57], v[44:45] op_sel_hi:[1,0,1]
	v_mov_b32_e32 v56, v63
	v_pk_fma_f32 v[44:45], v[80:81], v[60:61], v[44:45] op_sel_hi:[1,0,1]
	v_pk_fma_f32 v[42:43], v[76:77], v[66:67], v[42:43] op_sel_hi:[1,0,1]
	s_waitcnt lgkmcnt(5)
	v_pk_fma_f32 v[44:45], v[82:83], v[60:61], v[44:45] op_sel:[0,1,0]
	s_add_u32 s24, s24, 32
	s_waitcnt lgkmcnt(4)
	v_pk_fma_f32 v[44:45], v[84:85], v[62:63], v[44:45] op_sel_hi:[1,0,1]
	s_addc_u32 s25, s25, 0
	s_waitcnt lgkmcnt(3)
	v_pk_fma_f32 v[44:45], v[86:87], v[56:57], v[44:45] op_sel_hi:[1,0,1]
	s_add_u32 s20, s20, 0x80
	s_waitcnt lgkmcnt(2)
	v_pk_fma_f32 v[44:45], v[88:89], v[4:5], v[44:45] op_sel_hi:[1,0,1]
	s_addc_u32 s21, s21, 0
	s_waitcnt lgkmcnt(0)
	v_pk_fma_f32 v[4:5], v[90:91], v[4:5], v[44:45] op_sel:[0,1,0]
	v_mov_b32_e32 v44, v67
	v_pk_fma_f32 v[42:43], v[78:79], v[44:45], v[42:43] op_sel_hi:[1,0,1]
	v_mov_b32_e32 v44, v71
	v_pk_fma_f32 v[42:43], v[80:81], v[68:69], v[42:43] op_sel_hi:[1,0,1]
	s_cmp_ge_i32 s24, s2
	v_pk_fma_f32 v[42:43], v[82:83], v[68:69], v[42:43] op_sel:[0,1,0]
	s_nop 0
	v_pk_fma_f32 v[42:43], v[84:85], v[70:71], v[42:43] op_sel_hi:[1,0,1]
	s_nop 0
	v_pk_fma_f32 v[56:57], v[86:87], v[44:45], v[42:43] op_sel_hi:[1,0,1]
	ds_read_b128 v[42:45], v49 offset:2096
	v_pk_fma_f32 v[56:57], v[88:89], v[8:9], v[56:57] op_sel_hi:[1,0,1]
	s_nop 0
	v_pk_fma_f32 v[8:9], v[90:91], v[8:9], v[56:57] op_sel:[0,1,0]
	ds_read2_b32 v[64:65], v53 offset0:64 offset1:80
	ds_read2_b32 v[66:67], v53 offset0:96 offset1:112
	;; [unrolled: 1-line block ×6, first 2 shown]
	ds_read2_b32 v[76:77], v54 offset1:16
	ds_read2_b32 v[78:79], v54 offset0:32 offset1:48
	ds_read2_b32 v[80:81], v54 offset0:64 offset1:80
	;; [unrolled: 1-line block ×3, first 2 shown]
	ds_read_b128 v[56:59], v49 offset:64
	ds_read_b128 v[60:63], v49 offset:80
	ds_read2_b32 v[84:85], v54 offset0:128 offset1:144
	s_waitcnt lgkmcnt(12)
	v_pk_fma_f32 v[4:5], v[64:65], v[6:7], v[4:5] op_sel_hi:[1,0,1]
	v_mov_b32_e32 v6, v7
	s_waitcnt lgkmcnt(11)
	v_pk_fma_f32 v[4:5], v[66:67], v[6:7], v[4:5] op_sel_hi:[1,0,1]
	v_pk_fma_f32 v[8:9], v[64:65], v[10:11], v[8:9] op_sel_hi:[1,0,1]
	s_waitcnt lgkmcnt(10)
	v_pk_fma_f32 v[4:5], v[68:69], v[0:1], v[4:5] op_sel_hi:[1,0,1]
	v_mov_b32_e32 v10, v11
	s_waitcnt lgkmcnt(9)
	v_pk_fma_f32 v[0:1], v[70:71], v[0:1], v[4:5] op_sel:[0,1,0]
	v_pk_fma_f32 v[8:9], v[66:67], v[10:11], v[8:9] op_sel_hi:[1,0,1]
	s_waitcnt lgkmcnt(8)
	v_pk_fma_f32 v[0:1], v[72:73], v[2:3], v[0:1] op_sel_hi:[1,0,1]
	v_mov_b32_e32 v2, v3
	s_waitcnt lgkmcnt(7)
	v_pk_fma_f32 v[0:1], v[74:75], v[2:3], v[0:1] op_sel_hi:[1,0,1]
	s_waitcnt lgkmcnt(2)
	v_mov_b32_e32 v2, v59
	v_pk_fma_f32 v[0:1], v[76:77], v[56:57], v[0:1] op_sel_hi:[1,0,1]
	v_pk_fma_f32 v[8:9], v[68:69], v[42:43], v[8:9] op_sel_hi:[1,0,1]
	v_pk_fma_f32 v[0:1], v[78:79], v[56:57], v[0:1] op_sel:[0,1,0]
	v_pk_fma_f32 v[8:9], v[70:71], v[42:43], v[8:9] op_sel:[0,1,0]
	v_pk_fma_f32 v[0:1], v[80:81], v[58:59], v[0:1] op_sel_hi:[1,0,1]
	v_pk_fma_f32 v[8:9], v[72:73], v[44:45], v[8:9] op_sel_hi:[1,0,1]
	;; [unrolled: 1-line block ×3, first 2 shown]
	v_mov_b32_e32 v10, v45
	s_waitcnt lgkmcnt(0)
	v_pk_fma_f32 v[86:87], v[84:85], v[60:61], v[0:1] op_sel_hi:[1,0,1]
	ds_read_b128 v[0:3], v49 offset:2112
	ds_read_b128 v[4:7], v49 offset:2128
	v_pk_fma_f32 v[8:9], v[74:75], v[10:11], v[8:9] op_sel_hi:[1,0,1]
	s_waitcnt lgkmcnt(1)
	v_pk_fma_f32 v[8:9], v[76:77], v[0:1], v[8:9] op_sel_hi:[1,0,1]
	s_nop 0
	v_pk_fma_f32 v[0:1], v[78:79], v[0:1], v[8:9] op_sel:[0,1,0]
	s_nop 0
	v_pk_fma_f32 v[0:1], v[80:81], v[2:3], v[0:1] op_sel_hi:[1,0,1]
	v_mov_b32_e32 v2, v3
	v_pk_fma_f32 v[0:1], v[82:83], v[2:3], v[0:1] op_sel_hi:[1,0,1]
	s_waitcnt lgkmcnt(0)
	v_pk_fma_f32 v[42:43], v[84:85], v[4:5], v[0:1] op_sel_hi:[1,0,1]
	ds_read2_b32 v[68:69], v54 offset0:160 offset1:176
	ds_read2_b32 v[70:71], v54 offset0:192 offset1:208
	;; [unrolled: 1-line block ×3, first 2 shown]
	ds_read2_b32 v[74:75], v55 offset1:16
	ds_read2_b32 v[76:77], v55 offset0:32 offset1:48
	ds_read2_b32 v[78:79], v55 offset0:64 offset1:80
	;; [unrolled: 1-line block ×3, first 2 shown]
	ds_read_b128 v[0:3], v49 offset:96
	ds_read_b128 v[8:11], v49 offset:112
	ds_read2_b32 v[82:83], v55 offset0:128 offset1:144
	ds_read_b128 v[56:59], v49 offset:2144
	ds_read_b128 v[64:67], v49 offset:2160
	ds_read2_b32 v[84:85], v55 offset0:160 offset1:176
	ds_read2_b32 v[88:89], v55 offset0:192 offset1:208
	ds_read2_b32 v[90:91], v55 offset0:224 offset1:240
	s_waitcnt lgkmcnt(14)
	v_pk_fma_f32 v[44:45], v[68:69], v[60:61], v[86:87] op_sel:[0,1,0]
	v_mov_b32_e32 v60, v63
	s_waitcnt lgkmcnt(13)
	v_pk_fma_f32 v[44:45], v[70:71], v[62:63], v[44:45] op_sel_hi:[1,0,1]
	s_waitcnt lgkmcnt(0)
	v_pk_fma_f32 v[44:45], v[72:73], v[60:61], v[44:45] op_sel_hi:[1,0,1]
	s_barrier
	v_pk_fma_f32 v[44:45], v[74:75], v[0:1], v[44:45] op_sel_hi:[1,0,1]
	s_nop 0
	v_pk_fma_f32 v[0:1], v[76:77], v[0:1], v[44:45] op_sel:[0,1,0]
	s_nop 0
	v_pk_fma_f32 v[0:1], v[78:79], v[2:3], v[0:1] op_sel_hi:[1,0,1]
	v_mov_b32_e32 v2, v3
	v_pk_fma_f32 v[0:1], v[80:81], v[2:3], v[0:1] op_sel_hi:[1,0,1]
	v_mov_b32_e32 v2, v11
	v_pk_fma_f32 v[0:1], v[82:83], v[8:9], v[0:1] op_sel_hi:[1,0,1]
	s_nop 0
	v_pk_fma_f32 v[0:1], v[84:85], v[8:9], v[0:1] op_sel:[0,1,0]
	s_nop 0
	v_pk_fma_f32 v[0:1], v[88:89], v[10:11], v[0:1] op_sel_hi:[1,0,1]
	s_nop 0
	v_pk_fma_f32 v[44:45], v[90:91], v[2:3], v[0:1] op_sel_hi:[1,0,1]
	v_pk_fma_f32 v[0:1], v[68:69], v[4:5], v[42:43] op_sel:[0,1,0]
	v_mov_b32_e32 v2, v7
	v_pk_fma_f32 v[0:1], v[70:71], v[6:7], v[0:1] op_sel_hi:[1,0,1]
	s_nop 0
	v_pk_fma_f32 v[0:1], v[72:73], v[2:3], v[0:1] op_sel_hi:[1,0,1]
	v_mov_b32_e32 v2, v59
	v_pk_fma_f32 v[0:1], v[74:75], v[56:57], v[0:1] op_sel_hi:[1,0,1]
	s_nop 0
	v_pk_fma_f32 v[0:1], v[76:77], v[56:57], v[0:1] op_sel:[0,1,0]
	s_nop 0
	v_pk_fma_f32 v[0:1], v[78:79], v[58:59], v[0:1] op_sel_hi:[1,0,1]
	s_nop 0
	v_pk_fma_f32 v[0:1], v[80:81], v[2:3], v[0:1] op_sel_hi:[1,0,1]
	v_mov_b32_e32 v2, v67
	v_pk_fma_f32 v[0:1], v[82:83], v[64:65], v[0:1] op_sel_hi:[1,0,1]
	s_nop 0
	v_pk_fma_f32 v[0:1], v[84:85], v[64:65], v[0:1] op_sel:[0,1,0]
	s_nop 0
	v_pk_fma_f32 v[0:1], v[88:89], v[66:67], v[0:1] op_sel_hi:[1,0,1]
	s_nop 0
	v_pk_fma_f32 v[42:43], v[90:91], v[2:3], v[0:1] op_sel_hi:[1,0,1]
	s_cbranch_scc1 .LBB8_43
.LBB8_7:                                ;   Parent Loop BB8_4 Depth=1
                                        ; =>  This Inner Loop Header: Depth=2
	v_lshl_add_u64 v[4:5], v[12:13], 0, s[24:25]
	v_cmp_le_i64_e64 s[14:15], s[34:35], v[4:5]
	v_cmp_eq_u64_e64 s[4:5], s[24:25], v[22:23]
	v_cmp_lt_i64_e64 s[12:13], v[4:5], v[14:15]
	s_and_b64 s[30:31], s[26:27], s[4:5]
	s_or_b64 s[4:5], s[14:15], s[12:13]
	s_or_b64 s[4:5], s[4:5], s[30:31]
	v_lshl_add_u64 v[0:1], v[16:17], 0, s[20:21]
	s_nor_b64 s[4:5], s[0:1], s[4:5]
                                        ; implicit-def: $vgpr2
	s_and_saveexec_b64 s[38:39], s[4:5]
	s_xor_b64 s[4:5], exec, s[38:39]
	s_cbranch_execz .LBB8_9
; %bb.8:                                ;   in Loop: Header=BB8_7 Depth=2
	global_load_dword v2, v[0:1], off
.LBB8_9:                                ;   in Loop: Header=BB8_7 Depth=2
	s_andn2_saveexec_b64 s[4:5], s[4:5]
	s_cbranch_execz .LBB8_11
; %bb.10:                               ;   in Loop: Header=BB8_7 Depth=2
	s_waitcnt vmcnt(0)
	v_cndmask_b32_e64 v2, 0, 1.0, s[30:31]
.LBB8_11:                               ;   in Loop: Header=BB8_7 Depth=2
	s_or_b64 exec, exec, s[4:5]
	v_cmp_eq_u64_e64 s[4:5], s[24:25], v[24:25]
	s_and_b64 s[38:39], s[26:27], s[4:5]
	v_cmp_gt_i64_e64 s[4:5], v[18:19], v[4:5]
	s_or_b64 s[4:5], s[14:15], s[4:5]
	s_or_b64 s[4:5], s[4:5], s[38:39]
	s_waitcnt vmcnt(0)
	ds_write_b32 v48, v2
	s_nor_b64 s[4:5], s[16:17], s[4:5]
	v_lshl_add_u64 v[2:3], v[34:35], 0, s[20:21]
	s_and_saveexec_b64 s[14:15], s[4:5]
	s_xor_b64 s[4:5], exec, s[14:15]
	s_cbranch_execz .LBB8_13
; %bb.12:                               ;   in Loop: Header=BB8_7 Depth=2
	global_load_dword v6, v[2:3], off
	s_waitcnt vmcnt(0)
	ds_write_b32 v48, v6 offset:64
.LBB8_13:                               ;   in Loop: Header=BB8_7 Depth=2
	s_andn2_saveexec_b64 s[4:5], s[4:5]
	s_cbranch_execz .LBB8_19
; %bb.14:                               ;   in Loop: Header=BB8_7 Depth=2
	s_xor_b64 s[14:15], s[38:39], -1
	s_and_saveexec_b64 s[38:39], s[14:15]
	s_xor_b64 s[14:15], exec, s[38:39]
; %bb.15:                               ;   in Loop: Header=BB8_7 Depth=2
	ds_write_b32 v48, v51 offset:64
; %bb.16:                               ;   in Loop: Header=BB8_7 Depth=2
	s_andn2_saveexec_b64 s[14:15], s[14:15]
; %bb.17:                               ;   in Loop: Header=BB8_7 Depth=2
	ds_write_b32 v48, v52 offset:64
; %bb.18:                               ;   in Loop: Header=BB8_7 Depth=2
	s_or_b64 exec, exec, s[14:15]
.LBB8_19:                               ;   in Loop: Header=BB8_7 Depth=2
	s_or_b64 exec, exec, s[4:5]
	v_lshl_add_u64 v[4:5], v[4:5], 0, 16
	v_cmp_eq_u64_e64 s[4:5], s[24:25], v[26:27]
	v_cmp_le_i64_e64 s[14:15], s[34:35], v[4:5]
	s_and_b64 s[38:39], s[26:27], s[4:5]
	v_cmp_lt_i64_e64 s[4:5], v[4:5], v[14:15]
	s_or_b64 s[4:5], s[14:15], s[4:5]
	s_or_b64 s[4:5], s[4:5], s[38:39]
	s_nor_b64 s[4:5], s[0:1], s[4:5]
                                        ; implicit-def: $vgpr4
	s_and_saveexec_b64 s[44:45], s[4:5]
	s_xor_b64 s[4:5], exec, s[44:45]
	s_cbranch_execz .LBB8_21
; %bb.20:                               ;   in Loop: Header=BB8_7 Depth=2
	global_load_dword v4, v[0:1], off offset:64
.LBB8_21:                               ;   in Loop: Header=BB8_7 Depth=2
	s_andn2_saveexec_b64 s[4:5], s[4:5]
	s_cbranch_execz .LBB8_23
; %bb.22:                               ;   in Loop: Header=BB8_7 Depth=2
	s_waitcnt vmcnt(0)
	v_cndmask_b32_e64 v4, 0, 1.0, s[38:39]
.LBB8_23:                               ;   in Loop: Header=BB8_7 Depth=2
	s_or_b64 exec, exec, s[4:5]
	s_or_b64 s[4:5], s[14:15], s[12:13]
	s_or_b64 s[4:5], s[4:5], s[30:31]
	s_nor_b64 s[4:5], s[16:17], s[4:5]
	s_waitcnt vmcnt(0)
	ds_write_b32 v48, v4 offset:2048
	s_and_saveexec_b64 s[12:13], s[4:5]
	s_xor_b64 s[4:5], exec, s[12:13]
	s_cbranch_execz .LBB8_25
; %bb.24:                               ;   in Loop: Header=BB8_7 Depth=2
	global_load_dword v0, v[2:3], off offset:64
	s_waitcnt vmcnt(0)
	ds_write_b32 v48, v0 offset:2112
.LBB8_25:                               ;   in Loop: Header=BB8_7 Depth=2
	s_andn2_saveexec_b64 s[4:5], s[4:5]
	s_cbranch_execz .LBB8_31
; %bb.26:                               ;   in Loop: Header=BB8_7 Depth=2
	s_xor_b64 s[12:13], s[30:31], -1
	s_and_saveexec_b64 s[14:15], s[12:13]
	s_xor_b64 s[12:13], exec, s[14:15]
; %bb.27:                               ;   in Loop: Header=BB8_7 Depth=2
	ds_write_b32 v48, v51 offset:2112
; %bb.28:                               ;   in Loop: Header=BB8_7 Depth=2
	s_andn2_saveexec_b64 s[12:13], s[12:13]
; %bb.29:                               ;   in Loop: Header=BB8_7 Depth=2
	ds_write_b32 v48, v52 offset:2112
; %bb.30:                               ;   in Loop: Header=BB8_7 Depth=2
	s_or_b64 exec, exec, s[12:13]
.LBB8_31:                               ;   in Loop: Header=BB8_7 Depth=2
	s_or_b64 exec, exec, s[4:5]
	v_lshl_add_u64 v[2:3], v[14:15], 0, s[24:25]
	v_cmp_gt_i64_e64 s[12:13], s[34:35], v[2:3]
	v_lshl_add_u64 v[0:1], v[38:39], 0, s[20:21]
	s_and_b64 s[14:15], vcc, s[12:13]
	v_mov_b32_e32 v4, 0
	s_and_saveexec_b64 s[4:5], s[14:15]
	s_cbranch_execz .LBB8_33
; %bb.32:                               ;   in Loop: Header=BB8_7 Depth=2
	global_load_dword v4, v[0:1], off offset:-64
.LBB8_33:                               ;   in Loop: Header=BB8_7 Depth=2
	s_or_b64 exec, exec, s[4:5]
	v_cmp_gt_i64_e64 s[14:15], s[40:41], v[2:3]
	s_and_b64 s[4:5], vcc, s[14:15]
	s_xor_b64 s[4:5], s[4:5], -1
	s_waitcnt vmcnt(0)
	ds_write_b32 v50, v4
	s_and_saveexec_b64 s[30:31], s[4:5]
	s_xor_b64 s[4:5], exec, s[30:31]
; %bb.34:                               ;   in Loop: Header=BB8_7 Depth=2
	ds_write_b32 v50, v51 offset:64
                                        ; implicit-def: $vgpr0_vgpr1
; %bb.35:                               ;   in Loop: Header=BB8_7 Depth=2
	s_andn2_saveexec_b64 s[4:5], s[4:5]
	s_cbranch_execz .LBB8_37
; %bb.36:                               ;   in Loop: Header=BB8_7 Depth=2
	global_load_dword v0, v[0:1], off
	s_waitcnt vmcnt(0)
	ds_write_b32 v50, v0 offset:64
.LBB8_37:                               ;   in Loop: Header=BB8_7 Depth=2
	s_or_b64 exec, exec, s[4:5]
	v_lshl_add_u64 v[0:1], v[40:41], 0, s[20:21]
	s_and_b64 s[12:13], s[10:11], s[12:13]
	v_mov_b32_e32 v2, 0
	s_and_saveexec_b64 s[4:5], s[12:13]
	s_cbranch_execz .LBB8_39
; %bb.38:                               ;   in Loop: Header=BB8_7 Depth=2
	global_load_dword v2, v[0:1], off
.LBB8_39:                               ;   in Loop: Header=BB8_7 Depth=2
	s_or_b64 exec, exec, s[4:5]
	s_and_b64 s[4:5], s[10:11], s[14:15]
	s_xor_b64 s[4:5], s[4:5], -1
	s_waitcnt vmcnt(0)
	ds_write_b32 v50, v2 offset:2048
	s_and_saveexec_b64 s[12:13], s[4:5]
	s_xor_b64 s[4:5], exec, s[12:13]
; %bb.40:                               ;   in Loop: Header=BB8_7 Depth=2
	ds_write_b32 v50, v51 offset:2112
                                        ; implicit-def: $vgpr0_vgpr1
; %bb.41:                               ;   in Loop: Header=BB8_7 Depth=2
	s_andn2_saveexec_b64 s[4:5], s[4:5]
	s_cbranch_execz .LBB8_6
; %bb.42:                               ;   in Loop: Header=BB8_7 Depth=2
	global_load_dword v0, v[0:1], off offset:64
	s_waitcnt vmcnt(0)
	ds_write_b32 v50, v0 offset:2112
	s_branch .LBB8_6
.LBB8_43:                               ;   in Loop: Header=BB8_4 Depth=1
	v_mul_lo_u32 v2, s49, v36
	v_mul_lo_u32 v3, s48, v37
	v_mad_u64_u32 v[0:1], s[4:5], s48, v36, 0
	v_cmp_gt_i32_e32 vcc, s46, v36
	v_add3_u32 v1, v1, v3, v2
	v_lshl_add_u64 v[0:1], v[0:1], 2, s[22:23]
	s_and_b64 s[10:11], s[18:19], vcc
	s_and_saveexec_b64 s[4:5], s[10:11]
	s_cbranch_execz .LBB8_45
; %bb.44:                               ;   in Loop: Header=BB8_4 Depth=1
	v_lshl_add_u64 v[2:3], v[14:15], 2, v[0:1]
	global_load_dword v4, v[2:3], off
	s_waitcnt vmcnt(0)
	v_fmac_f32_e32 v4, s33, v44
	global_store_dword v[2:3], v4, off
.LBB8_45:                               ;   in Loop: Header=BB8_4 Depth=1
	s_or_b64 exec, exec, s[4:5]
	s_and_b64 s[10:11], s[6:7], vcc
	s_and_saveexec_b64 s[4:5], s[10:11]
	s_cbranch_execz .LBB8_47
; %bb.46:                               ;   in Loop: Header=BB8_4 Depth=1
	v_lshl_add_u64 v[0:1], v[20:21], 2, v[0:1]
	global_load_dword v2, v[0:1], off
	s_waitcnt vmcnt(0)
	v_fmac_f32_e32 v2, s33, v45
	global_store_dword v[0:1], v2, off
.LBB8_47:                               ;   in Loop: Header=BB8_4 Depth=1
	s_or_b64 exec, exec, s[4:5]
	v_add_u32_e32 v0, 16, v36
	v_ashrrev_i32_e32 v1, 31, v0
	v_cmp_gt_i32_e32 vcc, s46, v0
	v_mul_lo_u32 v2, s48, v1
	v_mul_lo_u32 v3, s49, v0
	v_mad_u64_u32 v[0:1], s[4:5], s48, v0, 0
	v_add3_u32 v1, v1, v2, v3
	v_lshl_add_u64 v[0:1], v[0:1], 2, s[22:23]
	s_and_b64 s[10:11], s[18:19], vcc
	s_and_saveexec_b64 s[4:5], s[10:11]
	s_cbranch_execz .LBB8_49
; %bb.48:                               ;   in Loop: Header=BB8_4 Depth=1
	v_lshl_add_u64 v[2:3], v[14:15], 2, v[0:1]
	global_load_dword v4, v[2:3], off
	s_waitcnt vmcnt(0)
	v_fmac_f32_e32 v4, s33, v42
	global_store_dword v[2:3], v4, off
.LBB8_49:                               ;   in Loop: Header=BB8_4 Depth=1
	s_or_b64 exec, exec, s[4:5]
	s_and_b64 s[10:11], s[6:7], vcc
	s_and_saveexec_b64 s[4:5], s[10:11]
	s_cbranch_execz .LBB8_3
; %bb.50:                               ;   in Loop: Header=BB8_4 Depth=1
	v_lshl_add_u64 v[0:1], v[20:21], 2, v[0:1]
	global_load_dword v2, v[0:1], off
	s_waitcnt vmcnt(0)
	v_fmac_f32_e32 v2, s33, v43
	global_store_dword v[0:1], v2, off
	s_branch .LBB8_3
.LBB8_51:
	s_endpgm
	.section	.rodata,"a",@progbits
	.p2align	6, 0x0
	.amdhsa_kernel _ZL30rocblas_trmm_outofplace_kernelIfLi32ELi2ELb1ELb0ELb1ELb1EPKfS0_fEv17rocblas_diagonal_iiT6_lPT7_lllS5_lllPT8_llli
		.amdhsa_group_segment_fixed_size 8192
		.amdhsa_private_segment_fixed_size 0
		.amdhsa_kernarg_size 392
		.amdhsa_user_sgpr_count 2
		.amdhsa_user_sgpr_dispatch_ptr 0
		.amdhsa_user_sgpr_queue_ptr 0
		.amdhsa_user_sgpr_kernarg_segment_ptr 1
		.amdhsa_user_sgpr_dispatch_id 0
		.amdhsa_user_sgpr_kernarg_preload_length 0
		.amdhsa_user_sgpr_kernarg_preload_offset 0
		.amdhsa_user_sgpr_private_segment_size 0
		.amdhsa_uses_dynamic_stack 0
		.amdhsa_enable_private_segment 0
		.amdhsa_system_sgpr_workgroup_id_x 1
		.amdhsa_system_sgpr_workgroup_id_y 1
		.amdhsa_system_sgpr_workgroup_id_z 1
		.amdhsa_system_sgpr_workgroup_info 0
		.amdhsa_system_vgpr_workitem_id 1
		.amdhsa_next_free_vgpr 92
		.amdhsa_next_free_sgpr 53
		.amdhsa_accum_offset 92
		.amdhsa_reserve_vcc 1
		.amdhsa_float_round_mode_32 0
		.amdhsa_float_round_mode_16_64 0
		.amdhsa_float_denorm_mode_32 3
		.amdhsa_float_denorm_mode_16_64 3
		.amdhsa_dx10_clamp 1
		.amdhsa_ieee_mode 1
		.amdhsa_fp16_overflow 0
		.amdhsa_tg_split 0
		.amdhsa_exception_fp_ieee_invalid_op 0
		.amdhsa_exception_fp_denorm_src 0
		.amdhsa_exception_fp_ieee_div_zero 0
		.amdhsa_exception_fp_ieee_overflow 0
		.amdhsa_exception_fp_ieee_underflow 0
		.amdhsa_exception_fp_ieee_inexact 0
		.amdhsa_exception_int_div_zero 0
	.end_amdhsa_kernel
	.section	.text._ZL30rocblas_trmm_outofplace_kernelIfLi32ELi2ELb1ELb0ELb1ELb1EPKfS0_fEv17rocblas_diagonal_iiT6_lPT7_lllS5_lllPT8_llli,"axG",@progbits,_ZL30rocblas_trmm_outofplace_kernelIfLi32ELi2ELb1ELb0ELb1ELb1EPKfS0_fEv17rocblas_diagonal_iiT6_lPT7_lllS5_lllPT8_llli,comdat
.Lfunc_end8:
	.size	_ZL30rocblas_trmm_outofplace_kernelIfLi32ELi2ELb1ELb0ELb1ELb1EPKfS0_fEv17rocblas_diagonal_iiT6_lPT7_lllS5_lllPT8_llli, .Lfunc_end8-_ZL30rocblas_trmm_outofplace_kernelIfLi32ELi2ELb1ELb0ELb1ELb1EPKfS0_fEv17rocblas_diagonal_iiT6_lPT7_lllS5_lllPT8_llli
                                        ; -- End function
	.set _ZL30rocblas_trmm_outofplace_kernelIfLi32ELi2ELb1ELb0ELb1ELb1EPKfS0_fEv17rocblas_diagonal_iiT6_lPT7_lllS5_lllPT8_llli.num_vgpr, 92
	.set _ZL30rocblas_trmm_outofplace_kernelIfLi32ELi2ELb1ELb0ELb1ELb1EPKfS0_fEv17rocblas_diagonal_iiT6_lPT7_lllS5_lllPT8_llli.num_agpr, 0
	.set _ZL30rocblas_trmm_outofplace_kernelIfLi32ELi2ELb1ELb0ELb1ELb1EPKfS0_fEv17rocblas_diagonal_iiT6_lPT7_lllS5_lllPT8_llli.numbered_sgpr, 53
	.set _ZL30rocblas_trmm_outofplace_kernelIfLi32ELi2ELb1ELb0ELb1ELb1EPKfS0_fEv17rocblas_diagonal_iiT6_lPT7_lllS5_lllPT8_llli.num_named_barrier, 0
	.set _ZL30rocblas_trmm_outofplace_kernelIfLi32ELi2ELb1ELb0ELb1ELb1EPKfS0_fEv17rocblas_diagonal_iiT6_lPT7_lllS5_lllPT8_llli.private_seg_size, 0
	.set _ZL30rocblas_trmm_outofplace_kernelIfLi32ELi2ELb1ELb0ELb1ELb1EPKfS0_fEv17rocblas_diagonal_iiT6_lPT7_lllS5_lllPT8_llli.uses_vcc, 1
	.set _ZL30rocblas_trmm_outofplace_kernelIfLi32ELi2ELb1ELb0ELb1ELb1EPKfS0_fEv17rocblas_diagonal_iiT6_lPT7_lllS5_lllPT8_llli.uses_flat_scratch, 0
	.set _ZL30rocblas_trmm_outofplace_kernelIfLi32ELi2ELb1ELb0ELb1ELb1EPKfS0_fEv17rocblas_diagonal_iiT6_lPT7_lllS5_lllPT8_llli.has_dyn_sized_stack, 0
	.set _ZL30rocblas_trmm_outofplace_kernelIfLi32ELi2ELb1ELb0ELb1ELb1EPKfS0_fEv17rocblas_diagonal_iiT6_lPT7_lllS5_lllPT8_llli.has_recursion, 0
	.set _ZL30rocblas_trmm_outofplace_kernelIfLi32ELi2ELb1ELb0ELb1ELb1EPKfS0_fEv17rocblas_diagonal_iiT6_lPT7_lllS5_lllPT8_llli.has_indirect_call, 0
	.section	.AMDGPU.csdata,"",@progbits
; Kernel info:
; codeLenInByte = 2936
; TotalNumSgprs: 59
; NumVgprs: 92
; NumAgprs: 0
; TotalNumVgprs: 92
; ScratchSize: 0
; MemoryBound: 0
; FloatMode: 240
; IeeeMode: 1
; LDSByteSize: 8192 bytes/workgroup (compile time only)
; SGPRBlocks: 7
; VGPRBlocks: 11
; NumSGPRsForWavesPerEU: 59
; NumVGPRsForWavesPerEU: 92
; AccumOffset: 92
; Occupancy: 5
; WaveLimiterHint : 0
; COMPUTE_PGM_RSRC2:SCRATCH_EN: 0
; COMPUTE_PGM_RSRC2:USER_SGPR: 2
; COMPUTE_PGM_RSRC2:TRAP_HANDLER: 0
; COMPUTE_PGM_RSRC2:TGID_X_EN: 1
; COMPUTE_PGM_RSRC2:TGID_Y_EN: 1
; COMPUTE_PGM_RSRC2:TGID_Z_EN: 1
; COMPUTE_PGM_RSRC2:TIDIG_COMP_CNT: 1
; COMPUTE_PGM_RSRC3_GFX90A:ACCUM_OFFSET: 22
; COMPUTE_PGM_RSRC3_GFX90A:TG_SPLIT: 0
	.section	.text._ZL30rocblas_trmm_outofplace_kernelIfLi32ELi2ELb1ELb0ELb1ELb1EfKffEv17rocblas_diagonal_iiT6_lPT7_lllS4_lllPT8_llli,"axG",@progbits,_ZL30rocblas_trmm_outofplace_kernelIfLi32ELi2ELb1ELb0ELb1ELb1EfKffEv17rocblas_diagonal_iiT6_lPT7_lllS4_lllPT8_llli,comdat
	.globl	_ZL30rocblas_trmm_outofplace_kernelIfLi32ELi2ELb1ELb0ELb1ELb1EfKffEv17rocblas_diagonal_iiT6_lPT7_lllS4_lllPT8_llli ; -- Begin function _ZL30rocblas_trmm_outofplace_kernelIfLi32ELi2ELb1ELb0ELb1ELb1EfKffEv17rocblas_diagonal_iiT6_lPT7_lllS4_lllPT8_llli
	.p2align	8
	.type	_ZL30rocblas_trmm_outofplace_kernelIfLi32ELi2ELb1ELb0ELb1ELb1EfKffEv17rocblas_diagonal_iiT6_lPT7_lllS4_lllPT8_llli,@function
_ZL30rocblas_trmm_outofplace_kernelIfLi32ELi2ELb1ELb0ELb1ELb1EfKffEv17rocblas_diagonal_iiT6_lPT7_lllS4_lllPT8_llli: ; @_ZL30rocblas_trmm_outofplace_kernelIfLi32ELi2ELb1ELb0ELb1ELb1EfKffEv17rocblas_diagonal_iiT6_lPT7_lllS4_lllPT8_llli
; %bb.0:
	s_load_dwordx4 s[24:27], s[0:1], 0x0
	s_waitcnt lgkmcnt(0)
	v_cmp_eq_f32_e64 s[6:7], s27, 0
	s_and_b64 vcc, exec, s[6:7]
	s_cbranch_vccnz .LBB9_51
; %bb.1:
	s_add_i32 s5, s26, -1
	s_ashr_i32 s6, s5, 31
	s_lshr_b32 s6, s6, 27
	s_add_i32 s5, s5, s6
	s_ashr_i32 s33, s5, 5
	s_cmp_gt_i32 s3, s33
	s_cbranch_scc1 .LBB9_51
; %bb.2:
	s_load_dwordx16 s[36:51], s[0:1], 0x18
	s_load_dwordx8 s[16:23], s[0:1], 0x58
	v_bfe_u32 v46, v0, 10, 10
	v_and_b32_e32 v4, 0x3ff, v0
	s_load_dword s54, s[0:1], 0x84
	s_waitcnt lgkmcnt(0)
	s_mul_i32 s5, s43, s4
	s_mul_hi_u32 s7, s42, s4
	s_mul_i32 s6, s42, s4
	s_add_i32 s7, s7, s5
	s_lshl_b64 s[8:9], s[6:7], 2
	s_add_u32 s5, s36, s8
	s_addc_u32 s7, s37, s9
	s_lshl_b64 s[10:11], s[38:39], 2
	s_add_u32 s6, s5, s10
	s_mul_i32 s5, s23, s4
	s_mul_hi_u32 s12, s22, s4
	s_addc_u32 s7, s7, s11
	s_add_i32 s13, s12, s5
	s_mul_i32 s12, s22, s4
	s_lshl_b64 s[12:13], s[12:13], 2
	s_add_u32 s5, s16, s12
	s_addc_u32 s14, s17, s13
	s_lshl_b64 s[12:13], s[18:19], 2
	s_add_u32 s22, s5, s12
	s_addc_u32 s23, s14, s13
	s_lshl_b32 s2, s2, 5
	v_add_u32_e32 v12, s2, v46
	v_add_u32_e32 v14, s2, v4
	s_sub_i32 s2, s25, s2
	v_mad_u64_u32 v[0:1], s[12:13], s40, v14, 0
	s_cmp_gt_i32 s2, 0
	s_cselect_b64 s[12:13], -1, 0
	s_cmpk_eq_i32 s24, 0x84
	s_cselect_b64 s[28:29], -1, 0
	s_ashr_i32 s31, s25, 31
	s_ashr_i32 s52, s26, 31
	s_add_u32 s34, s25, -16
	s_mul_i32 s5, s51, s4
	s_mul_hi_u32 s14, s50, s4
	v_ashrrev_i32_e32 v15, 31, v14
	s_addc_u32 s35, s31, -1
	s_add_i32 s5, s14, s5
	s_mul_i32 s4, s50, s4
	v_mul_lo_u32 v2, s40, v15
	v_mul_lo_u32 v3, s41, v14
	s_lshl_b64 s[4:5], s[4:5], 2
	s_lshl_b64 s[14:15], s[46:47], 2
	v_ashrrev_i32_e32 v13, 31, v12
	v_add3_u32 v1, v1, v2, v3
	s_add_u32 s4, s4, s14
	v_lshl_add_u64 v[0:1], v[0:1], 2, s[6:7]
	v_lshlrev_b64 v[2:3], 2, v[12:13]
	s_addc_u32 s5, s5, s15
	v_lshl_add_u64 v[16:17], v[0:1], 0, v[2:3]
	v_lshlrev_b32_e32 v0, 7, v46
	v_lshlrev_b32_e32 v47, 2, v4
	v_add_u32_e32 v20, 16, v14
	s_add_u32 s4, s44, s4
	s_mov_b32 s30, s25
	v_add_u32_e32 v48, v47, v0
	v_add_u32_e32 v49, 0x1000, v0
	v_cmp_le_i32_e64 s[0:1], s25, v14
	v_cmp_gt_i32_e64 s[18:19], s25, v14
	v_cmp_gt_i32_e64 s[6:7], s25, v20
	v_lshlrev_b64 v[0:1], 2, v[14:15]
	s_addc_u32 s5, s45, s5
	s_lshl_b64 s[24:25], s[48:49], 2
	s_lshl_b32 s44, s54, 5
	v_lshl_add_u64 v[28:29], s[4:5], 0, v[0:1]
	s_add_u32 s4, s10, s8
	s_addc_u32 s5, s11, s9
	v_lshl_add_u64 v[0:1], v[0:1], 0, 64
	v_mov_b64_e32 v[4:5], s[4:5]
	v_mul_lo_u32 v6, s40, v1
	v_mul_lo_u32 v7, s41, v0
	v_mad_u64_u32 v[0:1], s[4:5], s40, v0, v[4:5]
	v_add3_u32 v1, v7, v1, v6
	v_sub_co_u32_e32 v22, vcc, v14, v12
	v_lshl_add_u64 v[0:1], v[0:1], 0, v[2:3]
	v_lshl_add_u64 v[18:19], v[14:15], 0, 16
	v_subb_co_u32_e32 v23, vcc, v15, v13, vcc
	v_lshl_add_u64 v[34:35], s[36:37], 0, v[0:1]
	v_cndmask_b32_e64 v0, 0, 1, s[12:13]
	s_mov_b32 s53, s26
	v_add_u32_e32 v50, v49, v47
	v_cmp_le_i64_e64 s[16:17], s[30:31], v[18:19]
	v_ashrrev_i32_e32 v21, 31, v20
	v_lshl_add_u64 v[24:25], v[22:23], 0, 16
	v_lshl_add_u64 v[26:27], v[22:23], 0, -16
	v_lshl_add_u64 v[30:31], v[28:29], 0, 64
	v_lshl_add_u32 v32, s3, 5, v46
	v_mov_b32_e32 v51, 0
	v_mov_b32_e32 v52, 1.0
	v_cmp_ne_u32_e64 s[8:9], 1, v0
	v_add_u32_e32 v53, 0x400, v47
	v_add_u32_e32 v54, 0x800, v47
	;; [unrolled: 1-line block ×3, first 2 shown]
	s_branch .LBB9_4
.LBB9_3:                                ;   in Loop: Header=BB9_4 Depth=1
	s_or_b64 exec, exec, s[4:5]
	s_add_i32 s3, s54, s3
	s_cmp_le_i32 s3, s33
	v_add_u32_e32 v32, s44, v32
	s_cbranch_scc0 .LBB9_51
.LBB9_4:                                ; =>This Loop Header: Depth=1
                                        ;     Child Loop BB9_7 Depth 2
	v_lshl_add_u32 v36, s3, 5, v46
	v_ashrrev_i32_e32 v37, 31, v36
	s_and_b64 vcc, exec, s[8:9]
	v_mov_b32_e32 v45, 0
	v_mov_b32_e32 v44, 0
	v_mov_b32_e32 v43, 0
	v_mov_b32_e32 v42, 0
	s_cbranch_vccnz .LBB9_43
; %bb.5:                                ;   in Loop: Header=BB9_4 Depth=1
	v_ashrrev_i32_e32 v33, 31, v32
	v_mad_u64_u32 v[38:39], s[4:5], s24, v32, v[30:31]
	v_mul_lo_u32 v0, s25, v32
	v_mul_lo_u32 v1, s24, v33
	v_add3_u32 v39, v0, v39, v1
	v_lshl_add_u64 v[0:1], v[32:33], 2, 64
	v_mul_lo_u32 v1, s48, v1
	v_mul_lo_u32 v2, s49, v0
	v_mad_u64_u32 v[40:41], s[4:5], s48, v0, v[28:29]
	v_add3_u32 v41, v2, v41, v1
	v_mov_b32_e32 v1, s52
	v_sub_co_u32_e32 v0, vcc, s53, v36
	v_mov_b32_e32 v42, 0
	s_nop 0
	v_subb_co_u32_e32 v1, vcc, v1, v37, vcc
	s_mov_b64 s[36:37], 0
	v_cmp_lt_i64_e32 vcc, 0, v[0:1]
	v_cmp_lt_i64_e64 s[10:11], 16, v[0:1]
	s_mov_b64 s[38:39], 0
	v_mov_b32_e32 v43, v42
	v_mov_b32_e32 v44, v42
	;; [unrolled: 1-line block ×3, first 2 shown]
	s_branch .LBB9_7
.LBB9_6:                                ;   in Loop: Header=BB9_7 Depth=2
	s_or_b64 exec, exec, s[4:5]
	s_waitcnt lgkmcnt(0)
	s_barrier
	ds_read_b128 v[56:59], v49
	ds_read_b128 v[60:63], v49 offset:16
	ds_read_b128 v[4:7], v49 offset:32
	;; [unrolled: 1-line block ×3, first 2 shown]
	ds_read2_b32 v[72:73], v47 offset1:16
	ds_read2_b32 v[74:75], v47 offset0:32 offset1:48
	ds_read2_b32 v[76:77], v47 offset0:64 offset1:80
	;; [unrolled: 1-line block ×4, first 2 shown]
	ds_read_b128 v[64:67], v49 offset:2048
	ds_read_b128 v[68:71], v49 offset:2064
	ds_read2_b32 v[82:83], v47 offset0:160 offset1:176
	ds_read2_b32 v[84:85], v47 offset0:192 offset1:208
	;; [unrolled: 1-line block ×3, first 2 shown]
	ds_read2_b32 v[88:89], v53 offset1:16
	ds_read_b128 v[8:11], v49 offset:2080
	ds_read2_b32 v[90:91], v53 offset0:32 offset1:48
	s_waitcnt lgkmcnt(12)
	v_pk_fma_f32 v[44:45], v[72:73], v[56:57], v[44:45] op_sel_hi:[1,0,1]
	s_waitcnt lgkmcnt(7)
	v_pk_fma_f32 v[42:43], v[72:73], v[64:65], v[42:43] op_sel_hi:[1,0,1]
	v_pk_fma_f32 v[44:45], v[74:75], v[56:57], v[44:45] op_sel:[0,1,0]
	v_mov_b32_e32 v56, v59
	v_pk_fma_f32 v[44:45], v[76:77], v[58:59], v[44:45] op_sel_hi:[1,0,1]
	v_pk_fma_f32 v[42:43], v[74:75], v[64:65], v[42:43] op_sel:[0,1,0]
	v_pk_fma_f32 v[44:45], v[78:79], v[56:57], v[44:45] op_sel_hi:[1,0,1]
	v_mov_b32_e32 v56, v63
	v_pk_fma_f32 v[44:45], v[80:81], v[60:61], v[44:45] op_sel_hi:[1,0,1]
	v_pk_fma_f32 v[42:43], v[76:77], v[66:67], v[42:43] op_sel_hi:[1,0,1]
	s_waitcnt lgkmcnt(5)
	v_pk_fma_f32 v[44:45], v[82:83], v[60:61], v[44:45] op_sel:[0,1,0]
	s_add_u32 s38, s38, 32
	s_waitcnt lgkmcnt(4)
	v_pk_fma_f32 v[44:45], v[84:85], v[62:63], v[44:45] op_sel_hi:[1,0,1]
	s_addc_u32 s39, s39, 0
	s_waitcnt lgkmcnt(3)
	v_pk_fma_f32 v[44:45], v[86:87], v[56:57], v[44:45] op_sel_hi:[1,0,1]
	s_add_u32 s36, s36, 0x80
	s_waitcnt lgkmcnt(2)
	v_pk_fma_f32 v[44:45], v[88:89], v[4:5], v[44:45] op_sel_hi:[1,0,1]
	s_addc_u32 s37, s37, 0
	s_waitcnt lgkmcnt(0)
	v_pk_fma_f32 v[4:5], v[90:91], v[4:5], v[44:45] op_sel:[0,1,0]
	v_mov_b32_e32 v44, v67
	v_pk_fma_f32 v[42:43], v[78:79], v[44:45], v[42:43] op_sel_hi:[1,0,1]
	v_mov_b32_e32 v44, v71
	v_pk_fma_f32 v[42:43], v[80:81], v[68:69], v[42:43] op_sel_hi:[1,0,1]
	s_cmp_ge_i32 s38, s2
	v_pk_fma_f32 v[42:43], v[82:83], v[68:69], v[42:43] op_sel:[0,1,0]
	s_nop 0
	v_pk_fma_f32 v[42:43], v[84:85], v[70:71], v[42:43] op_sel_hi:[1,0,1]
	s_nop 0
	v_pk_fma_f32 v[56:57], v[86:87], v[44:45], v[42:43] op_sel_hi:[1,0,1]
	ds_read_b128 v[42:45], v49 offset:2096
	v_pk_fma_f32 v[56:57], v[88:89], v[8:9], v[56:57] op_sel_hi:[1,0,1]
	s_nop 0
	v_pk_fma_f32 v[8:9], v[90:91], v[8:9], v[56:57] op_sel:[0,1,0]
	ds_read2_b32 v[64:65], v53 offset0:64 offset1:80
	ds_read2_b32 v[66:67], v53 offset0:96 offset1:112
	;; [unrolled: 1-line block ×6, first 2 shown]
	ds_read2_b32 v[76:77], v54 offset1:16
	ds_read2_b32 v[78:79], v54 offset0:32 offset1:48
	ds_read2_b32 v[80:81], v54 offset0:64 offset1:80
	ds_read2_b32 v[82:83], v54 offset0:96 offset1:112
	ds_read_b128 v[56:59], v49 offset:64
	ds_read_b128 v[60:63], v49 offset:80
	ds_read2_b32 v[84:85], v54 offset0:128 offset1:144
	s_waitcnt lgkmcnt(12)
	v_pk_fma_f32 v[4:5], v[64:65], v[6:7], v[4:5] op_sel_hi:[1,0,1]
	v_mov_b32_e32 v6, v7
	s_waitcnt lgkmcnt(11)
	v_pk_fma_f32 v[4:5], v[66:67], v[6:7], v[4:5] op_sel_hi:[1,0,1]
	v_pk_fma_f32 v[8:9], v[64:65], v[10:11], v[8:9] op_sel_hi:[1,0,1]
	s_waitcnt lgkmcnt(10)
	v_pk_fma_f32 v[4:5], v[68:69], v[0:1], v[4:5] op_sel_hi:[1,0,1]
	v_mov_b32_e32 v10, v11
	s_waitcnt lgkmcnt(9)
	v_pk_fma_f32 v[0:1], v[70:71], v[0:1], v[4:5] op_sel:[0,1,0]
	v_pk_fma_f32 v[8:9], v[66:67], v[10:11], v[8:9] op_sel_hi:[1,0,1]
	s_waitcnt lgkmcnt(8)
	v_pk_fma_f32 v[0:1], v[72:73], v[2:3], v[0:1] op_sel_hi:[1,0,1]
	v_mov_b32_e32 v2, v3
	s_waitcnt lgkmcnt(7)
	v_pk_fma_f32 v[0:1], v[74:75], v[2:3], v[0:1] op_sel_hi:[1,0,1]
	s_waitcnt lgkmcnt(2)
	v_mov_b32_e32 v2, v59
	v_pk_fma_f32 v[0:1], v[76:77], v[56:57], v[0:1] op_sel_hi:[1,0,1]
	v_pk_fma_f32 v[8:9], v[68:69], v[42:43], v[8:9] op_sel_hi:[1,0,1]
	v_pk_fma_f32 v[0:1], v[78:79], v[56:57], v[0:1] op_sel:[0,1,0]
	v_pk_fma_f32 v[8:9], v[70:71], v[42:43], v[8:9] op_sel:[0,1,0]
	v_pk_fma_f32 v[0:1], v[80:81], v[58:59], v[0:1] op_sel_hi:[1,0,1]
	v_pk_fma_f32 v[8:9], v[72:73], v[44:45], v[8:9] op_sel_hi:[1,0,1]
	;; [unrolled: 1-line block ×3, first 2 shown]
	v_mov_b32_e32 v10, v45
	s_waitcnt lgkmcnt(0)
	v_pk_fma_f32 v[86:87], v[84:85], v[60:61], v[0:1] op_sel_hi:[1,0,1]
	ds_read_b128 v[0:3], v49 offset:2112
	ds_read_b128 v[4:7], v49 offset:2128
	v_pk_fma_f32 v[8:9], v[74:75], v[10:11], v[8:9] op_sel_hi:[1,0,1]
	s_waitcnt lgkmcnt(1)
	v_pk_fma_f32 v[8:9], v[76:77], v[0:1], v[8:9] op_sel_hi:[1,0,1]
	s_nop 0
	v_pk_fma_f32 v[0:1], v[78:79], v[0:1], v[8:9] op_sel:[0,1,0]
	s_nop 0
	v_pk_fma_f32 v[0:1], v[80:81], v[2:3], v[0:1] op_sel_hi:[1,0,1]
	v_mov_b32_e32 v2, v3
	v_pk_fma_f32 v[0:1], v[82:83], v[2:3], v[0:1] op_sel_hi:[1,0,1]
	s_waitcnt lgkmcnt(0)
	v_pk_fma_f32 v[42:43], v[84:85], v[4:5], v[0:1] op_sel_hi:[1,0,1]
	ds_read2_b32 v[68:69], v54 offset0:160 offset1:176
	ds_read2_b32 v[70:71], v54 offset0:192 offset1:208
	;; [unrolled: 1-line block ×3, first 2 shown]
	ds_read2_b32 v[74:75], v55 offset1:16
	ds_read2_b32 v[76:77], v55 offset0:32 offset1:48
	ds_read2_b32 v[78:79], v55 offset0:64 offset1:80
	;; [unrolled: 1-line block ×3, first 2 shown]
	ds_read_b128 v[0:3], v49 offset:96
	ds_read_b128 v[8:11], v49 offset:112
	ds_read2_b32 v[82:83], v55 offset0:128 offset1:144
	ds_read_b128 v[56:59], v49 offset:2144
	ds_read_b128 v[64:67], v49 offset:2160
	ds_read2_b32 v[84:85], v55 offset0:160 offset1:176
	ds_read2_b32 v[88:89], v55 offset0:192 offset1:208
	;; [unrolled: 1-line block ×3, first 2 shown]
	s_waitcnt lgkmcnt(14)
	v_pk_fma_f32 v[44:45], v[68:69], v[60:61], v[86:87] op_sel:[0,1,0]
	v_mov_b32_e32 v60, v63
	s_waitcnt lgkmcnt(13)
	v_pk_fma_f32 v[44:45], v[70:71], v[62:63], v[44:45] op_sel_hi:[1,0,1]
	s_waitcnt lgkmcnt(0)
	v_pk_fma_f32 v[44:45], v[72:73], v[60:61], v[44:45] op_sel_hi:[1,0,1]
	s_barrier
	v_pk_fma_f32 v[44:45], v[74:75], v[0:1], v[44:45] op_sel_hi:[1,0,1]
	s_nop 0
	v_pk_fma_f32 v[0:1], v[76:77], v[0:1], v[44:45] op_sel:[0,1,0]
	s_nop 0
	v_pk_fma_f32 v[0:1], v[78:79], v[2:3], v[0:1] op_sel_hi:[1,0,1]
	v_mov_b32_e32 v2, v3
	v_pk_fma_f32 v[0:1], v[80:81], v[2:3], v[0:1] op_sel_hi:[1,0,1]
	v_mov_b32_e32 v2, v11
	v_pk_fma_f32 v[0:1], v[82:83], v[8:9], v[0:1] op_sel_hi:[1,0,1]
	s_nop 0
	v_pk_fma_f32 v[0:1], v[84:85], v[8:9], v[0:1] op_sel:[0,1,0]
	s_nop 0
	v_pk_fma_f32 v[0:1], v[88:89], v[10:11], v[0:1] op_sel_hi:[1,0,1]
	s_nop 0
	v_pk_fma_f32 v[44:45], v[90:91], v[2:3], v[0:1] op_sel_hi:[1,0,1]
	v_pk_fma_f32 v[0:1], v[68:69], v[4:5], v[42:43] op_sel:[0,1,0]
	v_mov_b32_e32 v2, v7
	v_pk_fma_f32 v[0:1], v[70:71], v[6:7], v[0:1] op_sel_hi:[1,0,1]
	s_nop 0
	v_pk_fma_f32 v[0:1], v[72:73], v[2:3], v[0:1] op_sel_hi:[1,0,1]
	v_mov_b32_e32 v2, v59
	v_pk_fma_f32 v[0:1], v[74:75], v[56:57], v[0:1] op_sel_hi:[1,0,1]
	s_nop 0
	v_pk_fma_f32 v[0:1], v[76:77], v[56:57], v[0:1] op_sel:[0,1,0]
	s_nop 0
	v_pk_fma_f32 v[0:1], v[78:79], v[58:59], v[0:1] op_sel_hi:[1,0,1]
	s_nop 0
	v_pk_fma_f32 v[0:1], v[80:81], v[2:3], v[0:1] op_sel_hi:[1,0,1]
	v_mov_b32_e32 v2, v67
	v_pk_fma_f32 v[0:1], v[82:83], v[64:65], v[0:1] op_sel_hi:[1,0,1]
	s_nop 0
	v_pk_fma_f32 v[0:1], v[84:85], v[64:65], v[0:1] op_sel:[0,1,0]
	s_nop 0
	v_pk_fma_f32 v[0:1], v[88:89], v[66:67], v[0:1] op_sel_hi:[1,0,1]
	s_nop 0
	v_pk_fma_f32 v[42:43], v[90:91], v[2:3], v[0:1] op_sel_hi:[1,0,1]
	s_cbranch_scc1 .LBB9_43
.LBB9_7:                                ;   Parent Loop BB9_4 Depth=1
                                        ; =>  This Inner Loop Header: Depth=2
	v_lshl_add_u64 v[4:5], v[12:13], 0, s[38:39]
	v_cmp_le_i64_e64 s[14:15], s[30:31], v[4:5]
	v_cmp_eq_u64_e64 s[4:5], s[38:39], v[22:23]
	v_cmp_lt_i64_e64 s[12:13], v[4:5], v[14:15]
	s_and_b64 s[40:41], s[28:29], s[4:5]
	s_or_b64 s[4:5], s[14:15], s[12:13]
	s_or_b64 s[4:5], s[4:5], s[40:41]
	v_lshl_add_u64 v[0:1], v[16:17], 0, s[36:37]
	s_nor_b64 s[4:5], s[0:1], s[4:5]
                                        ; implicit-def: $vgpr2
	s_and_saveexec_b64 s[42:43], s[4:5]
	s_xor_b64 s[4:5], exec, s[42:43]
	s_cbranch_execz .LBB9_9
; %bb.8:                                ;   in Loop: Header=BB9_7 Depth=2
	global_load_dword v2, v[0:1], off
.LBB9_9:                                ;   in Loop: Header=BB9_7 Depth=2
	s_andn2_saveexec_b64 s[4:5], s[4:5]
	s_cbranch_execz .LBB9_11
; %bb.10:                               ;   in Loop: Header=BB9_7 Depth=2
	s_waitcnt vmcnt(0)
	v_cndmask_b32_e64 v2, 0, 1.0, s[40:41]
.LBB9_11:                               ;   in Loop: Header=BB9_7 Depth=2
	s_or_b64 exec, exec, s[4:5]
	v_cmp_eq_u64_e64 s[4:5], s[38:39], v[24:25]
	s_and_b64 s[42:43], s[28:29], s[4:5]
	v_cmp_gt_i64_e64 s[4:5], v[18:19], v[4:5]
	s_or_b64 s[4:5], s[14:15], s[4:5]
	s_or_b64 s[4:5], s[4:5], s[42:43]
	s_waitcnt vmcnt(0)
	ds_write_b32 v48, v2
	s_nor_b64 s[4:5], s[16:17], s[4:5]
	v_lshl_add_u64 v[2:3], v[34:35], 0, s[36:37]
	s_and_saveexec_b64 s[14:15], s[4:5]
	s_xor_b64 s[4:5], exec, s[14:15]
	s_cbranch_execz .LBB9_13
; %bb.12:                               ;   in Loop: Header=BB9_7 Depth=2
	global_load_dword v6, v[2:3], off
	s_waitcnt vmcnt(0)
	ds_write_b32 v48, v6 offset:64
.LBB9_13:                               ;   in Loop: Header=BB9_7 Depth=2
	s_andn2_saveexec_b64 s[4:5], s[4:5]
	s_cbranch_execz .LBB9_19
; %bb.14:                               ;   in Loop: Header=BB9_7 Depth=2
	s_xor_b64 s[14:15], s[42:43], -1
	s_and_saveexec_b64 s[42:43], s[14:15]
	s_xor_b64 s[14:15], exec, s[42:43]
; %bb.15:                               ;   in Loop: Header=BB9_7 Depth=2
	ds_write_b32 v48, v51 offset:64
; %bb.16:                               ;   in Loop: Header=BB9_7 Depth=2
	s_andn2_saveexec_b64 s[14:15], s[14:15]
; %bb.17:                               ;   in Loop: Header=BB9_7 Depth=2
	ds_write_b32 v48, v52 offset:64
; %bb.18:                               ;   in Loop: Header=BB9_7 Depth=2
	s_or_b64 exec, exec, s[14:15]
.LBB9_19:                               ;   in Loop: Header=BB9_7 Depth=2
	s_or_b64 exec, exec, s[4:5]
	v_lshl_add_u64 v[4:5], v[4:5], 0, 16
	v_cmp_eq_u64_e64 s[4:5], s[38:39], v[26:27]
	v_cmp_le_i64_e64 s[14:15], s[30:31], v[4:5]
	s_and_b64 s[42:43], s[28:29], s[4:5]
	v_cmp_lt_i64_e64 s[4:5], v[4:5], v[14:15]
	s_or_b64 s[4:5], s[14:15], s[4:5]
	s_or_b64 s[4:5], s[4:5], s[42:43]
	s_nor_b64 s[4:5], s[0:1], s[4:5]
                                        ; implicit-def: $vgpr4
	s_and_saveexec_b64 s[46:47], s[4:5]
	s_xor_b64 s[4:5], exec, s[46:47]
	s_cbranch_execz .LBB9_21
; %bb.20:                               ;   in Loop: Header=BB9_7 Depth=2
	global_load_dword v4, v[0:1], off offset:64
.LBB9_21:                               ;   in Loop: Header=BB9_7 Depth=2
	s_andn2_saveexec_b64 s[4:5], s[4:5]
	s_cbranch_execz .LBB9_23
; %bb.22:                               ;   in Loop: Header=BB9_7 Depth=2
	s_waitcnt vmcnt(0)
	v_cndmask_b32_e64 v4, 0, 1.0, s[42:43]
.LBB9_23:                               ;   in Loop: Header=BB9_7 Depth=2
	s_or_b64 exec, exec, s[4:5]
	s_or_b64 s[4:5], s[14:15], s[12:13]
	s_or_b64 s[4:5], s[4:5], s[40:41]
	s_nor_b64 s[4:5], s[16:17], s[4:5]
	s_waitcnt vmcnt(0)
	ds_write_b32 v48, v4 offset:2048
	s_and_saveexec_b64 s[12:13], s[4:5]
	s_xor_b64 s[4:5], exec, s[12:13]
	s_cbranch_execz .LBB9_25
; %bb.24:                               ;   in Loop: Header=BB9_7 Depth=2
	global_load_dword v0, v[2:3], off offset:64
	s_waitcnt vmcnt(0)
	ds_write_b32 v48, v0 offset:2112
.LBB9_25:                               ;   in Loop: Header=BB9_7 Depth=2
	s_andn2_saveexec_b64 s[4:5], s[4:5]
	s_cbranch_execz .LBB9_31
; %bb.26:                               ;   in Loop: Header=BB9_7 Depth=2
	s_xor_b64 s[12:13], s[40:41], -1
	s_and_saveexec_b64 s[14:15], s[12:13]
	s_xor_b64 s[12:13], exec, s[14:15]
; %bb.27:                               ;   in Loop: Header=BB9_7 Depth=2
	ds_write_b32 v48, v51 offset:2112
; %bb.28:                               ;   in Loop: Header=BB9_7 Depth=2
	s_andn2_saveexec_b64 s[12:13], s[12:13]
; %bb.29:                               ;   in Loop: Header=BB9_7 Depth=2
	ds_write_b32 v48, v52 offset:2112
; %bb.30:                               ;   in Loop: Header=BB9_7 Depth=2
	s_or_b64 exec, exec, s[12:13]
.LBB9_31:                               ;   in Loop: Header=BB9_7 Depth=2
	s_or_b64 exec, exec, s[4:5]
	v_lshl_add_u64 v[2:3], v[14:15], 0, s[38:39]
	v_cmp_gt_i64_e64 s[12:13], s[30:31], v[2:3]
	v_lshl_add_u64 v[0:1], v[38:39], 0, s[36:37]
	s_and_b64 s[14:15], vcc, s[12:13]
	v_mov_b32_e32 v4, 0
	s_and_saveexec_b64 s[4:5], s[14:15]
	s_cbranch_execz .LBB9_33
; %bb.32:                               ;   in Loop: Header=BB9_7 Depth=2
	global_load_dword v4, v[0:1], off offset:-64
.LBB9_33:                               ;   in Loop: Header=BB9_7 Depth=2
	s_or_b64 exec, exec, s[4:5]
	v_cmp_gt_i64_e64 s[14:15], s[34:35], v[2:3]
	s_and_b64 s[4:5], vcc, s[14:15]
	s_xor_b64 s[4:5], s[4:5], -1
	s_waitcnt vmcnt(0)
	ds_write_b32 v50, v4
	s_and_saveexec_b64 s[40:41], s[4:5]
	s_xor_b64 s[4:5], exec, s[40:41]
; %bb.34:                               ;   in Loop: Header=BB9_7 Depth=2
	ds_write_b32 v50, v51 offset:64
                                        ; implicit-def: $vgpr0_vgpr1
; %bb.35:                               ;   in Loop: Header=BB9_7 Depth=2
	s_andn2_saveexec_b64 s[4:5], s[4:5]
	s_cbranch_execz .LBB9_37
; %bb.36:                               ;   in Loop: Header=BB9_7 Depth=2
	global_load_dword v0, v[0:1], off
	s_waitcnt vmcnt(0)
	ds_write_b32 v50, v0 offset:64
.LBB9_37:                               ;   in Loop: Header=BB9_7 Depth=2
	s_or_b64 exec, exec, s[4:5]
	v_lshl_add_u64 v[0:1], v[40:41], 0, s[36:37]
	s_and_b64 s[12:13], s[10:11], s[12:13]
	v_mov_b32_e32 v2, 0
	s_and_saveexec_b64 s[4:5], s[12:13]
	s_cbranch_execz .LBB9_39
; %bb.38:                               ;   in Loop: Header=BB9_7 Depth=2
	global_load_dword v2, v[0:1], off
.LBB9_39:                               ;   in Loop: Header=BB9_7 Depth=2
	s_or_b64 exec, exec, s[4:5]
	s_and_b64 s[4:5], s[10:11], s[14:15]
	s_xor_b64 s[4:5], s[4:5], -1
	s_waitcnt vmcnt(0)
	ds_write_b32 v50, v2 offset:2048
	s_and_saveexec_b64 s[12:13], s[4:5]
	s_xor_b64 s[4:5], exec, s[12:13]
; %bb.40:                               ;   in Loop: Header=BB9_7 Depth=2
	ds_write_b32 v50, v51 offset:2112
                                        ; implicit-def: $vgpr0_vgpr1
; %bb.41:                               ;   in Loop: Header=BB9_7 Depth=2
	s_andn2_saveexec_b64 s[4:5], s[4:5]
	s_cbranch_execz .LBB9_6
; %bb.42:                               ;   in Loop: Header=BB9_7 Depth=2
	global_load_dword v0, v[0:1], off offset:64
	s_waitcnt vmcnt(0)
	ds_write_b32 v50, v0 offset:2112
	s_branch .LBB9_6
.LBB9_43:                               ;   in Loop: Header=BB9_4 Depth=1
	v_mul_lo_u32 v2, s21, v36
	v_mul_lo_u32 v3, s20, v37
	v_mad_u64_u32 v[0:1], s[4:5], s20, v36, 0
	v_cmp_gt_i32_e32 vcc, s26, v36
	v_add3_u32 v1, v1, v3, v2
	v_lshl_add_u64 v[0:1], v[0:1], 2, s[22:23]
	s_and_b64 s[10:11], s[18:19], vcc
	s_and_saveexec_b64 s[4:5], s[10:11]
	s_cbranch_execz .LBB9_45
; %bb.44:                               ;   in Loop: Header=BB9_4 Depth=1
	v_lshl_add_u64 v[2:3], v[14:15], 2, v[0:1]
	global_load_dword v4, v[2:3], off
	s_waitcnt vmcnt(0)
	v_fmac_f32_e32 v4, s27, v44
	global_store_dword v[2:3], v4, off
.LBB9_45:                               ;   in Loop: Header=BB9_4 Depth=1
	s_or_b64 exec, exec, s[4:5]
	s_and_b64 s[10:11], s[6:7], vcc
	s_and_saveexec_b64 s[4:5], s[10:11]
	s_cbranch_execz .LBB9_47
; %bb.46:                               ;   in Loop: Header=BB9_4 Depth=1
	v_lshl_add_u64 v[0:1], v[20:21], 2, v[0:1]
	global_load_dword v2, v[0:1], off
	s_waitcnt vmcnt(0)
	v_fmac_f32_e32 v2, s27, v45
	global_store_dword v[0:1], v2, off
.LBB9_47:                               ;   in Loop: Header=BB9_4 Depth=1
	s_or_b64 exec, exec, s[4:5]
	v_add_u32_e32 v0, 16, v36
	v_ashrrev_i32_e32 v1, 31, v0
	v_cmp_gt_i32_e32 vcc, s26, v0
	v_mul_lo_u32 v2, s20, v1
	v_mul_lo_u32 v3, s21, v0
	v_mad_u64_u32 v[0:1], s[4:5], s20, v0, 0
	v_add3_u32 v1, v1, v2, v3
	v_lshl_add_u64 v[0:1], v[0:1], 2, s[22:23]
	s_and_b64 s[10:11], s[18:19], vcc
	s_and_saveexec_b64 s[4:5], s[10:11]
	s_cbranch_execz .LBB9_49
; %bb.48:                               ;   in Loop: Header=BB9_4 Depth=1
	v_lshl_add_u64 v[2:3], v[14:15], 2, v[0:1]
	global_load_dword v4, v[2:3], off
	s_waitcnt vmcnt(0)
	v_fmac_f32_e32 v4, s27, v42
	global_store_dword v[2:3], v4, off
.LBB9_49:                               ;   in Loop: Header=BB9_4 Depth=1
	s_or_b64 exec, exec, s[4:5]
	s_and_b64 s[10:11], s[6:7], vcc
	s_and_saveexec_b64 s[4:5], s[10:11]
	s_cbranch_execz .LBB9_3
; %bb.50:                               ;   in Loop: Header=BB9_4 Depth=1
	v_lshl_add_u64 v[0:1], v[20:21], 2, v[0:1]
	global_load_dword v2, v[0:1], off
	s_waitcnt vmcnt(0)
	v_fmac_f32_e32 v2, s27, v43
	global_store_dword v[0:1], v2, off
	s_branch .LBB9_3
.LBB9_51:
	s_endpgm
	.section	.rodata,"a",@progbits
	.p2align	6, 0x0
	.amdhsa_kernel _ZL30rocblas_trmm_outofplace_kernelIfLi32ELi2ELb1ELb0ELb1ELb1EfKffEv17rocblas_diagonal_iiT6_lPT7_lllS4_lllPT8_llli
		.amdhsa_group_segment_fixed_size 8192
		.amdhsa_private_segment_fixed_size 0
		.amdhsa_kernarg_size 384
		.amdhsa_user_sgpr_count 2
		.amdhsa_user_sgpr_dispatch_ptr 0
		.amdhsa_user_sgpr_queue_ptr 0
		.amdhsa_user_sgpr_kernarg_segment_ptr 1
		.amdhsa_user_sgpr_dispatch_id 0
		.amdhsa_user_sgpr_kernarg_preload_length 0
		.amdhsa_user_sgpr_kernarg_preload_offset 0
		.amdhsa_user_sgpr_private_segment_size 0
		.amdhsa_uses_dynamic_stack 0
		.amdhsa_enable_private_segment 0
		.amdhsa_system_sgpr_workgroup_id_x 1
		.amdhsa_system_sgpr_workgroup_id_y 1
		.amdhsa_system_sgpr_workgroup_id_z 1
		.amdhsa_system_sgpr_workgroup_info 0
		.amdhsa_system_vgpr_workitem_id 1
		.amdhsa_next_free_vgpr 92
		.amdhsa_next_free_sgpr 55
		.amdhsa_accum_offset 92
		.amdhsa_reserve_vcc 1
		.amdhsa_float_round_mode_32 0
		.amdhsa_float_round_mode_16_64 0
		.amdhsa_float_denorm_mode_32 3
		.amdhsa_float_denorm_mode_16_64 3
		.amdhsa_dx10_clamp 1
		.amdhsa_ieee_mode 1
		.amdhsa_fp16_overflow 0
		.amdhsa_tg_split 0
		.amdhsa_exception_fp_ieee_invalid_op 0
		.amdhsa_exception_fp_denorm_src 0
		.amdhsa_exception_fp_ieee_div_zero 0
		.amdhsa_exception_fp_ieee_overflow 0
		.amdhsa_exception_fp_ieee_underflow 0
		.amdhsa_exception_fp_ieee_inexact 0
		.amdhsa_exception_int_div_zero 0
	.end_amdhsa_kernel
	.section	.text._ZL30rocblas_trmm_outofplace_kernelIfLi32ELi2ELb1ELb0ELb1ELb1EfKffEv17rocblas_diagonal_iiT6_lPT7_lllS4_lllPT8_llli,"axG",@progbits,_ZL30rocblas_trmm_outofplace_kernelIfLi32ELi2ELb1ELb0ELb1ELb1EfKffEv17rocblas_diagonal_iiT6_lPT7_lllS4_lllPT8_llli,comdat
.Lfunc_end9:
	.size	_ZL30rocblas_trmm_outofplace_kernelIfLi32ELi2ELb1ELb0ELb1ELb1EfKffEv17rocblas_diagonal_iiT6_lPT7_lllS4_lllPT8_llli, .Lfunc_end9-_ZL30rocblas_trmm_outofplace_kernelIfLi32ELi2ELb1ELb0ELb1ELb1EfKffEv17rocblas_diagonal_iiT6_lPT7_lllS4_lllPT8_llli
                                        ; -- End function
	.set _ZL30rocblas_trmm_outofplace_kernelIfLi32ELi2ELb1ELb0ELb1ELb1EfKffEv17rocblas_diagonal_iiT6_lPT7_lllS4_lllPT8_llli.num_vgpr, 92
	.set _ZL30rocblas_trmm_outofplace_kernelIfLi32ELi2ELb1ELb0ELb1ELb1EfKffEv17rocblas_diagonal_iiT6_lPT7_lllS4_lllPT8_llli.num_agpr, 0
	.set _ZL30rocblas_trmm_outofplace_kernelIfLi32ELi2ELb1ELb0ELb1ELb1EfKffEv17rocblas_diagonal_iiT6_lPT7_lllS4_lllPT8_llli.numbered_sgpr, 55
	.set _ZL30rocblas_trmm_outofplace_kernelIfLi32ELi2ELb1ELb0ELb1ELb1EfKffEv17rocblas_diagonal_iiT6_lPT7_lllS4_lllPT8_llli.num_named_barrier, 0
	.set _ZL30rocblas_trmm_outofplace_kernelIfLi32ELi2ELb1ELb0ELb1ELb1EfKffEv17rocblas_diagonal_iiT6_lPT7_lllS4_lllPT8_llli.private_seg_size, 0
	.set _ZL30rocblas_trmm_outofplace_kernelIfLi32ELi2ELb1ELb0ELb1ELb1EfKffEv17rocblas_diagonal_iiT6_lPT7_lllS4_lllPT8_llli.uses_vcc, 1
	.set _ZL30rocblas_trmm_outofplace_kernelIfLi32ELi2ELb1ELb0ELb1ELb1EfKffEv17rocblas_diagonal_iiT6_lPT7_lllS4_lllPT8_llli.uses_flat_scratch, 0
	.set _ZL30rocblas_trmm_outofplace_kernelIfLi32ELi2ELb1ELb0ELb1ELb1EfKffEv17rocblas_diagonal_iiT6_lPT7_lllS4_lllPT8_llli.has_dyn_sized_stack, 0
	.set _ZL30rocblas_trmm_outofplace_kernelIfLi32ELi2ELb1ELb0ELb1ELb1EfKffEv17rocblas_diagonal_iiT6_lPT7_lllS4_lllPT8_llli.has_recursion, 0
	.set _ZL30rocblas_trmm_outofplace_kernelIfLi32ELi2ELb1ELb0ELb1ELb1EfKffEv17rocblas_diagonal_iiT6_lPT7_lllS4_lllPT8_llli.has_indirect_call, 0
	.section	.AMDGPU.csdata,"",@progbits
; Kernel info:
; codeLenInByte = 2888
; TotalNumSgprs: 61
; NumVgprs: 92
; NumAgprs: 0
; TotalNumVgprs: 92
; ScratchSize: 0
; MemoryBound: 0
; FloatMode: 240
; IeeeMode: 1
; LDSByteSize: 8192 bytes/workgroup (compile time only)
; SGPRBlocks: 7
; VGPRBlocks: 11
; NumSGPRsForWavesPerEU: 61
; NumVGPRsForWavesPerEU: 92
; AccumOffset: 92
; Occupancy: 5
; WaveLimiterHint : 0
; COMPUTE_PGM_RSRC2:SCRATCH_EN: 0
; COMPUTE_PGM_RSRC2:USER_SGPR: 2
; COMPUTE_PGM_RSRC2:TRAP_HANDLER: 0
; COMPUTE_PGM_RSRC2:TGID_X_EN: 1
; COMPUTE_PGM_RSRC2:TGID_Y_EN: 1
; COMPUTE_PGM_RSRC2:TGID_Z_EN: 1
; COMPUTE_PGM_RSRC2:TIDIG_COMP_CNT: 1
; COMPUTE_PGM_RSRC3_GFX90A:ACCUM_OFFSET: 22
; COMPUTE_PGM_RSRC3_GFX90A:TG_SPLIT: 0
	.section	.text._ZL30rocblas_trmm_outofplace_kernelIfLi32ELi2ELb1ELb1ELb1ELb1EPKfS0_fEv17rocblas_diagonal_iiT6_lPT7_lllS5_lllPT8_llli,"axG",@progbits,_ZL30rocblas_trmm_outofplace_kernelIfLi32ELi2ELb1ELb1ELb1ELb1EPKfS0_fEv17rocblas_diagonal_iiT6_lPT7_lllS5_lllPT8_llli,comdat
	.globl	_ZL30rocblas_trmm_outofplace_kernelIfLi32ELi2ELb1ELb1ELb1ELb1EPKfS0_fEv17rocblas_diagonal_iiT6_lPT7_lllS5_lllPT8_llli ; -- Begin function _ZL30rocblas_trmm_outofplace_kernelIfLi32ELi2ELb1ELb1ELb1ELb1EPKfS0_fEv17rocblas_diagonal_iiT6_lPT7_lllS5_lllPT8_llli
	.p2align	8
	.type	_ZL30rocblas_trmm_outofplace_kernelIfLi32ELi2ELb1ELb1ELb1ELb1EPKfS0_fEv17rocblas_diagonal_iiT6_lPT7_lllS5_lllPT8_llli,@function
_ZL30rocblas_trmm_outofplace_kernelIfLi32ELi2ELb1ELb1ELb1ELb1EPKfS0_fEv17rocblas_diagonal_iiT6_lPT7_lllS5_lllPT8_llli: ; @_ZL30rocblas_trmm_outofplace_kernelIfLi32ELi2ELb1ELb1ELb1ELb1EPKfS0_fEv17rocblas_diagonal_iiT6_lPT7_lllS5_lllPT8_llli
; %bb.0:
	s_load_dwordx16 s[16:31], s[0:1], 0x10
	s_waitcnt lgkmcnt(0)
	s_mul_i32 s5, s19, s4
	s_mul_hi_u32 s6, s18, s4
	s_add_i32 s7, s6, s5
	s_mul_i32 s6, s18, s4
	s_lshl_b64 s[6:7], s[6:7], 2
	s_add_u32 s6, s16, s6
	s_addc_u32 s7, s17, s7
	s_load_dword s33, s[6:7], 0x0
	s_waitcnt lgkmcnt(0)
	v_cmp_eq_f32_e64 s[6:7], s33, 0
	s_and_b64 vcc, exec, s[6:7]
	s_cbranch_vccnz .LBB10_51
; %bb.1:
	s_load_dwordx4 s[44:47], s[0:1], 0x0
	s_waitcnt lgkmcnt(0)
	s_add_i32 s5, s46, -1
	s_ashr_i32 s6, s5, 31
	s_lshr_b32 s6, s6, 27
	s_add_i32 s5, s5, s6
	s_ashr_i32 s47, s5, 5
	s_cmp_gt_i32 s3, s47
	s_cbranch_scc1 .LBB10_51
; %bb.2:
	s_load_dwordx8 s[36:43], s[0:1], 0x50
	s_load_dwordx4 s[48:51], s[0:1], 0x70
	s_mul_i32 s5, s27, s4
	s_mul_hi_u32 s6, s26, s4
	s_add_i32 s7, s6, s5
	s_mul_i32 s6, s26, s4
	s_lshl_b64 s[8:9], s[6:7], 2
	s_add_u32 s5, s20, s8
	s_addc_u32 s7, s21, s9
	s_lshl_b64 s[10:11], s[22:23], 2
	s_add_u32 s6, s5, s10
	s_load_dword s52, s[0:1], 0x8c
	s_waitcnt lgkmcnt(0)
	s_mul_i32 s0, s51, s4
	s_mul_hi_u32 s1, s50, s4
	s_addc_u32 s7, s7, s11
	s_add_i32 s1, s1, s0
	s_mul_i32 s0, s50, s4
	s_lshl_b64 s[0:1], s[0:1], 2
	s_add_u32 s5, s40, s0
	s_addc_u32 s12, s41, s1
	s_lshl_b64 s[0:1], s[42:43], 2
	s_add_u32 s22, s5, s0
	s_addc_u32 s23, s12, s1
	s_lshl_b32 s42, s2, 5
	s_cmp_gt_i32 s2, -1
	s_cselect_b64 s[12:13], -1, 0
	s_cmpk_eq_i32 s44, 0x84
	s_cselect_b64 s[26:27], -1, 0
	s_ashr_i32 s35, s45, 31
	s_ashr_i32 s2, s46, 31
	s_add_u32 s40, s45, -16
	s_mul_i32 s5, s39, s4
	s_mul_hi_u32 s14, s38, s4
	s_addc_u32 s41, s35, -1
	s_add_i32 s5, s14, s5
	s_mul_i32 s4, s38, s4
	v_and_b32_e32 v14, 0x3ff, v0
	s_lshl_b64 s[4:5], s[4:5], 2
	s_lshl_b64 s[14:15], s[30:31], 2
	v_add_u32_e32 v16, s42, v14
	s_add_u32 s4, s4, s14
	v_ashrrev_i32_e32 v17, 31, v16
	s_addc_u32 s5, s5, s15
	v_bfe_u32 v12, v0, 10, 10
	v_mov_b32_e32 v13, 0
	v_mul_lo_u32 v2, s24, v17
	v_mul_lo_u32 v3, s25, v16
	v_mad_u64_u32 v[0:1], s[0:1], s24, v16, 0
	s_add_u32 s4, s28, s4
	v_add3_u32 v1, v1, v2, v3
	v_lshlrev_b32_e32 v20, 2, v14
	v_mov_b32_e32 v21, v13
	s_addc_u32 s5, s29, s5
	s_lshl_b64 s[28:29], s[36:37], 2
	s_lshl_b32 s43, s52, 5
	v_lshl_add_u64 v[0:1], v[0:1], 2, s[6:7]
	v_lshlrev_b32_e32 v2, 2, v12
	v_mov_b32_e32 v3, v13
	v_lshl_add_u64 v[32:33], s[4:5], 0, v[20:21]
	s_add_u32 s4, s10, s8
	v_lshl_add_u64 v[18:19], v[0:1], 0, v[2:3]
	v_lshlrev_b32_e32 v0, 7, v12
	s_addc_u32 s5, s11, s9
	v_add_u32_e32 v41, v20, v0
	v_add_u32_e32 v50, 0x1000, v0
	v_lshl_add_u64 v[0:1], v[16:17], 2, 64
	v_mov_b64_e32 v[4:5], s[4:5]
	v_mul_lo_u32 v6, s24, v1
	v_mul_lo_u32 v7, s25, v0
	v_mad_u64_u32 v[0:1], s[4:5], s24, v0, v[4:5]
	v_add3_u32 v1, v7, v1, v6
	v_sub_co_u32_e32 v26, vcc, v16, v12
	v_lshl_add_u64 v[0:1], v[0:1], 0, v[2:3]
	s_mov_b32 s34, s45
	v_lshl_add_u64 v[22:23], v[16:17], 0, 16
	v_add_u32_e32 v24, 16, v16
	v_subbrev_co_u32_e32 v27, vcc, 0, v17, vcc
	v_lshl_add_u64 v[38:39], s[20:21], 0, v[0:1]
	v_cndmask_b32_e64 v0, 0, 1, s[12:13]
	v_mov_b32_e32 v15, v13
	v_add_u32_e32 v51, v50, v20
	v_cmp_le_i32_e64 s[0:1], s45, v16
	v_cmp_le_i64_e64 s[16:17], s[34:35], v[22:23]
	v_cmp_gt_i32_e64 s[18:19], s45, v16
	v_cmp_gt_i32_e64 s[6:7], s45, v24
	v_ashrrev_i32_e32 v25, 31, v24
	v_lshl_add_u64 v[28:29], v[26:27], 0, 16
	v_lshl_add_u64 v[30:31], v[26:27], 0, -16
	v_lshl_add_u64 v[34:35], v[32:33], 0, 64
	v_lshl_add_u32 v36, s3, 5, v12
	v_mov_b32_e32 v52, 1.0
	v_cmp_ne_u32_e64 s[8:9], 1, v0
	v_add_u32_e32 v53, 0x400, v20
	v_add_u32_e32 v54, 0x800, v20
	;; [unrolled: 1-line block ×3, first 2 shown]
	s_branch .LBB10_4
.LBB10_3:                               ;   in Loop: Header=BB10_4 Depth=1
	s_or_b64 exec, exec, s[4:5]
	s_add_i32 s3, s52, s3
	s_cmp_le_i32 s3, s47
	v_add_u32_e32 v36, s43, v36
	s_cbranch_scc0 .LBB10_51
.LBB10_4:                               ; =>This Loop Header: Depth=1
                                        ;     Child Loop BB10_7 Depth 2
	v_lshl_add_u32 v40, s3, 5, v12
	v_ashrrev_i32_e32 v21, 31, v40
	s_and_b64 vcc, exec, s[8:9]
	v_mov_b32_e32 v49, 0
	v_mov_b32_e32 v48, 0
	;; [unrolled: 1-line block ×4, first 2 shown]
	s_cbranch_vccnz .LBB10_43
; %bb.5:                                ;   in Loop: Header=BB10_4 Depth=1
	v_ashrrev_i32_e32 v37, 31, v36
	v_mad_u64_u32 v[42:43], s[4:5], s28, v36, v[34:35]
	v_mul_lo_u32 v0, s29, v36
	v_mul_lo_u32 v1, s28, v37
	v_add3_u32 v43, v0, v43, v1
	v_lshl_add_u64 v[0:1], v[36:37], 2, 64
	v_mul_lo_u32 v1, s36, v1
	v_mul_lo_u32 v2, s37, v0
	v_mad_u64_u32 v[44:45], s[4:5], s36, v0, v[32:33]
	v_add3_u32 v45, v2, v45, v1
	v_mov_b32_e32 v1, s2
	v_sub_co_u32_e32 v0, vcc, s46, v40
	v_mov_b32_e32 v46, 0
	s_nop 0
	v_subb_co_u32_e32 v1, vcc, v1, v21, vcc
	s_mov_b64 s[20:21], 0
	v_cmp_lt_i64_e32 vcc, 0, v[0:1]
	v_cmp_lt_i64_e64 s[10:11], 16, v[0:1]
	s_mov_b64 s[24:25], 0
	v_mov_b32_e32 v47, v46
	v_mov_b32_e32 v48, v46
	;; [unrolled: 1-line block ×3, first 2 shown]
	s_branch .LBB10_7
.LBB10_6:                               ;   in Loop: Header=BB10_7 Depth=2
	s_or_b64 exec, exec, s[4:5]
	s_waitcnt lgkmcnt(0)
	s_barrier
	ds_read_b128 v[56:59], v50
	ds_read_b128 v[60:63], v50 offset:16
	ds_read_b128 v[4:7], v50 offset:32
	;; [unrolled: 1-line block ×3, first 2 shown]
	ds_read2_b32 v[72:73], v20 offset1:16
	ds_read2_b32 v[74:75], v20 offset0:32 offset1:48
	ds_read2_b32 v[76:77], v20 offset0:64 offset1:80
	;; [unrolled: 1-line block ×4, first 2 shown]
	ds_read_b128 v[64:67], v50 offset:2048
	ds_read_b128 v[68:71], v50 offset:2064
	ds_read2_b32 v[82:83], v20 offset0:160 offset1:176
	ds_read2_b32 v[84:85], v20 offset0:192 offset1:208
	;; [unrolled: 1-line block ×3, first 2 shown]
	ds_read2_b32 v[88:89], v53 offset1:16
	ds_read_b128 v[8:11], v50 offset:2080
	ds_read2_b32 v[90:91], v53 offset0:32 offset1:48
	s_waitcnt lgkmcnt(12)
	v_pk_fma_f32 v[48:49], v[72:73], v[56:57], v[48:49] op_sel_hi:[1,0,1]
	s_waitcnt lgkmcnt(7)
	v_pk_fma_f32 v[46:47], v[72:73], v[64:65], v[46:47] op_sel_hi:[1,0,1]
	v_pk_fma_f32 v[48:49], v[74:75], v[56:57], v[48:49] op_sel:[0,1,0]
	v_mov_b32_e32 v56, v59
	v_pk_fma_f32 v[48:49], v[76:77], v[58:59], v[48:49] op_sel_hi:[1,0,1]
	v_pk_fma_f32 v[46:47], v[74:75], v[64:65], v[46:47] op_sel:[0,1,0]
	v_pk_fma_f32 v[48:49], v[78:79], v[56:57], v[48:49] op_sel_hi:[1,0,1]
	v_mov_b32_e32 v56, v63
	v_pk_fma_f32 v[48:49], v[80:81], v[60:61], v[48:49] op_sel_hi:[1,0,1]
	v_pk_fma_f32 v[46:47], v[76:77], v[66:67], v[46:47] op_sel_hi:[1,0,1]
	s_waitcnt lgkmcnt(5)
	v_pk_fma_f32 v[48:49], v[82:83], v[60:61], v[48:49] op_sel:[0,1,0]
	s_add_u32 s24, s24, 32
	s_waitcnt lgkmcnt(4)
	v_pk_fma_f32 v[48:49], v[84:85], v[62:63], v[48:49] op_sel_hi:[1,0,1]
	s_addc_u32 s25, s25, 0
	s_waitcnt lgkmcnt(3)
	v_pk_fma_f32 v[48:49], v[86:87], v[56:57], v[48:49] op_sel_hi:[1,0,1]
	s_sub_i32 s4, s24, 32
	s_waitcnt lgkmcnt(2)
	v_pk_fma_f32 v[48:49], v[88:89], v[4:5], v[48:49] op_sel_hi:[1,0,1]
	s_add_u32 s20, s20, 0x80
	s_waitcnt lgkmcnt(0)
	v_pk_fma_f32 v[4:5], v[90:91], v[4:5], v[48:49] op_sel:[0,1,0]
	v_mov_b32_e32 v48, v67
	v_pk_fma_f32 v[46:47], v[78:79], v[48:49], v[46:47] op_sel_hi:[1,0,1]
	v_mov_b32_e32 v48, v71
	v_pk_fma_f32 v[46:47], v[80:81], v[68:69], v[46:47] op_sel_hi:[1,0,1]
	s_addc_u32 s21, s21, 0
	v_pk_fma_f32 v[46:47], v[82:83], v[68:69], v[46:47] op_sel:[0,1,0]
	s_cmp_ge_i32 s4, s42
	v_pk_fma_f32 v[46:47], v[84:85], v[70:71], v[46:47] op_sel_hi:[1,0,1]
	s_nop 0
	v_pk_fma_f32 v[56:57], v[86:87], v[48:49], v[46:47] op_sel_hi:[1,0,1]
	ds_read_b128 v[46:49], v50 offset:2096
	v_pk_fma_f32 v[56:57], v[88:89], v[8:9], v[56:57] op_sel_hi:[1,0,1]
	s_nop 0
	v_pk_fma_f32 v[8:9], v[90:91], v[8:9], v[56:57] op_sel:[0,1,0]
	ds_read2_b32 v[64:65], v53 offset0:64 offset1:80
	ds_read2_b32 v[66:67], v53 offset0:96 offset1:112
	;; [unrolled: 1-line block ×6, first 2 shown]
	ds_read2_b32 v[76:77], v54 offset1:16
	ds_read2_b32 v[78:79], v54 offset0:32 offset1:48
	ds_read2_b32 v[80:81], v54 offset0:64 offset1:80
	;; [unrolled: 1-line block ×3, first 2 shown]
	ds_read_b128 v[56:59], v50 offset:64
	ds_read_b128 v[60:63], v50 offset:80
	ds_read2_b32 v[84:85], v54 offset0:128 offset1:144
	s_waitcnt lgkmcnt(12)
	v_pk_fma_f32 v[4:5], v[64:65], v[6:7], v[4:5] op_sel_hi:[1,0,1]
	v_mov_b32_e32 v6, v7
	s_waitcnt lgkmcnt(11)
	v_pk_fma_f32 v[4:5], v[66:67], v[6:7], v[4:5] op_sel_hi:[1,0,1]
	v_pk_fma_f32 v[8:9], v[64:65], v[10:11], v[8:9] op_sel_hi:[1,0,1]
	s_waitcnt lgkmcnt(10)
	v_pk_fma_f32 v[4:5], v[68:69], v[0:1], v[4:5] op_sel_hi:[1,0,1]
	v_mov_b32_e32 v10, v11
	s_waitcnt lgkmcnt(9)
	v_pk_fma_f32 v[0:1], v[70:71], v[0:1], v[4:5] op_sel:[0,1,0]
	v_pk_fma_f32 v[8:9], v[66:67], v[10:11], v[8:9] op_sel_hi:[1,0,1]
	s_waitcnt lgkmcnt(8)
	v_pk_fma_f32 v[0:1], v[72:73], v[2:3], v[0:1] op_sel_hi:[1,0,1]
	v_mov_b32_e32 v2, v3
	s_waitcnt lgkmcnt(7)
	v_pk_fma_f32 v[0:1], v[74:75], v[2:3], v[0:1] op_sel_hi:[1,0,1]
	s_waitcnt lgkmcnt(2)
	v_mov_b32_e32 v2, v59
	v_pk_fma_f32 v[0:1], v[76:77], v[56:57], v[0:1] op_sel_hi:[1,0,1]
	v_pk_fma_f32 v[8:9], v[68:69], v[46:47], v[8:9] op_sel_hi:[1,0,1]
	v_pk_fma_f32 v[0:1], v[78:79], v[56:57], v[0:1] op_sel:[0,1,0]
	v_pk_fma_f32 v[8:9], v[70:71], v[46:47], v[8:9] op_sel:[0,1,0]
	v_pk_fma_f32 v[0:1], v[80:81], v[58:59], v[0:1] op_sel_hi:[1,0,1]
	v_pk_fma_f32 v[8:9], v[72:73], v[48:49], v[8:9] op_sel_hi:[1,0,1]
	;; [unrolled: 1-line block ×3, first 2 shown]
	v_mov_b32_e32 v10, v49
	s_waitcnt lgkmcnt(0)
	v_pk_fma_f32 v[86:87], v[84:85], v[60:61], v[0:1] op_sel_hi:[1,0,1]
	ds_read_b128 v[0:3], v50 offset:2112
	ds_read_b128 v[4:7], v50 offset:2128
	v_pk_fma_f32 v[8:9], v[74:75], v[10:11], v[8:9] op_sel_hi:[1,0,1]
	s_waitcnt lgkmcnt(1)
	v_pk_fma_f32 v[8:9], v[76:77], v[0:1], v[8:9] op_sel_hi:[1,0,1]
	s_nop 0
	v_pk_fma_f32 v[0:1], v[78:79], v[0:1], v[8:9] op_sel:[0,1,0]
	s_nop 0
	v_pk_fma_f32 v[0:1], v[80:81], v[2:3], v[0:1] op_sel_hi:[1,0,1]
	v_mov_b32_e32 v2, v3
	v_pk_fma_f32 v[0:1], v[82:83], v[2:3], v[0:1] op_sel_hi:[1,0,1]
	s_waitcnt lgkmcnt(0)
	v_pk_fma_f32 v[46:47], v[84:85], v[4:5], v[0:1] op_sel_hi:[1,0,1]
	ds_read2_b32 v[68:69], v54 offset0:160 offset1:176
	ds_read2_b32 v[70:71], v54 offset0:192 offset1:208
	;; [unrolled: 1-line block ×3, first 2 shown]
	ds_read2_b32 v[74:75], v55 offset1:16
	ds_read2_b32 v[76:77], v55 offset0:32 offset1:48
	ds_read2_b32 v[78:79], v55 offset0:64 offset1:80
	;; [unrolled: 1-line block ×3, first 2 shown]
	ds_read_b128 v[0:3], v50 offset:96
	ds_read_b128 v[8:11], v50 offset:112
	ds_read2_b32 v[82:83], v55 offset0:128 offset1:144
	ds_read_b128 v[56:59], v50 offset:2144
	ds_read_b128 v[64:67], v50 offset:2160
	ds_read2_b32 v[84:85], v55 offset0:160 offset1:176
	ds_read2_b32 v[88:89], v55 offset0:192 offset1:208
	ds_read2_b32 v[90:91], v55 offset0:224 offset1:240
	s_waitcnt lgkmcnt(14)
	v_pk_fma_f32 v[48:49], v[68:69], v[60:61], v[86:87] op_sel:[0,1,0]
	v_mov_b32_e32 v60, v63
	s_waitcnt lgkmcnt(13)
	v_pk_fma_f32 v[48:49], v[70:71], v[62:63], v[48:49] op_sel_hi:[1,0,1]
	s_waitcnt lgkmcnt(0)
	v_pk_fma_f32 v[48:49], v[72:73], v[60:61], v[48:49] op_sel_hi:[1,0,1]
	s_barrier
	v_pk_fma_f32 v[48:49], v[74:75], v[0:1], v[48:49] op_sel_hi:[1,0,1]
	s_nop 0
	v_pk_fma_f32 v[0:1], v[76:77], v[0:1], v[48:49] op_sel:[0,1,0]
	s_nop 0
	v_pk_fma_f32 v[0:1], v[78:79], v[2:3], v[0:1] op_sel_hi:[1,0,1]
	v_mov_b32_e32 v2, v3
	v_pk_fma_f32 v[0:1], v[80:81], v[2:3], v[0:1] op_sel_hi:[1,0,1]
	v_mov_b32_e32 v2, v11
	v_pk_fma_f32 v[0:1], v[82:83], v[8:9], v[0:1] op_sel_hi:[1,0,1]
	s_nop 0
	v_pk_fma_f32 v[0:1], v[84:85], v[8:9], v[0:1] op_sel:[0,1,0]
	s_nop 0
	v_pk_fma_f32 v[0:1], v[88:89], v[10:11], v[0:1] op_sel_hi:[1,0,1]
	s_nop 0
	v_pk_fma_f32 v[48:49], v[90:91], v[2:3], v[0:1] op_sel_hi:[1,0,1]
	v_pk_fma_f32 v[0:1], v[68:69], v[4:5], v[46:47] op_sel:[0,1,0]
	v_mov_b32_e32 v2, v7
	v_pk_fma_f32 v[0:1], v[70:71], v[6:7], v[0:1] op_sel_hi:[1,0,1]
	s_nop 0
	v_pk_fma_f32 v[0:1], v[72:73], v[2:3], v[0:1] op_sel_hi:[1,0,1]
	v_mov_b32_e32 v2, v59
	v_pk_fma_f32 v[0:1], v[74:75], v[56:57], v[0:1] op_sel_hi:[1,0,1]
	s_nop 0
	v_pk_fma_f32 v[0:1], v[76:77], v[56:57], v[0:1] op_sel:[0,1,0]
	s_nop 0
	v_pk_fma_f32 v[0:1], v[78:79], v[58:59], v[0:1] op_sel_hi:[1,0,1]
	s_nop 0
	v_pk_fma_f32 v[0:1], v[80:81], v[2:3], v[0:1] op_sel_hi:[1,0,1]
	v_mov_b32_e32 v2, v67
	v_pk_fma_f32 v[0:1], v[82:83], v[64:65], v[0:1] op_sel_hi:[1,0,1]
	s_nop 0
	v_pk_fma_f32 v[0:1], v[84:85], v[64:65], v[0:1] op_sel:[0,1,0]
	s_nop 0
	v_pk_fma_f32 v[0:1], v[88:89], v[66:67], v[0:1] op_sel_hi:[1,0,1]
	s_nop 0
	v_pk_fma_f32 v[46:47], v[90:91], v[2:3], v[0:1] op_sel_hi:[1,0,1]
	s_cbranch_scc1 .LBB10_43
.LBB10_7:                               ;   Parent Loop BB10_4 Depth=1
                                        ; =>  This Inner Loop Header: Depth=2
	v_lshl_add_u64 v[4:5], v[12:13], 0, s[24:25]
	v_cmp_le_i64_e64 s[14:15], s[34:35], v[4:5]
	v_cmp_eq_u64_e64 s[4:5], s[24:25], v[26:27]
	v_cmp_gt_i64_e64 s[12:13], v[4:5], v[16:17]
	s_and_b64 s[30:31], s[26:27], s[4:5]
	s_or_b64 s[4:5], s[14:15], s[12:13]
	s_or_b64 s[4:5], s[4:5], s[30:31]
	v_lshl_add_u64 v[0:1], v[18:19], 0, s[20:21]
	s_nor_b64 s[4:5], s[0:1], s[4:5]
                                        ; implicit-def: $vgpr2
	s_and_saveexec_b64 s[38:39], s[4:5]
	s_xor_b64 s[4:5], exec, s[38:39]
	s_cbranch_execz .LBB10_9
; %bb.8:                                ;   in Loop: Header=BB10_7 Depth=2
	global_load_dword v2, v[0:1], off
.LBB10_9:                               ;   in Loop: Header=BB10_7 Depth=2
	s_andn2_saveexec_b64 s[4:5], s[4:5]
	s_cbranch_execz .LBB10_11
; %bb.10:                               ;   in Loop: Header=BB10_7 Depth=2
	s_waitcnt vmcnt(0)
	v_cndmask_b32_e64 v2, 0, 1.0, s[30:31]
.LBB10_11:                              ;   in Loop: Header=BB10_7 Depth=2
	s_or_b64 exec, exec, s[4:5]
	v_cmp_eq_u64_e64 s[4:5], s[24:25], v[28:29]
	s_and_b64 s[38:39], s[26:27], s[4:5]
	v_cmp_lt_i64_e64 s[4:5], v[22:23], v[4:5]
	s_or_b64 s[4:5], s[14:15], s[4:5]
	s_or_b64 s[4:5], s[4:5], s[38:39]
	s_waitcnt vmcnt(0)
	ds_write_b32 v41, v2
	s_nor_b64 s[4:5], s[16:17], s[4:5]
	v_lshl_add_u64 v[2:3], v[38:39], 0, s[20:21]
	s_and_saveexec_b64 s[14:15], s[4:5]
	s_xor_b64 s[4:5], exec, s[14:15]
	s_cbranch_execz .LBB10_13
; %bb.12:                               ;   in Loop: Header=BB10_7 Depth=2
	global_load_dword v6, v[2:3], off
	s_waitcnt vmcnt(0)
	ds_write_b32 v41, v6 offset:64
.LBB10_13:                              ;   in Loop: Header=BB10_7 Depth=2
	s_andn2_saveexec_b64 s[4:5], s[4:5]
	s_cbranch_execz .LBB10_19
; %bb.14:                               ;   in Loop: Header=BB10_7 Depth=2
	s_xor_b64 s[14:15], s[38:39], -1
	s_and_saveexec_b64 s[38:39], s[14:15]
	s_xor_b64 s[14:15], exec, s[38:39]
; %bb.15:                               ;   in Loop: Header=BB10_7 Depth=2
	ds_write_b32 v41, v13 offset:64
; %bb.16:                               ;   in Loop: Header=BB10_7 Depth=2
	s_andn2_saveexec_b64 s[14:15], s[14:15]
; %bb.17:                               ;   in Loop: Header=BB10_7 Depth=2
	ds_write_b32 v41, v52 offset:64
; %bb.18:                               ;   in Loop: Header=BB10_7 Depth=2
	s_or_b64 exec, exec, s[14:15]
.LBB10_19:                              ;   in Loop: Header=BB10_7 Depth=2
	s_or_b64 exec, exec, s[4:5]
	v_lshl_add_u64 v[4:5], v[4:5], 0, 16
	v_cmp_eq_u64_e64 s[4:5], s[24:25], v[30:31]
	v_cmp_le_i64_e64 s[14:15], s[34:35], v[4:5]
	s_and_b64 s[38:39], s[26:27], s[4:5]
	v_cmp_gt_i64_e64 s[4:5], v[4:5], v[16:17]
	s_or_b64 s[4:5], s[14:15], s[4:5]
	s_or_b64 s[4:5], s[4:5], s[38:39]
	s_nor_b64 s[4:5], s[0:1], s[4:5]
                                        ; implicit-def: $vgpr4
	s_and_saveexec_b64 s[44:45], s[4:5]
	s_xor_b64 s[4:5], exec, s[44:45]
	s_cbranch_execz .LBB10_21
; %bb.20:                               ;   in Loop: Header=BB10_7 Depth=2
	global_load_dword v4, v[0:1], off offset:64
.LBB10_21:                              ;   in Loop: Header=BB10_7 Depth=2
	s_andn2_saveexec_b64 s[4:5], s[4:5]
	s_cbranch_execz .LBB10_23
; %bb.22:                               ;   in Loop: Header=BB10_7 Depth=2
	s_waitcnt vmcnt(0)
	v_cndmask_b32_e64 v4, 0, 1.0, s[38:39]
.LBB10_23:                              ;   in Loop: Header=BB10_7 Depth=2
	s_or_b64 exec, exec, s[4:5]
	s_or_b64 s[4:5], s[14:15], s[12:13]
	s_or_b64 s[4:5], s[4:5], s[30:31]
	s_nor_b64 s[4:5], s[16:17], s[4:5]
	s_waitcnt vmcnt(0)
	ds_write_b32 v41, v4 offset:2048
	s_and_saveexec_b64 s[12:13], s[4:5]
	s_xor_b64 s[4:5], exec, s[12:13]
	s_cbranch_execz .LBB10_25
; %bb.24:                               ;   in Loop: Header=BB10_7 Depth=2
	global_load_dword v0, v[2:3], off offset:64
	s_waitcnt vmcnt(0)
	ds_write_b32 v41, v0 offset:2112
.LBB10_25:                              ;   in Loop: Header=BB10_7 Depth=2
	s_andn2_saveexec_b64 s[4:5], s[4:5]
	s_cbranch_execz .LBB10_31
; %bb.26:                               ;   in Loop: Header=BB10_7 Depth=2
	s_xor_b64 s[12:13], s[30:31], -1
	s_and_saveexec_b64 s[14:15], s[12:13]
	s_xor_b64 s[12:13], exec, s[14:15]
; %bb.27:                               ;   in Loop: Header=BB10_7 Depth=2
	ds_write_b32 v41, v13 offset:2112
; %bb.28:                               ;   in Loop: Header=BB10_7 Depth=2
	s_andn2_saveexec_b64 s[12:13], s[12:13]
; %bb.29:                               ;   in Loop: Header=BB10_7 Depth=2
	ds_write_b32 v41, v52 offset:2112
; %bb.30:                               ;   in Loop: Header=BB10_7 Depth=2
	s_or_b64 exec, exec, s[12:13]
.LBB10_31:                              ;   in Loop: Header=BB10_7 Depth=2
	s_or_b64 exec, exec, s[4:5]
	v_lshl_add_u64 v[2:3], v[14:15], 0, s[24:25]
	v_cmp_gt_i64_e64 s[12:13], s[34:35], v[2:3]
	v_lshl_add_u64 v[0:1], v[42:43], 0, s[20:21]
	s_and_b64 s[14:15], vcc, s[12:13]
	v_mov_b32_e32 v4, 0
	s_and_saveexec_b64 s[4:5], s[14:15]
	s_cbranch_execz .LBB10_33
; %bb.32:                               ;   in Loop: Header=BB10_7 Depth=2
	global_load_dword v4, v[0:1], off offset:-64
.LBB10_33:                              ;   in Loop: Header=BB10_7 Depth=2
	s_or_b64 exec, exec, s[4:5]
	v_cmp_gt_i64_e64 s[14:15], s[40:41], v[2:3]
	s_and_b64 s[4:5], vcc, s[14:15]
	s_xor_b64 s[4:5], s[4:5], -1
	s_waitcnt vmcnt(0)
	ds_write_b32 v51, v4
	s_and_saveexec_b64 s[30:31], s[4:5]
	s_xor_b64 s[4:5], exec, s[30:31]
; %bb.34:                               ;   in Loop: Header=BB10_7 Depth=2
	ds_write_b32 v51, v13 offset:64
                                        ; implicit-def: $vgpr0_vgpr1
; %bb.35:                               ;   in Loop: Header=BB10_7 Depth=2
	s_andn2_saveexec_b64 s[4:5], s[4:5]
	s_cbranch_execz .LBB10_37
; %bb.36:                               ;   in Loop: Header=BB10_7 Depth=2
	global_load_dword v0, v[0:1], off
	s_waitcnt vmcnt(0)
	ds_write_b32 v51, v0 offset:64
.LBB10_37:                              ;   in Loop: Header=BB10_7 Depth=2
	s_or_b64 exec, exec, s[4:5]
	v_lshl_add_u64 v[0:1], v[44:45], 0, s[20:21]
	s_and_b64 s[12:13], s[10:11], s[12:13]
	v_mov_b32_e32 v2, 0
	s_and_saveexec_b64 s[4:5], s[12:13]
	s_cbranch_execz .LBB10_39
; %bb.38:                               ;   in Loop: Header=BB10_7 Depth=2
	global_load_dword v2, v[0:1], off
.LBB10_39:                              ;   in Loop: Header=BB10_7 Depth=2
	s_or_b64 exec, exec, s[4:5]
	s_and_b64 s[4:5], s[10:11], s[14:15]
	s_xor_b64 s[4:5], s[4:5], -1
	s_waitcnt vmcnt(0)
	ds_write_b32 v51, v2 offset:2048
	s_and_saveexec_b64 s[12:13], s[4:5]
	s_xor_b64 s[4:5], exec, s[12:13]
; %bb.40:                               ;   in Loop: Header=BB10_7 Depth=2
	ds_write_b32 v51, v13 offset:2112
                                        ; implicit-def: $vgpr0_vgpr1
; %bb.41:                               ;   in Loop: Header=BB10_7 Depth=2
	s_andn2_saveexec_b64 s[4:5], s[4:5]
	s_cbranch_execz .LBB10_6
; %bb.42:                               ;   in Loop: Header=BB10_7 Depth=2
	global_load_dword v0, v[0:1], off offset:64
	s_waitcnt vmcnt(0)
	ds_write_b32 v51, v0 offset:2112
	s_branch .LBB10_6
.LBB10_43:                              ;   in Loop: Header=BB10_4 Depth=1
	v_mul_lo_u32 v2, s49, v40
	v_mul_lo_u32 v3, s48, v21
	v_mad_u64_u32 v[0:1], s[4:5], s48, v40, 0
	v_cmp_gt_i32_e32 vcc, s46, v40
	v_add3_u32 v1, v1, v3, v2
	v_lshl_add_u64 v[0:1], v[0:1], 2, s[22:23]
	s_and_b64 s[10:11], s[18:19], vcc
	s_and_saveexec_b64 s[4:5], s[10:11]
	s_cbranch_execz .LBB10_45
; %bb.44:                               ;   in Loop: Header=BB10_4 Depth=1
	v_lshl_add_u64 v[2:3], v[16:17], 2, v[0:1]
	global_load_dword v4, v[2:3], off
	s_waitcnt vmcnt(0)
	v_fmac_f32_e32 v4, s33, v48
	global_store_dword v[2:3], v4, off
.LBB10_45:                              ;   in Loop: Header=BB10_4 Depth=1
	s_or_b64 exec, exec, s[4:5]
	s_and_b64 s[10:11], s[6:7], vcc
	s_and_saveexec_b64 s[4:5], s[10:11]
	s_cbranch_execz .LBB10_47
; %bb.46:                               ;   in Loop: Header=BB10_4 Depth=1
	v_lshl_add_u64 v[0:1], v[24:25], 2, v[0:1]
	global_load_dword v2, v[0:1], off
	s_waitcnt vmcnt(0)
	v_fmac_f32_e32 v2, s33, v49
	global_store_dword v[0:1], v2, off
.LBB10_47:                              ;   in Loop: Header=BB10_4 Depth=1
	s_or_b64 exec, exec, s[4:5]
	v_add_u32_e32 v0, 16, v40
	v_ashrrev_i32_e32 v1, 31, v0
	v_cmp_gt_i32_e32 vcc, s46, v0
	v_mul_lo_u32 v2, s48, v1
	v_mul_lo_u32 v3, s49, v0
	v_mad_u64_u32 v[0:1], s[4:5], s48, v0, 0
	v_add3_u32 v1, v1, v2, v3
	v_lshl_add_u64 v[0:1], v[0:1], 2, s[22:23]
	s_and_b64 s[10:11], s[18:19], vcc
	s_and_saveexec_b64 s[4:5], s[10:11]
	s_cbranch_execz .LBB10_49
; %bb.48:                               ;   in Loop: Header=BB10_4 Depth=1
	v_lshl_add_u64 v[2:3], v[16:17], 2, v[0:1]
	global_load_dword v4, v[2:3], off
	s_waitcnt vmcnt(0)
	v_fmac_f32_e32 v4, s33, v46
	global_store_dword v[2:3], v4, off
.LBB10_49:                              ;   in Loop: Header=BB10_4 Depth=1
	s_or_b64 exec, exec, s[4:5]
	s_and_b64 s[10:11], s[6:7], vcc
	s_and_saveexec_b64 s[4:5], s[10:11]
	s_cbranch_execz .LBB10_3
; %bb.50:                               ;   in Loop: Header=BB10_4 Depth=1
	v_lshl_add_u64 v[0:1], v[24:25], 2, v[0:1]
	global_load_dword v2, v[0:1], off
	s_waitcnt vmcnt(0)
	v_fmac_f32_e32 v2, s33, v47
	global_store_dword v[0:1], v2, off
	s_branch .LBB10_3
.LBB10_51:
	s_endpgm
	.section	.rodata,"a",@progbits
	.p2align	6, 0x0
	.amdhsa_kernel _ZL30rocblas_trmm_outofplace_kernelIfLi32ELi2ELb1ELb1ELb1ELb1EPKfS0_fEv17rocblas_diagonal_iiT6_lPT7_lllS5_lllPT8_llli
		.amdhsa_group_segment_fixed_size 8192
		.amdhsa_private_segment_fixed_size 0
		.amdhsa_kernarg_size 392
		.amdhsa_user_sgpr_count 2
		.amdhsa_user_sgpr_dispatch_ptr 0
		.amdhsa_user_sgpr_queue_ptr 0
		.amdhsa_user_sgpr_kernarg_segment_ptr 1
		.amdhsa_user_sgpr_dispatch_id 0
		.amdhsa_user_sgpr_kernarg_preload_length 0
		.amdhsa_user_sgpr_kernarg_preload_offset 0
		.amdhsa_user_sgpr_private_segment_size 0
		.amdhsa_uses_dynamic_stack 0
		.amdhsa_enable_private_segment 0
		.amdhsa_system_sgpr_workgroup_id_x 1
		.amdhsa_system_sgpr_workgroup_id_y 1
		.amdhsa_system_sgpr_workgroup_id_z 1
		.amdhsa_system_sgpr_workgroup_info 0
		.amdhsa_system_vgpr_workitem_id 1
		.amdhsa_next_free_vgpr 92
		.amdhsa_next_free_sgpr 53
		.amdhsa_accum_offset 92
		.amdhsa_reserve_vcc 1
		.amdhsa_float_round_mode_32 0
		.amdhsa_float_round_mode_16_64 0
		.amdhsa_float_denorm_mode_32 3
		.amdhsa_float_denorm_mode_16_64 3
		.amdhsa_dx10_clamp 1
		.amdhsa_ieee_mode 1
		.amdhsa_fp16_overflow 0
		.amdhsa_tg_split 0
		.amdhsa_exception_fp_ieee_invalid_op 0
		.amdhsa_exception_fp_denorm_src 0
		.amdhsa_exception_fp_ieee_div_zero 0
		.amdhsa_exception_fp_ieee_overflow 0
		.amdhsa_exception_fp_ieee_underflow 0
		.amdhsa_exception_fp_ieee_inexact 0
		.amdhsa_exception_int_div_zero 0
	.end_amdhsa_kernel
	.section	.text._ZL30rocblas_trmm_outofplace_kernelIfLi32ELi2ELb1ELb1ELb1ELb1EPKfS0_fEv17rocblas_diagonal_iiT6_lPT7_lllS5_lllPT8_llli,"axG",@progbits,_ZL30rocblas_trmm_outofplace_kernelIfLi32ELi2ELb1ELb1ELb1ELb1EPKfS0_fEv17rocblas_diagonal_iiT6_lPT7_lllS5_lllPT8_llli,comdat
.Lfunc_end10:
	.size	_ZL30rocblas_trmm_outofplace_kernelIfLi32ELi2ELb1ELb1ELb1ELb1EPKfS0_fEv17rocblas_diagonal_iiT6_lPT7_lllS5_lllPT8_llli, .Lfunc_end10-_ZL30rocblas_trmm_outofplace_kernelIfLi32ELi2ELb1ELb1ELb1ELb1EPKfS0_fEv17rocblas_diagonal_iiT6_lPT7_lllS5_lllPT8_llli
                                        ; -- End function
	.set _ZL30rocblas_trmm_outofplace_kernelIfLi32ELi2ELb1ELb1ELb1ELb1EPKfS0_fEv17rocblas_diagonal_iiT6_lPT7_lllS5_lllPT8_llli.num_vgpr, 92
	.set _ZL30rocblas_trmm_outofplace_kernelIfLi32ELi2ELb1ELb1ELb1ELb1EPKfS0_fEv17rocblas_diagonal_iiT6_lPT7_lllS5_lllPT8_llli.num_agpr, 0
	.set _ZL30rocblas_trmm_outofplace_kernelIfLi32ELi2ELb1ELb1ELb1ELb1EPKfS0_fEv17rocblas_diagonal_iiT6_lPT7_lllS5_lllPT8_llli.numbered_sgpr, 53
	.set _ZL30rocblas_trmm_outofplace_kernelIfLi32ELi2ELb1ELb1ELb1ELb1EPKfS0_fEv17rocblas_diagonal_iiT6_lPT7_lllS5_lllPT8_llli.num_named_barrier, 0
	.set _ZL30rocblas_trmm_outofplace_kernelIfLi32ELi2ELb1ELb1ELb1ELb1EPKfS0_fEv17rocblas_diagonal_iiT6_lPT7_lllS5_lllPT8_llli.private_seg_size, 0
	.set _ZL30rocblas_trmm_outofplace_kernelIfLi32ELi2ELb1ELb1ELb1ELb1EPKfS0_fEv17rocblas_diagonal_iiT6_lPT7_lllS5_lllPT8_llli.uses_vcc, 1
	.set _ZL30rocblas_trmm_outofplace_kernelIfLi32ELi2ELb1ELb1ELb1ELb1EPKfS0_fEv17rocblas_diagonal_iiT6_lPT7_lllS5_lllPT8_llli.uses_flat_scratch, 0
	.set _ZL30rocblas_trmm_outofplace_kernelIfLi32ELi2ELb1ELb1ELb1ELb1EPKfS0_fEv17rocblas_diagonal_iiT6_lPT7_lllS5_lllPT8_llli.has_dyn_sized_stack, 0
	.set _ZL30rocblas_trmm_outofplace_kernelIfLi32ELi2ELb1ELb1ELb1ELb1EPKfS0_fEv17rocblas_diagonal_iiT6_lPT7_lllS5_lllPT8_llli.has_recursion, 0
	.set _ZL30rocblas_trmm_outofplace_kernelIfLi32ELi2ELb1ELb1ELb1ELb1EPKfS0_fEv17rocblas_diagonal_iiT6_lPT7_lllS5_lllPT8_llli.has_indirect_call, 0
	.section	.AMDGPU.csdata,"",@progbits
; Kernel info:
; codeLenInByte = 2924
; TotalNumSgprs: 59
; NumVgprs: 92
; NumAgprs: 0
; TotalNumVgprs: 92
; ScratchSize: 0
; MemoryBound: 0
; FloatMode: 240
; IeeeMode: 1
; LDSByteSize: 8192 bytes/workgroup (compile time only)
; SGPRBlocks: 7
; VGPRBlocks: 11
; NumSGPRsForWavesPerEU: 59
; NumVGPRsForWavesPerEU: 92
; AccumOffset: 92
; Occupancy: 5
; WaveLimiterHint : 0
; COMPUTE_PGM_RSRC2:SCRATCH_EN: 0
; COMPUTE_PGM_RSRC2:USER_SGPR: 2
; COMPUTE_PGM_RSRC2:TRAP_HANDLER: 0
; COMPUTE_PGM_RSRC2:TGID_X_EN: 1
; COMPUTE_PGM_RSRC2:TGID_Y_EN: 1
; COMPUTE_PGM_RSRC2:TGID_Z_EN: 1
; COMPUTE_PGM_RSRC2:TIDIG_COMP_CNT: 1
; COMPUTE_PGM_RSRC3_GFX90A:ACCUM_OFFSET: 22
; COMPUTE_PGM_RSRC3_GFX90A:TG_SPLIT: 0
	.section	.text._ZL30rocblas_trmm_outofplace_kernelIfLi32ELi2ELb1ELb1ELb1ELb1EfKffEv17rocblas_diagonal_iiT6_lPT7_lllS4_lllPT8_llli,"axG",@progbits,_ZL30rocblas_trmm_outofplace_kernelIfLi32ELi2ELb1ELb1ELb1ELb1EfKffEv17rocblas_diagonal_iiT6_lPT7_lllS4_lllPT8_llli,comdat
	.globl	_ZL30rocblas_trmm_outofplace_kernelIfLi32ELi2ELb1ELb1ELb1ELb1EfKffEv17rocblas_diagonal_iiT6_lPT7_lllS4_lllPT8_llli ; -- Begin function _ZL30rocblas_trmm_outofplace_kernelIfLi32ELi2ELb1ELb1ELb1ELb1EfKffEv17rocblas_diagonal_iiT6_lPT7_lllS4_lllPT8_llli
	.p2align	8
	.type	_ZL30rocblas_trmm_outofplace_kernelIfLi32ELi2ELb1ELb1ELb1ELb1EfKffEv17rocblas_diagonal_iiT6_lPT7_lllS4_lllPT8_llli,@function
_ZL30rocblas_trmm_outofplace_kernelIfLi32ELi2ELb1ELb1ELb1ELb1EfKffEv17rocblas_diagonal_iiT6_lPT7_lllS4_lllPT8_llli: ; @_ZL30rocblas_trmm_outofplace_kernelIfLi32ELi2ELb1ELb1ELb1ELb1EfKffEv17rocblas_diagonal_iiT6_lPT7_lllS4_lllPT8_llli
; %bb.0:
	s_load_dwordx4 s[24:27], s[0:1], 0x0
	s_waitcnt lgkmcnt(0)
	v_cmp_eq_f32_e64 s[6:7], s27, 0
	s_and_b64 vcc, exec, s[6:7]
	s_cbranch_vccnz .LBB11_51
; %bb.1:
	s_add_i32 s5, s26, -1
	s_ashr_i32 s6, s5, 31
	s_lshr_b32 s6, s6, 27
	s_add_i32 s5, s5, s6
	s_ashr_i32 s33, s5, 5
	s_cmp_gt_i32 s3, s33
	s_cbranch_scc1 .LBB11_51
; %bb.2:
	s_load_dwordx16 s[36:51], s[0:1], 0x18
	s_load_dwordx8 s[16:23], s[0:1], 0x58
	v_and_b32_e32 v14, 0x3ff, v0
	v_bfe_u32 v12, v0, 10, 10
	s_load_dword s54, s[0:1], 0x84
	s_waitcnt lgkmcnt(0)
	s_mul_i32 s5, s43, s4
	s_mul_hi_u32 s7, s42, s4
	s_mul_i32 s6, s42, s4
	s_add_i32 s7, s7, s5
	s_lshl_b64 s[8:9], s[6:7], 2
	s_add_u32 s5, s36, s8
	s_addc_u32 s7, s37, s9
	s_lshl_b64 s[10:11], s[38:39], 2
	s_add_u32 s6, s5, s10
	s_mul_i32 s5, s23, s4
	s_mul_hi_u32 s12, s22, s4
	s_addc_u32 s7, s7, s11
	s_add_i32 s13, s12, s5
	s_mul_i32 s12, s22, s4
	s_lshl_b64 s[12:13], s[12:13], 2
	s_add_u32 s5, s16, s12
	s_addc_u32 s14, s17, s13
	s_lshl_b64 s[12:13], s[18:19], 2
	s_add_u32 s22, s5, s12
	s_addc_u32 s23, s14, s13
	s_lshl_b32 s52, s2, 5
	v_add_u32_e32 v16, s52, v14
	v_mad_u64_u32 v[0:1], s[12:13], s40, v16, 0
	s_cmp_gt_i32 s2, -1
	s_cselect_b64 s[12:13], -1, 0
	s_cmpk_eq_i32 s24, 0x84
	s_cselect_b64 s[28:29], -1, 0
	s_ashr_i32 s31, s25, 31
	s_ashr_i32 s2, s26, 31
	s_add_u32 s34, s25, -16
	s_mul_i32 s5, s51, s4
	s_mul_hi_u32 s14, s50, s4
	s_addc_u32 s35, s31, -1
	s_add_i32 s5, s14, s5
	s_mul_i32 s4, s50, s4
	s_lshl_b64 s[4:5], s[4:5], 2
	s_lshl_b64 s[14:15], s[46:47], 2
	v_ashrrev_i32_e32 v17, 31, v16
	s_add_u32 s4, s4, s14
	v_mul_lo_u32 v2, s40, v17
	v_mul_lo_u32 v3, s41, v16
	s_addc_u32 s5, s5, s15
	v_mov_b32_e32 v13, 0
	v_add3_u32 v1, v1, v2, v3
	v_add_u32_e32 v24, 16, v16
	s_add_u32 s4, s44, s4
	v_lshl_add_u64 v[0:1], v[0:1], 2, s[6:7]
	s_mov_b32 s30, s25
	v_lshlrev_b32_e32 v20, 2, v14
	v_cmp_le_i32_e64 s[0:1], s25, v16
	v_cmp_gt_i32_e64 s[18:19], s25, v16
	v_cmp_gt_i32_e64 s[6:7], s25, v24
	v_mov_b32_e32 v21, v13
	s_addc_u32 s5, s45, s5
	s_lshl_b64 s[24:25], s[48:49], 2
	s_lshl_b32 s44, s54, 5
	v_lshlrev_b32_e32 v2, 2, v12
	v_mov_b32_e32 v3, v13
	v_lshl_add_u64 v[32:33], s[4:5], 0, v[20:21]
	s_add_u32 s4, s10, s8
	v_lshl_add_u64 v[18:19], v[0:1], 0, v[2:3]
	v_lshlrev_b32_e32 v0, 7, v12
	s_addc_u32 s5, s11, s9
	v_add_u32_e32 v41, v20, v0
	v_add_u32_e32 v50, 0x1000, v0
	v_lshl_add_u64 v[0:1], v[16:17], 2, 64
	v_mov_b64_e32 v[4:5], s[4:5]
	v_mul_lo_u32 v6, s40, v1
	v_mul_lo_u32 v7, s41, v0
	v_mad_u64_u32 v[0:1], s[4:5], s40, v0, v[4:5]
	v_add3_u32 v1, v7, v1, v6
	v_sub_co_u32_e32 v26, vcc, v16, v12
	v_lshl_add_u64 v[0:1], v[0:1], 0, v[2:3]
	v_lshl_add_u64 v[22:23], v[16:17], 0, 16
	v_subbrev_co_u32_e32 v27, vcc, 0, v17, vcc
	v_lshl_add_u64 v[38:39], s[36:37], 0, v[0:1]
	v_cndmask_b32_e64 v0, 0, 1, s[12:13]
	v_mov_b32_e32 v15, v13
	s_mov_b32 s53, s26
	v_add_u32_e32 v51, v50, v20
	v_cmp_le_i64_e64 s[16:17], s[30:31], v[22:23]
	v_ashrrev_i32_e32 v25, 31, v24
	v_lshl_add_u64 v[28:29], v[26:27], 0, 16
	v_lshl_add_u64 v[30:31], v[26:27], 0, -16
	v_lshl_add_u64 v[34:35], v[32:33], 0, 64
	v_lshl_add_u32 v36, s3, 5, v12
	v_mov_b32_e32 v52, 1.0
	v_cmp_ne_u32_e64 s[8:9], 1, v0
	v_add_u32_e32 v53, 0x400, v20
	v_add_u32_e32 v54, 0x800, v20
	v_add_u32_e32 v55, 0xc00, v20
	s_branch .LBB11_4
.LBB11_3:                               ;   in Loop: Header=BB11_4 Depth=1
	s_or_b64 exec, exec, s[4:5]
	s_add_i32 s3, s54, s3
	s_cmp_le_i32 s3, s33
	v_add_u32_e32 v36, s44, v36
	s_cbranch_scc0 .LBB11_51
.LBB11_4:                               ; =>This Loop Header: Depth=1
                                        ;     Child Loop BB11_7 Depth 2
	v_lshl_add_u32 v40, s3, 5, v12
	v_ashrrev_i32_e32 v21, 31, v40
	s_and_b64 vcc, exec, s[8:9]
	v_mov_b32_e32 v49, 0
	v_mov_b32_e32 v48, 0
	;; [unrolled: 1-line block ×4, first 2 shown]
	s_cbranch_vccnz .LBB11_43
; %bb.5:                                ;   in Loop: Header=BB11_4 Depth=1
	v_ashrrev_i32_e32 v37, 31, v36
	v_mad_u64_u32 v[42:43], s[4:5], s24, v36, v[34:35]
	v_mul_lo_u32 v0, s25, v36
	v_mul_lo_u32 v1, s24, v37
	v_add3_u32 v43, v0, v43, v1
	v_lshl_add_u64 v[0:1], v[36:37], 2, 64
	v_mul_lo_u32 v1, s48, v1
	v_mul_lo_u32 v2, s49, v0
	v_mad_u64_u32 v[44:45], s[4:5], s48, v0, v[32:33]
	v_add3_u32 v45, v2, v45, v1
	v_mov_b32_e32 v1, s2
	v_sub_co_u32_e32 v0, vcc, s53, v40
	v_mov_b32_e32 v46, 0
	s_nop 0
	v_subb_co_u32_e32 v1, vcc, v1, v21, vcc
	s_mov_b64 s[36:37], 0
	v_cmp_lt_i64_e32 vcc, 0, v[0:1]
	v_cmp_lt_i64_e64 s[10:11], 16, v[0:1]
	s_mov_b64 s[38:39], 0
	v_mov_b32_e32 v47, v46
	v_mov_b32_e32 v48, v46
	;; [unrolled: 1-line block ×3, first 2 shown]
	s_branch .LBB11_7
.LBB11_6:                               ;   in Loop: Header=BB11_7 Depth=2
	s_or_b64 exec, exec, s[4:5]
	s_waitcnt lgkmcnt(0)
	s_barrier
	ds_read_b128 v[56:59], v50
	ds_read_b128 v[60:63], v50 offset:16
	ds_read_b128 v[4:7], v50 offset:32
	;; [unrolled: 1-line block ×3, first 2 shown]
	ds_read2_b32 v[72:73], v20 offset1:16
	ds_read2_b32 v[74:75], v20 offset0:32 offset1:48
	ds_read2_b32 v[76:77], v20 offset0:64 offset1:80
	ds_read2_b32 v[78:79], v20 offset0:96 offset1:112
	ds_read2_b32 v[80:81], v20 offset0:128 offset1:144
	ds_read_b128 v[64:67], v50 offset:2048
	ds_read_b128 v[68:71], v50 offset:2064
	ds_read2_b32 v[82:83], v20 offset0:160 offset1:176
	ds_read2_b32 v[84:85], v20 offset0:192 offset1:208
	;; [unrolled: 1-line block ×3, first 2 shown]
	ds_read2_b32 v[88:89], v53 offset1:16
	ds_read_b128 v[8:11], v50 offset:2080
	ds_read2_b32 v[90:91], v53 offset0:32 offset1:48
	s_waitcnt lgkmcnt(12)
	v_pk_fma_f32 v[48:49], v[72:73], v[56:57], v[48:49] op_sel_hi:[1,0,1]
	s_waitcnt lgkmcnt(7)
	v_pk_fma_f32 v[46:47], v[72:73], v[64:65], v[46:47] op_sel_hi:[1,0,1]
	v_pk_fma_f32 v[48:49], v[74:75], v[56:57], v[48:49] op_sel:[0,1,0]
	v_mov_b32_e32 v56, v59
	v_pk_fma_f32 v[48:49], v[76:77], v[58:59], v[48:49] op_sel_hi:[1,0,1]
	v_pk_fma_f32 v[46:47], v[74:75], v[64:65], v[46:47] op_sel:[0,1,0]
	v_pk_fma_f32 v[48:49], v[78:79], v[56:57], v[48:49] op_sel_hi:[1,0,1]
	v_mov_b32_e32 v56, v63
	v_pk_fma_f32 v[48:49], v[80:81], v[60:61], v[48:49] op_sel_hi:[1,0,1]
	v_pk_fma_f32 v[46:47], v[76:77], v[66:67], v[46:47] op_sel_hi:[1,0,1]
	s_waitcnt lgkmcnt(5)
	v_pk_fma_f32 v[48:49], v[82:83], v[60:61], v[48:49] op_sel:[0,1,0]
	s_add_u32 s38, s38, 32
	s_waitcnt lgkmcnt(4)
	v_pk_fma_f32 v[48:49], v[84:85], v[62:63], v[48:49] op_sel_hi:[1,0,1]
	s_addc_u32 s39, s39, 0
	s_waitcnt lgkmcnt(3)
	v_pk_fma_f32 v[48:49], v[86:87], v[56:57], v[48:49] op_sel_hi:[1,0,1]
	s_sub_i32 s4, s38, 32
	s_waitcnt lgkmcnt(2)
	v_pk_fma_f32 v[48:49], v[88:89], v[4:5], v[48:49] op_sel_hi:[1,0,1]
	s_add_u32 s36, s36, 0x80
	s_waitcnt lgkmcnt(0)
	v_pk_fma_f32 v[4:5], v[90:91], v[4:5], v[48:49] op_sel:[0,1,0]
	v_mov_b32_e32 v48, v67
	v_pk_fma_f32 v[46:47], v[78:79], v[48:49], v[46:47] op_sel_hi:[1,0,1]
	v_mov_b32_e32 v48, v71
	v_pk_fma_f32 v[46:47], v[80:81], v[68:69], v[46:47] op_sel_hi:[1,0,1]
	s_addc_u32 s37, s37, 0
	v_pk_fma_f32 v[46:47], v[82:83], v[68:69], v[46:47] op_sel:[0,1,0]
	s_cmp_ge_i32 s4, s52
	v_pk_fma_f32 v[46:47], v[84:85], v[70:71], v[46:47] op_sel_hi:[1,0,1]
	s_nop 0
	v_pk_fma_f32 v[56:57], v[86:87], v[48:49], v[46:47] op_sel_hi:[1,0,1]
	ds_read_b128 v[46:49], v50 offset:2096
	v_pk_fma_f32 v[56:57], v[88:89], v[8:9], v[56:57] op_sel_hi:[1,0,1]
	s_nop 0
	v_pk_fma_f32 v[8:9], v[90:91], v[8:9], v[56:57] op_sel:[0,1,0]
	ds_read2_b32 v[64:65], v53 offset0:64 offset1:80
	ds_read2_b32 v[66:67], v53 offset0:96 offset1:112
	;; [unrolled: 1-line block ×6, first 2 shown]
	ds_read2_b32 v[76:77], v54 offset1:16
	ds_read2_b32 v[78:79], v54 offset0:32 offset1:48
	ds_read2_b32 v[80:81], v54 offset0:64 offset1:80
	ds_read2_b32 v[82:83], v54 offset0:96 offset1:112
	ds_read_b128 v[56:59], v50 offset:64
	ds_read_b128 v[60:63], v50 offset:80
	ds_read2_b32 v[84:85], v54 offset0:128 offset1:144
	s_waitcnt lgkmcnt(12)
	v_pk_fma_f32 v[4:5], v[64:65], v[6:7], v[4:5] op_sel_hi:[1,0,1]
	v_mov_b32_e32 v6, v7
	s_waitcnt lgkmcnt(11)
	v_pk_fma_f32 v[4:5], v[66:67], v[6:7], v[4:5] op_sel_hi:[1,0,1]
	v_pk_fma_f32 v[8:9], v[64:65], v[10:11], v[8:9] op_sel_hi:[1,0,1]
	s_waitcnt lgkmcnt(10)
	v_pk_fma_f32 v[4:5], v[68:69], v[0:1], v[4:5] op_sel_hi:[1,0,1]
	v_mov_b32_e32 v10, v11
	s_waitcnt lgkmcnt(9)
	v_pk_fma_f32 v[0:1], v[70:71], v[0:1], v[4:5] op_sel:[0,1,0]
	v_pk_fma_f32 v[8:9], v[66:67], v[10:11], v[8:9] op_sel_hi:[1,0,1]
	s_waitcnt lgkmcnt(8)
	v_pk_fma_f32 v[0:1], v[72:73], v[2:3], v[0:1] op_sel_hi:[1,0,1]
	v_mov_b32_e32 v2, v3
	s_waitcnt lgkmcnt(7)
	v_pk_fma_f32 v[0:1], v[74:75], v[2:3], v[0:1] op_sel_hi:[1,0,1]
	s_waitcnt lgkmcnt(2)
	v_mov_b32_e32 v2, v59
	v_pk_fma_f32 v[0:1], v[76:77], v[56:57], v[0:1] op_sel_hi:[1,0,1]
	v_pk_fma_f32 v[8:9], v[68:69], v[46:47], v[8:9] op_sel_hi:[1,0,1]
	v_pk_fma_f32 v[0:1], v[78:79], v[56:57], v[0:1] op_sel:[0,1,0]
	v_pk_fma_f32 v[8:9], v[70:71], v[46:47], v[8:9] op_sel:[0,1,0]
	v_pk_fma_f32 v[0:1], v[80:81], v[58:59], v[0:1] op_sel_hi:[1,0,1]
	v_pk_fma_f32 v[8:9], v[72:73], v[48:49], v[8:9] op_sel_hi:[1,0,1]
	;; [unrolled: 1-line block ×3, first 2 shown]
	v_mov_b32_e32 v10, v49
	s_waitcnt lgkmcnt(0)
	v_pk_fma_f32 v[86:87], v[84:85], v[60:61], v[0:1] op_sel_hi:[1,0,1]
	ds_read_b128 v[0:3], v50 offset:2112
	ds_read_b128 v[4:7], v50 offset:2128
	v_pk_fma_f32 v[8:9], v[74:75], v[10:11], v[8:9] op_sel_hi:[1,0,1]
	s_waitcnt lgkmcnt(1)
	v_pk_fma_f32 v[8:9], v[76:77], v[0:1], v[8:9] op_sel_hi:[1,0,1]
	s_nop 0
	v_pk_fma_f32 v[0:1], v[78:79], v[0:1], v[8:9] op_sel:[0,1,0]
	s_nop 0
	v_pk_fma_f32 v[0:1], v[80:81], v[2:3], v[0:1] op_sel_hi:[1,0,1]
	v_mov_b32_e32 v2, v3
	v_pk_fma_f32 v[0:1], v[82:83], v[2:3], v[0:1] op_sel_hi:[1,0,1]
	s_waitcnt lgkmcnt(0)
	v_pk_fma_f32 v[46:47], v[84:85], v[4:5], v[0:1] op_sel_hi:[1,0,1]
	ds_read2_b32 v[68:69], v54 offset0:160 offset1:176
	ds_read2_b32 v[70:71], v54 offset0:192 offset1:208
	ds_read2_b32 v[72:73], v54 offset0:224 offset1:240
	ds_read2_b32 v[74:75], v55 offset1:16
	ds_read2_b32 v[76:77], v55 offset0:32 offset1:48
	ds_read2_b32 v[78:79], v55 offset0:64 offset1:80
	ds_read2_b32 v[80:81], v55 offset0:96 offset1:112
	ds_read_b128 v[0:3], v50 offset:96
	ds_read_b128 v[8:11], v50 offset:112
	ds_read2_b32 v[82:83], v55 offset0:128 offset1:144
	ds_read_b128 v[56:59], v50 offset:2144
	ds_read_b128 v[64:67], v50 offset:2160
	ds_read2_b32 v[84:85], v55 offset0:160 offset1:176
	ds_read2_b32 v[88:89], v55 offset0:192 offset1:208
	;; [unrolled: 1-line block ×3, first 2 shown]
	s_waitcnt lgkmcnt(14)
	v_pk_fma_f32 v[48:49], v[68:69], v[60:61], v[86:87] op_sel:[0,1,0]
	v_mov_b32_e32 v60, v63
	s_waitcnt lgkmcnt(13)
	v_pk_fma_f32 v[48:49], v[70:71], v[62:63], v[48:49] op_sel_hi:[1,0,1]
	s_waitcnt lgkmcnt(0)
	v_pk_fma_f32 v[48:49], v[72:73], v[60:61], v[48:49] op_sel_hi:[1,0,1]
	s_barrier
	v_pk_fma_f32 v[48:49], v[74:75], v[0:1], v[48:49] op_sel_hi:[1,0,1]
	s_nop 0
	v_pk_fma_f32 v[0:1], v[76:77], v[0:1], v[48:49] op_sel:[0,1,0]
	s_nop 0
	v_pk_fma_f32 v[0:1], v[78:79], v[2:3], v[0:1] op_sel_hi:[1,0,1]
	v_mov_b32_e32 v2, v3
	v_pk_fma_f32 v[0:1], v[80:81], v[2:3], v[0:1] op_sel_hi:[1,0,1]
	v_mov_b32_e32 v2, v11
	v_pk_fma_f32 v[0:1], v[82:83], v[8:9], v[0:1] op_sel_hi:[1,0,1]
	s_nop 0
	v_pk_fma_f32 v[0:1], v[84:85], v[8:9], v[0:1] op_sel:[0,1,0]
	s_nop 0
	v_pk_fma_f32 v[0:1], v[88:89], v[10:11], v[0:1] op_sel_hi:[1,0,1]
	s_nop 0
	v_pk_fma_f32 v[48:49], v[90:91], v[2:3], v[0:1] op_sel_hi:[1,0,1]
	v_pk_fma_f32 v[0:1], v[68:69], v[4:5], v[46:47] op_sel:[0,1,0]
	v_mov_b32_e32 v2, v7
	v_pk_fma_f32 v[0:1], v[70:71], v[6:7], v[0:1] op_sel_hi:[1,0,1]
	s_nop 0
	v_pk_fma_f32 v[0:1], v[72:73], v[2:3], v[0:1] op_sel_hi:[1,0,1]
	v_mov_b32_e32 v2, v59
	v_pk_fma_f32 v[0:1], v[74:75], v[56:57], v[0:1] op_sel_hi:[1,0,1]
	s_nop 0
	v_pk_fma_f32 v[0:1], v[76:77], v[56:57], v[0:1] op_sel:[0,1,0]
	s_nop 0
	v_pk_fma_f32 v[0:1], v[78:79], v[58:59], v[0:1] op_sel_hi:[1,0,1]
	s_nop 0
	v_pk_fma_f32 v[0:1], v[80:81], v[2:3], v[0:1] op_sel_hi:[1,0,1]
	v_mov_b32_e32 v2, v67
	v_pk_fma_f32 v[0:1], v[82:83], v[64:65], v[0:1] op_sel_hi:[1,0,1]
	s_nop 0
	v_pk_fma_f32 v[0:1], v[84:85], v[64:65], v[0:1] op_sel:[0,1,0]
	s_nop 0
	v_pk_fma_f32 v[0:1], v[88:89], v[66:67], v[0:1] op_sel_hi:[1,0,1]
	s_nop 0
	v_pk_fma_f32 v[46:47], v[90:91], v[2:3], v[0:1] op_sel_hi:[1,0,1]
	s_cbranch_scc1 .LBB11_43
.LBB11_7:                               ;   Parent Loop BB11_4 Depth=1
                                        ; =>  This Inner Loop Header: Depth=2
	v_lshl_add_u64 v[4:5], v[12:13], 0, s[38:39]
	v_cmp_le_i64_e64 s[14:15], s[30:31], v[4:5]
	v_cmp_eq_u64_e64 s[4:5], s[38:39], v[26:27]
	v_cmp_gt_i64_e64 s[12:13], v[4:5], v[16:17]
	s_and_b64 s[40:41], s[28:29], s[4:5]
	s_or_b64 s[4:5], s[14:15], s[12:13]
	s_or_b64 s[4:5], s[4:5], s[40:41]
	v_lshl_add_u64 v[0:1], v[18:19], 0, s[36:37]
	s_nor_b64 s[4:5], s[0:1], s[4:5]
                                        ; implicit-def: $vgpr2
	s_and_saveexec_b64 s[42:43], s[4:5]
	s_xor_b64 s[4:5], exec, s[42:43]
	s_cbranch_execz .LBB11_9
; %bb.8:                                ;   in Loop: Header=BB11_7 Depth=2
	global_load_dword v2, v[0:1], off
.LBB11_9:                               ;   in Loop: Header=BB11_7 Depth=2
	s_andn2_saveexec_b64 s[4:5], s[4:5]
	s_cbranch_execz .LBB11_11
; %bb.10:                               ;   in Loop: Header=BB11_7 Depth=2
	s_waitcnt vmcnt(0)
	v_cndmask_b32_e64 v2, 0, 1.0, s[40:41]
.LBB11_11:                              ;   in Loop: Header=BB11_7 Depth=2
	s_or_b64 exec, exec, s[4:5]
	v_cmp_eq_u64_e64 s[4:5], s[38:39], v[28:29]
	s_and_b64 s[42:43], s[28:29], s[4:5]
	v_cmp_lt_i64_e64 s[4:5], v[22:23], v[4:5]
	s_or_b64 s[4:5], s[14:15], s[4:5]
	s_or_b64 s[4:5], s[4:5], s[42:43]
	s_waitcnt vmcnt(0)
	ds_write_b32 v41, v2
	s_nor_b64 s[4:5], s[16:17], s[4:5]
	v_lshl_add_u64 v[2:3], v[38:39], 0, s[36:37]
	s_and_saveexec_b64 s[14:15], s[4:5]
	s_xor_b64 s[4:5], exec, s[14:15]
	s_cbranch_execz .LBB11_13
; %bb.12:                               ;   in Loop: Header=BB11_7 Depth=2
	global_load_dword v6, v[2:3], off
	s_waitcnt vmcnt(0)
	ds_write_b32 v41, v6 offset:64
.LBB11_13:                              ;   in Loop: Header=BB11_7 Depth=2
	s_andn2_saveexec_b64 s[4:5], s[4:5]
	s_cbranch_execz .LBB11_19
; %bb.14:                               ;   in Loop: Header=BB11_7 Depth=2
	s_xor_b64 s[14:15], s[42:43], -1
	s_and_saveexec_b64 s[42:43], s[14:15]
	s_xor_b64 s[14:15], exec, s[42:43]
; %bb.15:                               ;   in Loop: Header=BB11_7 Depth=2
	ds_write_b32 v41, v13 offset:64
; %bb.16:                               ;   in Loop: Header=BB11_7 Depth=2
	s_andn2_saveexec_b64 s[14:15], s[14:15]
; %bb.17:                               ;   in Loop: Header=BB11_7 Depth=2
	ds_write_b32 v41, v52 offset:64
; %bb.18:                               ;   in Loop: Header=BB11_7 Depth=2
	s_or_b64 exec, exec, s[14:15]
.LBB11_19:                              ;   in Loop: Header=BB11_7 Depth=2
	s_or_b64 exec, exec, s[4:5]
	v_lshl_add_u64 v[4:5], v[4:5], 0, 16
	v_cmp_eq_u64_e64 s[4:5], s[38:39], v[30:31]
	v_cmp_le_i64_e64 s[14:15], s[30:31], v[4:5]
	s_and_b64 s[42:43], s[28:29], s[4:5]
	v_cmp_gt_i64_e64 s[4:5], v[4:5], v[16:17]
	s_or_b64 s[4:5], s[14:15], s[4:5]
	s_or_b64 s[4:5], s[4:5], s[42:43]
	s_nor_b64 s[4:5], s[0:1], s[4:5]
                                        ; implicit-def: $vgpr4
	s_and_saveexec_b64 s[46:47], s[4:5]
	s_xor_b64 s[4:5], exec, s[46:47]
	s_cbranch_execz .LBB11_21
; %bb.20:                               ;   in Loop: Header=BB11_7 Depth=2
	global_load_dword v4, v[0:1], off offset:64
.LBB11_21:                              ;   in Loop: Header=BB11_7 Depth=2
	s_andn2_saveexec_b64 s[4:5], s[4:5]
	s_cbranch_execz .LBB11_23
; %bb.22:                               ;   in Loop: Header=BB11_7 Depth=2
	s_waitcnt vmcnt(0)
	v_cndmask_b32_e64 v4, 0, 1.0, s[42:43]
.LBB11_23:                              ;   in Loop: Header=BB11_7 Depth=2
	s_or_b64 exec, exec, s[4:5]
	s_or_b64 s[4:5], s[14:15], s[12:13]
	s_or_b64 s[4:5], s[4:5], s[40:41]
	s_nor_b64 s[4:5], s[16:17], s[4:5]
	s_waitcnt vmcnt(0)
	ds_write_b32 v41, v4 offset:2048
	s_and_saveexec_b64 s[12:13], s[4:5]
	s_xor_b64 s[4:5], exec, s[12:13]
	s_cbranch_execz .LBB11_25
; %bb.24:                               ;   in Loop: Header=BB11_7 Depth=2
	global_load_dword v0, v[2:3], off offset:64
	s_waitcnt vmcnt(0)
	ds_write_b32 v41, v0 offset:2112
.LBB11_25:                              ;   in Loop: Header=BB11_7 Depth=2
	s_andn2_saveexec_b64 s[4:5], s[4:5]
	s_cbranch_execz .LBB11_31
; %bb.26:                               ;   in Loop: Header=BB11_7 Depth=2
	s_xor_b64 s[12:13], s[40:41], -1
	s_and_saveexec_b64 s[14:15], s[12:13]
	s_xor_b64 s[12:13], exec, s[14:15]
; %bb.27:                               ;   in Loop: Header=BB11_7 Depth=2
	ds_write_b32 v41, v13 offset:2112
; %bb.28:                               ;   in Loop: Header=BB11_7 Depth=2
	s_andn2_saveexec_b64 s[12:13], s[12:13]
; %bb.29:                               ;   in Loop: Header=BB11_7 Depth=2
	ds_write_b32 v41, v52 offset:2112
; %bb.30:                               ;   in Loop: Header=BB11_7 Depth=2
	s_or_b64 exec, exec, s[12:13]
.LBB11_31:                              ;   in Loop: Header=BB11_7 Depth=2
	s_or_b64 exec, exec, s[4:5]
	v_lshl_add_u64 v[2:3], v[14:15], 0, s[38:39]
	v_cmp_gt_i64_e64 s[12:13], s[30:31], v[2:3]
	v_lshl_add_u64 v[0:1], v[42:43], 0, s[36:37]
	s_and_b64 s[14:15], vcc, s[12:13]
	v_mov_b32_e32 v4, 0
	s_and_saveexec_b64 s[4:5], s[14:15]
	s_cbranch_execz .LBB11_33
; %bb.32:                               ;   in Loop: Header=BB11_7 Depth=2
	global_load_dword v4, v[0:1], off offset:-64
.LBB11_33:                              ;   in Loop: Header=BB11_7 Depth=2
	s_or_b64 exec, exec, s[4:5]
	v_cmp_gt_i64_e64 s[14:15], s[34:35], v[2:3]
	s_and_b64 s[4:5], vcc, s[14:15]
	s_xor_b64 s[4:5], s[4:5], -1
	s_waitcnt vmcnt(0)
	ds_write_b32 v51, v4
	s_and_saveexec_b64 s[40:41], s[4:5]
	s_xor_b64 s[4:5], exec, s[40:41]
; %bb.34:                               ;   in Loop: Header=BB11_7 Depth=2
	ds_write_b32 v51, v13 offset:64
                                        ; implicit-def: $vgpr0_vgpr1
; %bb.35:                               ;   in Loop: Header=BB11_7 Depth=2
	s_andn2_saveexec_b64 s[4:5], s[4:5]
	s_cbranch_execz .LBB11_37
; %bb.36:                               ;   in Loop: Header=BB11_7 Depth=2
	global_load_dword v0, v[0:1], off
	s_waitcnt vmcnt(0)
	ds_write_b32 v51, v0 offset:64
.LBB11_37:                              ;   in Loop: Header=BB11_7 Depth=2
	s_or_b64 exec, exec, s[4:5]
	v_lshl_add_u64 v[0:1], v[44:45], 0, s[36:37]
	s_and_b64 s[12:13], s[10:11], s[12:13]
	v_mov_b32_e32 v2, 0
	s_and_saveexec_b64 s[4:5], s[12:13]
	s_cbranch_execz .LBB11_39
; %bb.38:                               ;   in Loop: Header=BB11_7 Depth=2
	global_load_dword v2, v[0:1], off
.LBB11_39:                              ;   in Loop: Header=BB11_7 Depth=2
	s_or_b64 exec, exec, s[4:5]
	s_and_b64 s[4:5], s[10:11], s[14:15]
	s_xor_b64 s[4:5], s[4:5], -1
	s_waitcnt vmcnt(0)
	ds_write_b32 v51, v2 offset:2048
	s_and_saveexec_b64 s[12:13], s[4:5]
	s_xor_b64 s[4:5], exec, s[12:13]
; %bb.40:                               ;   in Loop: Header=BB11_7 Depth=2
	ds_write_b32 v51, v13 offset:2112
                                        ; implicit-def: $vgpr0_vgpr1
; %bb.41:                               ;   in Loop: Header=BB11_7 Depth=2
	s_andn2_saveexec_b64 s[4:5], s[4:5]
	s_cbranch_execz .LBB11_6
; %bb.42:                               ;   in Loop: Header=BB11_7 Depth=2
	global_load_dword v0, v[0:1], off offset:64
	s_waitcnt vmcnt(0)
	ds_write_b32 v51, v0 offset:2112
	s_branch .LBB11_6
.LBB11_43:                              ;   in Loop: Header=BB11_4 Depth=1
	v_mul_lo_u32 v2, s21, v40
	v_mul_lo_u32 v3, s20, v21
	v_mad_u64_u32 v[0:1], s[4:5], s20, v40, 0
	v_cmp_gt_i32_e32 vcc, s26, v40
	v_add3_u32 v1, v1, v3, v2
	v_lshl_add_u64 v[0:1], v[0:1], 2, s[22:23]
	s_and_b64 s[10:11], s[18:19], vcc
	s_and_saveexec_b64 s[4:5], s[10:11]
	s_cbranch_execz .LBB11_45
; %bb.44:                               ;   in Loop: Header=BB11_4 Depth=1
	v_lshl_add_u64 v[2:3], v[16:17], 2, v[0:1]
	global_load_dword v4, v[2:3], off
	s_waitcnt vmcnt(0)
	v_fmac_f32_e32 v4, s27, v48
	global_store_dword v[2:3], v4, off
.LBB11_45:                              ;   in Loop: Header=BB11_4 Depth=1
	s_or_b64 exec, exec, s[4:5]
	s_and_b64 s[10:11], s[6:7], vcc
	s_and_saveexec_b64 s[4:5], s[10:11]
	s_cbranch_execz .LBB11_47
; %bb.46:                               ;   in Loop: Header=BB11_4 Depth=1
	v_lshl_add_u64 v[0:1], v[24:25], 2, v[0:1]
	global_load_dword v2, v[0:1], off
	s_waitcnt vmcnt(0)
	v_fmac_f32_e32 v2, s27, v49
	global_store_dword v[0:1], v2, off
.LBB11_47:                              ;   in Loop: Header=BB11_4 Depth=1
	s_or_b64 exec, exec, s[4:5]
	v_add_u32_e32 v0, 16, v40
	v_ashrrev_i32_e32 v1, 31, v0
	v_cmp_gt_i32_e32 vcc, s26, v0
	v_mul_lo_u32 v2, s20, v1
	v_mul_lo_u32 v3, s21, v0
	v_mad_u64_u32 v[0:1], s[4:5], s20, v0, 0
	v_add3_u32 v1, v1, v2, v3
	v_lshl_add_u64 v[0:1], v[0:1], 2, s[22:23]
	s_and_b64 s[10:11], s[18:19], vcc
	s_and_saveexec_b64 s[4:5], s[10:11]
	s_cbranch_execz .LBB11_49
; %bb.48:                               ;   in Loop: Header=BB11_4 Depth=1
	v_lshl_add_u64 v[2:3], v[16:17], 2, v[0:1]
	global_load_dword v4, v[2:3], off
	s_waitcnt vmcnt(0)
	v_fmac_f32_e32 v4, s27, v46
	global_store_dword v[2:3], v4, off
.LBB11_49:                              ;   in Loop: Header=BB11_4 Depth=1
	s_or_b64 exec, exec, s[4:5]
	s_and_b64 s[10:11], s[6:7], vcc
	s_and_saveexec_b64 s[4:5], s[10:11]
	s_cbranch_execz .LBB11_3
; %bb.50:                               ;   in Loop: Header=BB11_4 Depth=1
	v_lshl_add_u64 v[0:1], v[24:25], 2, v[0:1]
	global_load_dword v2, v[0:1], off
	s_waitcnt vmcnt(0)
	v_fmac_f32_e32 v2, s27, v47
	global_store_dword v[0:1], v2, off
	s_branch .LBB11_3
.LBB11_51:
	s_endpgm
	.section	.rodata,"a",@progbits
	.p2align	6, 0x0
	.amdhsa_kernel _ZL30rocblas_trmm_outofplace_kernelIfLi32ELi2ELb1ELb1ELb1ELb1EfKffEv17rocblas_diagonal_iiT6_lPT7_lllS4_lllPT8_llli
		.amdhsa_group_segment_fixed_size 8192
		.amdhsa_private_segment_fixed_size 0
		.amdhsa_kernarg_size 384
		.amdhsa_user_sgpr_count 2
		.amdhsa_user_sgpr_dispatch_ptr 0
		.amdhsa_user_sgpr_queue_ptr 0
		.amdhsa_user_sgpr_kernarg_segment_ptr 1
		.amdhsa_user_sgpr_dispatch_id 0
		.amdhsa_user_sgpr_kernarg_preload_length 0
		.amdhsa_user_sgpr_kernarg_preload_offset 0
		.amdhsa_user_sgpr_private_segment_size 0
		.amdhsa_uses_dynamic_stack 0
		.amdhsa_enable_private_segment 0
		.amdhsa_system_sgpr_workgroup_id_x 1
		.amdhsa_system_sgpr_workgroup_id_y 1
		.amdhsa_system_sgpr_workgroup_id_z 1
		.amdhsa_system_sgpr_workgroup_info 0
		.amdhsa_system_vgpr_workitem_id 1
		.amdhsa_next_free_vgpr 92
		.amdhsa_next_free_sgpr 55
		.amdhsa_accum_offset 92
		.amdhsa_reserve_vcc 1
		.amdhsa_float_round_mode_32 0
		.amdhsa_float_round_mode_16_64 0
		.amdhsa_float_denorm_mode_32 3
		.amdhsa_float_denorm_mode_16_64 3
		.amdhsa_dx10_clamp 1
		.amdhsa_ieee_mode 1
		.amdhsa_fp16_overflow 0
		.amdhsa_tg_split 0
		.amdhsa_exception_fp_ieee_invalid_op 0
		.amdhsa_exception_fp_denorm_src 0
		.amdhsa_exception_fp_ieee_div_zero 0
		.amdhsa_exception_fp_ieee_overflow 0
		.amdhsa_exception_fp_ieee_underflow 0
		.amdhsa_exception_fp_ieee_inexact 0
		.amdhsa_exception_int_div_zero 0
	.end_amdhsa_kernel
	.section	.text._ZL30rocblas_trmm_outofplace_kernelIfLi32ELi2ELb1ELb1ELb1ELb1EfKffEv17rocblas_diagonal_iiT6_lPT7_lllS4_lllPT8_llli,"axG",@progbits,_ZL30rocblas_trmm_outofplace_kernelIfLi32ELi2ELb1ELb1ELb1ELb1EfKffEv17rocblas_diagonal_iiT6_lPT7_lllS4_lllPT8_llli,comdat
.Lfunc_end11:
	.size	_ZL30rocblas_trmm_outofplace_kernelIfLi32ELi2ELb1ELb1ELb1ELb1EfKffEv17rocblas_diagonal_iiT6_lPT7_lllS4_lllPT8_llli, .Lfunc_end11-_ZL30rocblas_trmm_outofplace_kernelIfLi32ELi2ELb1ELb1ELb1ELb1EfKffEv17rocblas_diagonal_iiT6_lPT7_lllS4_lllPT8_llli
                                        ; -- End function
	.set _ZL30rocblas_trmm_outofplace_kernelIfLi32ELi2ELb1ELb1ELb1ELb1EfKffEv17rocblas_diagonal_iiT6_lPT7_lllS4_lllPT8_llli.num_vgpr, 92
	.set _ZL30rocblas_trmm_outofplace_kernelIfLi32ELi2ELb1ELb1ELb1ELb1EfKffEv17rocblas_diagonal_iiT6_lPT7_lllS4_lllPT8_llli.num_agpr, 0
	.set _ZL30rocblas_trmm_outofplace_kernelIfLi32ELi2ELb1ELb1ELb1ELb1EfKffEv17rocblas_diagonal_iiT6_lPT7_lllS4_lllPT8_llli.numbered_sgpr, 55
	.set _ZL30rocblas_trmm_outofplace_kernelIfLi32ELi2ELb1ELb1ELb1ELb1EfKffEv17rocblas_diagonal_iiT6_lPT7_lllS4_lllPT8_llli.num_named_barrier, 0
	.set _ZL30rocblas_trmm_outofplace_kernelIfLi32ELi2ELb1ELb1ELb1ELb1EfKffEv17rocblas_diagonal_iiT6_lPT7_lllS4_lllPT8_llli.private_seg_size, 0
	.set _ZL30rocblas_trmm_outofplace_kernelIfLi32ELi2ELb1ELb1ELb1ELb1EfKffEv17rocblas_diagonal_iiT6_lPT7_lllS4_lllPT8_llli.uses_vcc, 1
	.set _ZL30rocblas_trmm_outofplace_kernelIfLi32ELi2ELb1ELb1ELb1ELb1EfKffEv17rocblas_diagonal_iiT6_lPT7_lllS4_lllPT8_llli.uses_flat_scratch, 0
	.set _ZL30rocblas_trmm_outofplace_kernelIfLi32ELi2ELb1ELb1ELb1ELb1EfKffEv17rocblas_diagonal_iiT6_lPT7_lllS4_lllPT8_llli.has_dyn_sized_stack, 0
	.set _ZL30rocblas_trmm_outofplace_kernelIfLi32ELi2ELb1ELb1ELb1ELb1EfKffEv17rocblas_diagonal_iiT6_lPT7_lllS4_lllPT8_llli.has_recursion, 0
	.set _ZL30rocblas_trmm_outofplace_kernelIfLi32ELi2ELb1ELb1ELb1ELb1EfKffEv17rocblas_diagonal_iiT6_lPT7_lllS4_lllPT8_llli.has_indirect_call, 0
	.section	.AMDGPU.csdata,"",@progbits
; Kernel info:
; codeLenInByte = 2876
; TotalNumSgprs: 61
; NumVgprs: 92
; NumAgprs: 0
; TotalNumVgprs: 92
; ScratchSize: 0
; MemoryBound: 0
; FloatMode: 240
; IeeeMode: 1
; LDSByteSize: 8192 bytes/workgroup (compile time only)
; SGPRBlocks: 7
; VGPRBlocks: 11
; NumSGPRsForWavesPerEU: 61
; NumVGPRsForWavesPerEU: 92
; AccumOffset: 92
; Occupancy: 5
; WaveLimiterHint : 0
; COMPUTE_PGM_RSRC2:SCRATCH_EN: 0
; COMPUTE_PGM_RSRC2:USER_SGPR: 2
; COMPUTE_PGM_RSRC2:TRAP_HANDLER: 0
; COMPUTE_PGM_RSRC2:TGID_X_EN: 1
; COMPUTE_PGM_RSRC2:TGID_Y_EN: 1
; COMPUTE_PGM_RSRC2:TGID_Z_EN: 1
; COMPUTE_PGM_RSRC2:TIDIG_COMP_CNT: 1
; COMPUTE_PGM_RSRC3_GFX90A:ACCUM_OFFSET: 22
; COMPUTE_PGM_RSRC3_GFX90A:TG_SPLIT: 0
	.section	.text._ZL30rocblas_trmm_outofplace_kernelIfLi32ELi2ELb0ELb0ELb0ELb0EPKfS0_fEv17rocblas_diagonal_iiT6_lPT7_lllS5_lllPT8_llli,"axG",@progbits,_ZL30rocblas_trmm_outofplace_kernelIfLi32ELi2ELb0ELb0ELb0ELb0EPKfS0_fEv17rocblas_diagonal_iiT6_lPT7_lllS5_lllPT8_llli,comdat
	.globl	_ZL30rocblas_trmm_outofplace_kernelIfLi32ELi2ELb0ELb0ELb0ELb0EPKfS0_fEv17rocblas_diagonal_iiT6_lPT7_lllS5_lllPT8_llli ; -- Begin function _ZL30rocblas_trmm_outofplace_kernelIfLi32ELi2ELb0ELb0ELb0ELb0EPKfS0_fEv17rocblas_diagonal_iiT6_lPT7_lllS5_lllPT8_llli
	.p2align	8
	.type	_ZL30rocblas_trmm_outofplace_kernelIfLi32ELi2ELb0ELb0ELb0ELb0EPKfS0_fEv17rocblas_diagonal_iiT6_lPT7_lllS5_lllPT8_llli,@function
_ZL30rocblas_trmm_outofplace_kernelIfLi32ELi2ELb0ELb0ELb0ELb0EPKfS0_fEv17rocblas_diagonal_iiT6_lPT7_lllS5_lllPT8_llli: ; @_ZL30rocblas_trmm_outofplace_kernelIfLi32ELi2ELb0ELb0ELb0ELb0EPKfS0_fEv17rocblas_diagonal_iiT6_lPT7_lllS5_lllPT8_llli
; %bb.0:
	s_load_dwordx16 s[16:31], s[0:1], 0x10
	s_waitcnt lgkmcnt(0)
	s_mul_i32 s5, s19, s4
	s_mul_hi_u32 s6, s18, s4
	s_add_i32 s7, s6, s5
	s_mul_i32 s6, s18, s4
	s_lshl_b64 s[6:7], s[6:7], 2
	s_add_u32 s6, s16, s6
	s_addc_u32 s7, s17, s7
	s_load_dword s33, s[6:7], 0x0
	s_waitcnt lgkmcnt(0)
	v_cmp_eq_f32_e64 s[6:7], s33, 0
	s_and_b64 vcc, exec, s[6:7]
	s_cbranch_vccnz .LBB12_51
; %bb.1:
	s_load_dwordx4 s[44:47], s[0:1], 0x0
	s_waitcnt lgkmcnt(0)
	s_add_i32 s5, s46, -1
	s_ashr_i32 s6, s5, 31
	s_lshr_b32 s6, s6, 27
	s_add_i32 s5, s5, s6
	s_ashr_i32 s56, s5, 5
	s_cmp_gt_i32 s3, s56
	s_cbranch_scc1 .LBB12_51
; %bb.2:
	s_load_dwordx4 s[48:51], s[0:1], 0x70
	s_load_dwordx8 s[36:43], s[0:1], 0x50
	s_load_dword s57, s[0:1], 0x8c
	v_bfe_u32 v48, v0, 10, 10
	v_and_b32_e32 v2, 0x3ff, v0
	v_lshl_add_u32 v12, s2, 5, v2
	s_waitcnt lgkmcnt(0)
	s_mul_i32 s0, s51, s4
	s_mul_hi_u32 s1, s50, s4
	s_add_i32 s1, s1, s0
	s_mul_i32 s0, s50, s4
	s_lshl_b64 s[0:1], s[0:1], 2
	s_add_u32 s5, s40, s0
	s_addc_u32 s6, s41, s1
	s_lshl_b64 s[0:1], s[42:43], 2
	s_add_u32 s34, s5, s0
	s_addc_u32 s35, s6, s1
	s_cmpk_eq_i32 s44, 0x84
	s_cselect_b64 s[40:41], -1, 0
	s_ashr_i32 s47, s46, 31
	s_ashr_i32 s0, s45, 31
	s_lshl_b64 s[42:43], s[36:37], 7
	s_add_u32 s50, s46, -16
	s_addc_u32 s51, s47, -1
	s_lshl_b32 s5, s3, 5
	v_add_u32_e32 v16, s5, v2
	v_add_u32_e32 v18, s5, v48
	s_mul_i32 s5, s27, s4
	s_mul_hi_u32 s6, s26, s4
	s_add_i32 s7, s6, s5
	s_mul_i32 s6, s26, s4
	s_lshl_b32 s2, s57, 5
	s_lshl_b64 s[6:7], s[6:7], 2
	s_lshl_b64 s[8:9], s[22:23], 2
	s_add_u32 s5, s6, s8
	s_addc_u32 s6, s7, s9
	s_add_u32 s20, s20, s5
	s_addc_u32 s21, s21, s6
	s_add_u32 s22, s28, 64
	s_mul_i32 s5, s39, s4
	s_mul_hi_u32 s6, s38, s4
	s_addc_u32 s23, s29, 0
	s_add_i32 s5, s6, s5
	s_mul_i32 s4, s38, s4
	s_lshl_b64 s[26:27], s[36:37], 2
	s_lshl_b64 s[4:5], s[4:5], 2
	;; [unrolled: 1-line block ×3, first 2 shown]
	v_ashrrev_i32_e32 v13, 31, v12
	v_lshlrev_b32_e32 v3, 2, v2
	v_mov_b32_e32 v1, s0
	v_sub_co_u32_e32 v0, vcc, s45, v12
	s_add_u32 s4, s4, s6
	v_lshlrev_b32_e32 v49, 7, v48
	v_subb_co_u32_e32 v1, vcc, v1, v13, vcc
	v_or_b32_e32 v51, 0x1000, v3
	v_add_u32_e32 v14, 16, v12
	s_addc_u32 s5, s5, s7
	v_add_u32_e32 v50, v49, v3
	v_add_u32_e32 v52, v51, v49
	v_cmp_gt_i64_e32 vcc, 1, v[0:1]
	v_cmp_gt_i64_e64 s[0:1], 17, v[0:1]
	v_cmp_gt_i32_e64 s[16:17], s45, v12
	v_cmp_gt_i32_e64 s[18:19], s45, v14
	v_ashrrev_i32_e32 v15, 31, v14
	v_lshl_add_u64 v[20:21], v[12:13], 2, s[4:5]
	s_lshl_b64 s[30:31], s[24:25], 2
	v_mov_b32_e32 v53, 0
	v_mov_b32_e32 v54, 1.0
	s_mov_b64 s[38:39], 0x80
	s_branch .LBB12_4
.LBB12_3:                               ;   in Loop: Header=BB12_4 Depth=1
	s_or_b64 exec, exec, s[4:5]
	s_add_i32 s3, s57, s3
	v_add_u32_e32 v16, s2, v16
	s_cmp_le_i32 s3, s56
	v_add_u32_e32 v18, s2, v18
	s_cbranch_scc0 .LBB12_51
.LBB12_4:                               ; =>This Loop Header: Depth=1
                                        ;     Child Loop BB12_7 Depth 2
	s_lshl_b32 s4, s3, 5
	v_add_u32_e32 v22, s4, v48
	s_sub_i32 s58, s46, s4
	v_ashrrev_i32_e32 v17, 31, v16
	v_ashrrev_i32_e32 v19, 31, v18
	;; [unrolled: 1-line block ×3, first 2 shown]
	s_cmp_lt_i32 s58, 1
	v_mov_b32_e32 v47, 0
	v_mov_b32_e32 v46, 0
	;; [unrolled: 1-line block ×4, first 2 shown]
	s_cbranch_scc1 .LBB12_43
; %bb.5:                                ;   in Loop: Header=BB12_4 Depth=1
	v_sub_co_u32_e64 v24, s[4:5], v18, v16
	v_lshl_add_u64 v[0:1], v[18:19], 2, 64
	v_mov_b64_e32 v[2:3], s[20:21]
	v_subb_co_u32_e64 v25, s[4:5], v19, v17, s[4:5]
	v_mul_lo_u32 v4, s24, v1
	v_mul_lo_u32 v5, s25, v0
	v_mad_u64_u32 v[28:29], s[4:5], s24, v0, v[2:3]
	v_add3_u32 v29, v5, v29, v4
	v_mov_b64_e32 v[4:5], s[22:23]
	v_mad_u64_u32 v[32:33], s[4:5], s30, v18, v[2:3]
	v_mul_lo_u32 v2, s30, v19
	v_mul_lo_u32 v3, s31, v18
	v_mad_u64_u32 v[30:31], s[4:5], s26, v18, v[4:5]
	v_mul_lo_u32 v4, s26, v19
	v_mul_lo_u32 v5, s27, v18
	v_add3_u32 v33, v3, v33, v2
	v_mov_b64_e32 v[2:3], s[28:29]
	v_add3_u32 v31, v5, v31, v4
	v_mul_lo_u32 v1, s36, v1
	v_mul_lo_u32 v4, s37, v0
	v_mad_u64_u32 v[34:35], s[4:5], s36, v0, v[2:3]
	v_lshl_add_u64 v[36:37], v[22:23], 0, 16
	v_mov_b32_e32 v44, 0
	v_lshlrev_b64 v[26:27], 2, v[16:17]
	v_add3_u32 v35, v4, v35, v1
	v_cmp_le_i32_e64 s[6:7], s46, v22
	v_cmp_le_i64_e64 s[8:9], s[46:47], v[36:37]
	v_lshl_add_u64 v[38:39], v[24:25], 0, 16
	v_lshl_add_u64 v[40:41], v[24:25], 0, -16
	s_mov_b64 s[44:45], 0
	v_mov_b64_e32 v[42:43], v[20:21]
	v_mov_b32_e32 v45, v44
	v_mov_b32_e32 v46, v44
	v_mov_b32_e32 v47, v44
	s_branch .LBB12_7
.LBB12_6:                               ;   in Loop: Header=BB12_7 Depth=2
	s_or_b64 exec, exec, s[4:5]
	s_waitcnt lgkmcnt(0)
	s_barrier
	ds_read_b128 v[56:59], v49
	ds_read_b128 v[60:63], v49 offset:16
	ds_read_b128 v[4:7], v49 offset:32
	;; [unrolled: 1-line block ×3, first 2 shown]
	ds_read2_b32 v[72:73], v51 offset1:16
	ds_read2_b32 v[74:75], v51 offset0:32 offset1:48
	ds_read2_b32 v[76:77], v51 offset0:64 offset1:80
	;; [unrolled: 1-line block ×4, first 2 shown]
	ds_read_b128 v[64:67], v49 offset:2048
	ds_read_b128 v[68:71], v49 offset:2064
	ds_read2_b32 v[82:83], v51 offset0:160 offset1:176
	ds_read2_b32 v[84:85], v51 offset0:192 offset1:208
	;; [unrolled: 1-line block ×3, first 2 shown]
	s_waitcnt lgkmcnt(9)
	v_pk_fma_f32 v[46:47], v[72:73], v[56:57], v[46:47] op_sel_hi:[1,0,1]
	v_add_u32_e32 v55, 0x400, v51
	s_waitcnt lgkmcnt(8)
	v_pk_fma_f32 v[46:47], v[74:75], v[56:57], v[46:47] op_sel:[0,1,0]
	v_mov_b32_e32 v56, v59
	s_waitcnt lgkmcnt(7)
	v_pk_fma_f32 v[46:47], v[76:77], v[58:59], v[46:47] op_sel_hi:[1,0,1]
	ds_read2_b32 v[88:89], v55 offset1:16
	ds_read_b128 v[8:11], v49 offset:2080
	s_waitcnt lgkmcnt(8)
	v_pk_fma_f32 v[46:47], v[78:79], v[56:57], v[46:47] op_sel_hi:[1,0,1]
	ds_read2_b32 v[58:59], v55 offset0:32 offset1:48
	s_waitcnt lgkmcnt(8)
	v_pk_fma_f32 v[46:47], v[80:81], v[60:61], v[46:47] op_sel_hi:[1,0,1]
	v_mov_b32_e32 v56, v63
	s_waitcnt lgkmcnt(5)
	v_pk_fma_f32 v[46:47], v[82:83], v[60:61], v[46:47] op_sel:[0,1,0]
	v_pk_fma_f32 v[44:45], v[72:73], v[64:65], v[44:45] op_sel_hi:[1,0,1]
	s_waitcnt lgkmcnt(4)
	v_pk_fma_f32 v[46:47], v[84:85], v[62:63], v[46:47] op_sel_hi:[1,0,1]
	v_pk_fma_f32 v[44:45], v[74:75], v[64:65], v[44:45] op_sel:[0,1,0]
	s_waitcnt lgkmcnt(3)
	v_pk_fma_f32 v[46:47], v[86:87], v[56:57], v[46:47] op_sel_hi:[1,0,1]
	v_pk_fma_f32 v[44:45], v[76:77], v[66:67], v[44:45] op_sel_hi:[1,0,1]
	s_waitcnt lgkmcnt(2)
	v_pk_fma_f32 v[46:47], v[88:89], v[4:5], v[46:47] op_sel_hi:[1,0,1]
	s_add_u32 s44, s44, 32
	s_waitcnt lgkmcnt(0)
	v_pk_fma_f32 v[4:5], v[58:59], v[4:5], v[46:47] op_sel:[0,1,0]
	v_mov_b32_e32 v46, v67
	v_pk_fma_f32 v[44:45], v[78:79], v[46:47], v[44:45] op_sel_hi:[1,0,1]
	v_mov_b32_e32 v46, v71
	v_pk_fma_f32 v[44:45], v[80:81], v[68:69], v[44:45] op_sel_hi:[1,0,1]
	s_addc_u32 s45, s45, 0
	v_pk_fma_f32 v[44:45], v[82:83], v[68:69], v[44:45] op_sel:[0,1,0]
	v_lshl_add_u64 v[28:29], v[28:29], 0, s[38:39]
	v_pk_fma_f32 v[44:45], v[84:85], v[70:71], v[44:45] op_sel_hi:[1,0,1]
	v_lshl_add_u64 v[42:43], v[42:43], 0, s[42:43]
	v_pk_fma_f32 v[56:57], v[86:87], v[46:47], v[44:45] op_sel_hi:[1,0,1]
	ds_read_b128 v[44:47], v49 offset:2096
	ds_read2_b32 v[64:65], v55 offset0:64 offset1:80
	ds_read2_b32 v[66:67], v55 offset0:96 offset1:112
	;; [unrolled: 1-line block ×6, first 2 shown]
	s_waitcnt lgkmcnt(5)
	v_pk_fma_f32 v[4:5], v[64:65], v[6:7], v[4:5] op_sel_hi:[1,0,1]
	v_mov_b32_e32 v6, v7
	s_waitcnt lgkmcnt(4)
	v_pk_fma_f32 v[4:5], v[66:67], v[6:7], v[4:5] op_sel_hi:[1,0,1]
	v_pk_fma_f32 v[56:57], v[88:89], v[8:9], v[56:57] op_sel_hi:[1,0,1]
	v_add_u32_e32 v55, 0x800, v51
	s_waitcnt lgkmcnt(3)
	v_pk_fma_f32 v[4:5], v[68:69], v[0:1], v[4:5] op_sel_hi:[1,0,1]
	v_pk_fma_f32 v[8:9], v[58:59], v[8:9], v[56:57] op_sel:[0,1,0]
	ds_read2_b32 v[76:77], v55 offset1:16
	ds_read2_b32 v[78:79], v55 offset0:32 offset1:48
	ds_read2_b32 v[80:81], v55 offset0:64 offset1:80
	;; [unrolled: 1-line block ×3, first 2 shown]
	ds_read_b128 v[56:59], v49 offset:64
	ds_read_b128 v[60:63], v49 offset:80
	ds_read2_b32 v[84:85], v55 offset0:128 offset1:144
	s_waitcnt lgkmcnt(9)
	v_pk_fma_f32 v[0:1], v[70:71], v[0:1], v[4:5] op_sel:[0,1,0]
	v_pk_fma_f32 v[8:9], v[64:65], v[10:11], v[8:9] op_sel_hi:[1,0,1]
	s_waitcnt lgkmcnt(8)
	v_pk_fma_f32 v[0:1], v[72:73], v[2:3], v[0:1] op_sel_hi:[1,0,1]
	v_mov_b32_e32 v2, v3
	s_waitcnt lgkmcnt(7)
	v_pk_fma_f32 v[0:1], v[74:75], v[2:3], v[0:1] op_sel_hi:[1,0,1]
	s_waitcnt lgkmcnt(2)
	v_mov_b32_e32 v2, v59
	v_pk_fma_f32 v[0:1], v[76:77], v[56:57], v[0:1] op_sel_hi:[1,0,1]
	v_mov_b32_e32 v10, v11
	v_pk_fma_f32 v[0:1], v[78:79], v[56:57], v[0:1] op_sel:[0,1,0]
	v_pk_fma_f32 v[8:9], v[66:67], v[10:11], v[8:9] op_sel_hi:[1,0,1]
	v_pk_fma_f32 v[0:1], v[80:81], v[58:59], v[0:1] op_sel_hi:[1,0,1]
	;; [unrolled: 1-line block ×4, first 2 shown]
	v_pk_fma_f32 v[8:9], v[70:71], v[44:45], v[8:9] op_sel:[0,1,0]
	s_waitcnt lgkmcnt(0)
	v_pk_fma_f32 v[86:87], v[84:85], v[60:61], v[0:1] op_sel_hi:[1,0,1]
	ds_read_b128 v[0:3], v49 offset:2112
	ds_read_b128 v[4:7], v49 offset:2128
	v_pk_fma_f32 v[8:9], v[72:73], v[46:47], v[8:9] op_sel_hi:[1,0,1]
	v_mov_b32_e32 v10, v47
	v_pk_fma_f32 v[8:9], v[74:75], v[10:11], v[8:9] op_sel_hi:[1,0,1]
	ds_read2_b32 v[68:69], v55 offset0:160 offset1:176
	ds_read2_b32 v[70:71], v55 offset0:192 offset1:208
	;; [unrolled: 1-line block ×3, first 2 shown]
	s_waitcnt lgkmcnt(4)
	v_pk_fma_f32 v[8:9], v[76:77], v[0:1], v[8:9] op_sel_hi:[1,0,1]
	v_add_u32_e32 v46, 0xc00, v51
	v_pk_fma_f32 v[0:1], v[78:79], v[0:1], v[8:9] op_sel:[0,1,0]
	s_cmp_ge_i32 s44, s58
	v_pk_fma_f32 v[0:1], v[80:81], v[2:3], v[0:1] op_sel_hi:[1,0,1]
	v_mov_b32_e32 v2, v3
	v_pk_fma_f32 v[0:1], v[82:83], v[2:3], v[0:1] op_sel_hi:[1,0,1]
	v_lshl_add_u64 v[32:33], v[32:33], 0, s[38:39]
	s_waitcnt lgkmcnt(3)
	v_pk_fma_f32 v[44:45], v[84:85], v[4:5], v[0:1] op_sel_hi:[1,0,1]
	ds_read2_b32 v[74:75], v46 offset1:16
	ds_read2_b32 v[76:77], v46 offset0:32 offset1:48
	ds_read2_b32 v[78:79], v46 offset0:64 offset1:80
	;; [unrolled: 1-line block ×3, first 2 shown]
	ds_read_b128 v[0:3], v49 offset:96
	ds_read_b128 v[8:11], v49 offset:112
	ds_read2_b32 v[82:83], v46 offset0:128 offset1:144
	ds_read_b128 v[56:59], v49 offset:2144
	ds_read_b128 v[64:67], v49 offset:2160
	ds_read2_b32 v[84:85], v46 offset0:160 offset1:176
	ds_read2_b32 v[88:89], v46 offset0:192 offset1:208
	;; [unrolled: 1-line block ×3, first 2 shown]
	s_waitcnt lgkmcnt(14)
	v_pk_fma_f32 v[46:47], v[68:69], v[60:61], v[86:87] op_sel:[0,1,0]
	v_mov_b32_e32 v60, v63
	s_waitcnt lgkmcnt(13)
	v_pk_fma_f32 v[46:47], v[70:71], v[62:63], v[46:47] op_sel_hi:[1,0,1]
	s_waitcnt lgkmcnt(0)
	v_pk_fma_f32 v[46:47], v[72:73], v[60:61], v[46:47] op_sel_hi:[1,0,1]
	s_barrier
	v_pk_fma_f32 v[46:47], v[74:75], v[0:1], v[46:47] op_sel_hi:[1,0,1]
	s_nop 0
	v_pk_fma_f32 v[0:1], v[76:77], v[0:1], v[46:47] op_sel:[0,1,0]
	s_nop 0
	v_pk_fma_f32 v[0:1], v[78:79], v[2:3], v[0:1] op_sel_hi:[1,0,1]
	v_mov_b32_e32 v2, v3
	v_pk_fma_f32 v[0:1], v[80:81], v[2:3], v[0:1] op_sel_hi:[1,0,1]
	v_mov_b32_e32 v2, v11
	v_pk_fma_f32 v[0:1], v[82:83], v[8:9], v[0:1] op_sel_hi:[1,0,1]
	s_nop 0
	v_pk_fma_f32 v[0:1], v[84:85], v[8:9], v[0:1] op_sel:[0,1,0]
	s_nop 0
	v_pk_fma_f32 v[0:1], v[88:89], v[10:11], v[0:1] op_sel_hi:[1,0,1]
	s_nop 0
	v_pk_fma_f32 v[46:47], v[90:91], v[2:3], v[0:1] op_sel_hi:[1,0,1]
	v_pk_fma_f32 v[0:1], v[68:69], v[4:5], v[44:45] op_sel:[0,1,0]
	v_mov_b32_e32 v2, v7
	v_pk_fma_f32 v[0:1], v[70:71], v[6:7], v[0:1] op_sel_hi:[1,0,1]
	s_nop 0
	v_pk_fma_f32 v[0:1], v[72:73], v[2:3], v[0:1] op_sel_hi:[1,0,1]
	v_mov_b32_e32 v2, v59
	v_pk_fma_f32 v[0:1], v[74:75], v[56:57], v[0:1] op_sel_hi:[1,0,1]
	s_nop 0
	v_pk_fma_f32 v[0:1], v[76:77], v[56:57], v[0:1] op_sel:[0,1,0]
	s_nop 0
	v_pk_fma_f32 v[0:1], v[78:79], v[58:59], v[0:1] op_sel_hi:[1,0,1]
	s_nop 0
	v_pk_fma_f32 v[0:1], v[80:81], v[2:3], v[0:1] op_sel_hi:[1,0,1]
	v_mov_b32_e32 v2, v67
	v_pk_fma_f32 v[0:1], v[82:83], v[64:65], v[0:1] op_sel_hi:[1,0,1]
	s_nop 0
	v_pk_fma_f32 v[0:1], v[84:85], v[64:65], v[0:1] op_sel:[0,1,0]
	s_nop 0
	v_pk_fma_f32 v[0:1], v[88:89], v[66:67], v[0:1] op_sel_hi:[1,0,1]
	s_nop 0
	v_pk_fma_f32 v[44:45], v[90:91], v[2:3], v[0:1] op_sel_hi:[1,0,1]
	s_cbranch_scc1 .LBB12_43
.LBB12_7:                               ;   Parent Loop BB12_4 Depth=1
                                        ; =>  This Inner Loop Header: Depth=2
	v_lshl_add_u64 v[0:1], v[16:17], 0, s[44:45]
	v_cmp_eq_u64_e64 s[4:5], s[44:45], v[24:25]
	v_cmp_lt_i64_e64 s[10:11], v[0:1], v[22:23]
	s_and_b64 s[52:53], s[40:41], s[4:5]
	v_cmp_le_i64_e64 s[12:13], s[46:47], v[0:1]
	s_or_b64 s[4:5], s[6:7], s[10:11]
	s_or_b64 s[4:5], s[12:13], s[4:5]
	v_lshl_add_u64 v[2:3], v[32:33], 0, v[26:27]
	s_nor_b64 s[4:5], s[4:5], s[52:53]
                                        ; implicit-def: $vgpr4
	s_and_saveexec_b64 s[14:15], s[4:5]
	s_xor_b64 s[4:5], exec, s[14:15]
	s_cbranch_execz .LBB12_9
; %bb.8:                                ;   in Loop: Header=BB12_7 Depth=2
	global_load_dword v4, v[2:3], off
.LBB12_9:                               ;   in Loop: Header=BB12_7 Depth=2
	s_andn2_saveexec_b64 s[4:5], s[4:5]
	s_cbranch_execz .LBB12_11
; %bb.10:                               ;   in Loop: Header=BB12_7 Depth=2
	s_waitcnt vmcnt(0)
	v_cndmask_b32_e64 v4, 0, 1.0, s[52:53]
.LBB12_11:                              ;   in Loop: Header=BB12_7 Depth=2
	s_or_b64 exec, exec, s[4:5]
	s_waitcnt vmcnt(0)
	ds_write_b32 v50, v4
	v_lshl_add_u64 v[4:5], v[0:1], 0, 16
	v_cmp_eq_u64_e64 s[4:5], s[44:45], v[40:41]
	s_and_b64 s[54:55], s[40:41], s[4:5]
	v_cmp_lt_i64_e64 s[4:5], v[4:5], v[22:23]
	v_cmp_le_i64_e64 s[14:15], s[46:47], v[4:5]
	s_or_b64 s[4:5], s[6:7], s[4:5]
	s_or_b64 s[4:5], s[14:15], s[4:5]
	s_nor_b64 s[4:5], s[4:5], s[54:55]
	s_and_saveexec_b64 s[60:61], s[4:5]
	s_xor_b64 s[4:5], exec, s[60:61]
	s_cbranch_execz .LBB12_13
; %bb.12:                               ;   in Loop: Header=BB12_7 Depth=2
	global_load_dword v2, v[2:3], off offset:64
	s_waitcnt vmcnt(0)
	ds_write_b32 v50, v2 offset:64
.LBB12_13:                              ;   in Loop: Header=BB12_7 Depth=2
	s_andn2_saveexec_b64 s[4:5], s[4:5]
	s_cbranch_execz .LBB12_19
; %bb.14:                               ;   in Loop: Header=BB12_7 Depth=2
	s_xor_b64 s[54:55], s[54:55], -1
	s_and_saveexec_b64 s[60:61], s[54:55]
	s_xor_b64 s[54:55], exec, s[60:61]
; %bb.15:                               ;   in Loop: Header=BB12_7 Depth=2
	ds_write_b32 v50, v53 offset:64
; %bb.16:                               ;   in Loop: Header=BB12_7 Depth=2
	s_andn2_saveexec_b64 s[54:55], s[54:55]
; %bb.17:                               ;   in Loop: Header=BB12_7 Depth=2
	ds_write_b32 v50, v54 offset:64
; %bb.18:                               ;   in Loop: Header=BB12_7 Depth=2
	s_or_b64 exec, exec, s[54:55]
.LBB12_19:                              ;   in Loop: Header=BB12_7 Depth=2
	s_or_b64 exec, exec, s[4:5]
	v_cmp_eq_u64_e64 s[4:5], s[44:45], v[38:39]
	s_and_b64 s[54:55], s[40:41], s[4:5]
	v_cmp_lt_i64_e64 s[4:5], v[0:1], v[36:37]
	s_or_b64 s[4:5], s[8:9], s[4:5]
	s_or_b64 s[4:5], s[4:5], s[54:55]
	v_lshl_add_u64 v[2:3], v[28:29], 0, v[26:27]
	s_nor_b64 s[4:5], s[12:13], s[4:5]
                                        ; implicit-def: $vgpr0
	s_and_saveexec_b64 s[12:13], s[4:5]
	s_xor_b64 s[4:5], exec, s[12:13]
	s_cbranch_execz .LBB12_21
; %bb.20:                               ;   in Loop: Header=BB12_7 Depth=2
	global_load_dword v0, v[2:3], off
.LBB12_21:                              ;   in Loop: Header=BB12_7 Depth=2
	s_andn2_saveexec_b64 s[4:5], s[4:5]
	s_cbranch_execz .LBB12_23
; %bb.22:                               ;   in Loop: Header=BB12_7 Depth=2
	s_waitcnt vmcnt(0)
	v_cndmask_b32_e64 v0, 0, 1.0, s[54:55]
.LBB12_23:                              ;   in Loop: Header=BB12_7 Depth=2
	s_or_b64 exec, exec, s[4:5]
	s_or_b64 s[4:5], s[8:9], s[10:11]
	s_or_b64 s[4:5], s[14:15], s[4:5]
	s_nor_b64 s[4:5], s[4:5], s[52:53]
	s_waitcnt vmcnt(0)
	ds_write_b32 v50, v0 offset:2048
	s_and_saveexec_b64 s[10:11], s[4:5]
	s_xor_b64 s[4:5], exec, s[10:11]
	s_cbranch_execz .LBB12_25
; %bb.24:                               ;   in Loop: Header=BB12_7 Depth=2
	global_load_dword v0, v[2:3], off offset:64
	s_waitcnt vmcnt(0)
	ds_write_b32 v50, v0 offset:2112
.LBB12_25:                              ;   in Loop: Header=BB12_7 Depth=2
	s_andn2_saveexec_b64 s[4:5], s[4:5]
	s_cbranch_execz .LBB12_31
; %bb.26:                               ;   in Loop: Header=BB12_7 Depth=2
	s_xor_b64 s[10:11], s[52:53], -1
	s_and_saveexec_b64 s[12:13], s[10:11]
	s_xor_b64 s[10:11], exec, s[12:13]
; %bb.27:                               ;   in Loop: Header=BB12_7 Depth=2
	ds_write_b32 v50, v53 offset:2112
; %bb.28:                               ;   in Loop: Header=BB12_7 Depth=2
	s_andn2_saveexec_b64 s[10:11], s[10:11]
; %bb.29:                               ;   in Loop: Header=BB12_7 Depth=2
	ds_write_b32 v50, v54 offset:2112
; %bb.30:                               ;   in Loop: Header=BB12_7 Depth=2
	s_or_b64 exec, exec, s[10:11]
.LBB12_31:                              ;   in Loop: Header=BB12_7 Depth=2
	s_or_b64 exec, exec, s[4:5]
	v_lshl_add_u64 v[0:1], v[18:19], 0, s[44:45]
	v_cmp_le_i64_e64 s[10:11], s[46:47], v[0:1]
	v_lshl_add_u64 v[2:3], v[30:31], 0, v[42:43]
	s_nor_b64 s[12:13], s[10:11], vcc
	v_mov_b32_e32 v4, 0
	s_and_saveexec_b64 s[4:5], s[12:13]
	s_cbranch_execz .LBB12_33
; %bb.32:                               ;   in Loop: Header=BB12_7 Depth=2
	global_load_dword v4, v[2:3], off offset:-64
.LBB12_33:                              ;   in Loop: Header=BB12_7 Depth=2
	s_or_b64 exec, exec, s[4:5]
	s_nor_b64 s[4:5], s[10:11], s[0:1]
	s_waitcnt vmcnt(0)
	ds_write_b32 v52, v4
	s_and_saveexec_b64 s[10:11], s[4:5]
	s_xor_b64 s[4:5], exec, s[10:11]
	s_cbranch_execz .LBB12_35
; %bb.34:                               ;   in Loop: Header=BB12_7 Depth=2
	global_load_dword v2, v[2:3], off
	s_waitcnt vmcnt(0)
	ds_write_b32 v52, v2 offset:64
.LBB12_35:                              ;   in Loop: Header=BB12_7 Depth=2
	s_andn2_saveexec_b64 s[4:5], s[4:5]
; %bb.36:                               ;   in Loop: Header=BB12_7 Depth=2
	ds_write_b32 v52, v53 offset:64
; %bb.37:                               ;   in Loop: Header=BB12_7 Depth=2
	s_or_b64 exec, exec, s[4:5]
	v_cmp_le_i64_e64 s[10:11], s[50:51], v[0:1]
	v_lshl_add_u64 v[0:1], v[34:35], 0, v[42:43]
	s_nor_b64 s[12:13], s[10:11], vcc
	v_mov_b32_e32 v2, 0
	s_and_saveexec_b64 s[4:5], s[12:13]
	s_cbranch_execz .LBB12_39
; %bb.38:                               ;   in Loop: Header=BB12_7 Depth=2
	global_load_dword v2, v[0:1], off
.LBB12_39:                              ;   in Loop: Header=BB12_7 Depth=2
	s_or_b64 exec, exec, s[4:5]
	s_nor_b64 s[4:5], s[10:11], s[0:1]
	s_waitcnt vmcnt(0)
	ds_write_b32 v52, v2 offset:2048
	s_and_saveexec_b64 s[10:11], s[4:5]
	s_xor_b64 s[4:5], exec, s[10:11]
	s_cbranch_execz .LBB12_41
; %bb.40:                               ;   in Loop: Header=BB12_7 Depth=2
	global_load_dword v0, v[0:1], off offset:64
	s_waitcnt vmcnt(0)
	ds_write_b32 v52, v0 offset:2112
.LBB12_41:                              ;   in Loop: Header=BB12_7 Depth=2
	s_andn2_saveexec_b64 s[4:5], s[4:5]
	s_cbranch_execz .LBB12_6
; %bb.42:                               ;   in Loop: Header=BB12_7 Depth=2
	ds_write_b32 v52, v53 offset:2112
	s_branch .LBB12_6
.LBB12_43:                              ;   in Loop: Header=BB12_4 Depth=1
	v_mul_lo_u32 v2, s49, v22
	v_mul_lo_u32 v3, s48, v23
	v_mad_u64_u32 v[0:1], s[4:5], s48, v22, 0
	v_cmp_gt_i32_e64 s[6:7], s46, v22
	v_add3_u32 v1, v1, v3, v2
	v_lshl_add_u64 v[0:1], v[0:1], 2, s[34:35]
	s_and_b64 s[8:9], s[16:17], s[6:7]
	s_and_saveexec_b64 s[4:5], s[8:9]
	s_cbranch_execz .LBB12_45
; %bb.44:                               ;   in Loop: Header=BB12_4 Depth=1
	v_lshl_add_u64 v[2:3], v[12:13], 2, v[0:1]
	global_load_dword v4, v[2:3], off
	s_waitcnt vmcnt(0)
	v_fmac_f32_e32 v4, s33, v46
	global_store_dword v[2:3], v4, off
.LBB12_45:                              ;   in Loop: Header=BB12_4 Depth=1
	s_or_b64 exec, exec, s[4:5]
	s_and_b64 s[6:7], s[18:19], s[6:7]
	s_and_saveexec_b64 s[4:5], s[6:7]
	s_cbranch_execz .LBB12_47
; %bb.46:                               ;   in Loop: Header=BB12_4 Depth=1
	v_lshl_add_u64 v[0:1], v[14:15], 2, v[0:1]
	global_load_dword v2, v[0:1], off
	s_waitcnt vmcnt(0)
	v_fmac_f32_e32 v2, s33, v47
	global_store_dword v[0:1], v2, off
.LBB12_47:                              ;   in Loop: Header=BB12_4 Depth=1
	s_or_b64 exec, exec, s[4:5]
	v_add_u32_e32 v0, 16, v22
	v_ashrrev_i32_e32 v1, 31, v0
	v_cmp_gt_i32_e64 s[6:7], s46, v0
	v_mul_lo_u32 v2, s48, v1
	v_mul_lo_u32 v3, s49, v0
	v_mad_u64_u32 v[0:1], s[4:5], s48, v0, 0
	v_add3_u32 v1, v1, v2, v3
	v_lshl_add_u64 v[0:1], v[0:1], 2, s[34:35]
	s_and_b64 s[8:9], s[16:17], s[6:7]
	s_and_saveexec_b64 s[4:5], s[8:9]
	s_cbranch_execz .LBB12_49
; %bb.48:                               ;   in Loop: Header=BB12_4 Depth=1
	v_lshl_add_u64 v[2:3], v[12:13], 2, v[0:1]
	global_load_dword v4, v[2:3], off
	s_waitcnt vmcnt(0)
	v_fmac_f32_e32 v4, s33, v44
	global_store_dword v[2:3], v4, off
.LBB12_49:                              ;   in Loop: Header=BB12_4 Depth=1
	s_or_b64 exec, exec, s[4:5]
	s_and_b64 s[6:7], s[18:19], s[6:7]
	s_and_saveexec_b64 s[4:5], s[6:7]
	s_cbranch_execz .LBB12_3
; %bb.50:                               ;   in Loop: Header=BB12_4 Depth=1
	v_lshl_add_u64 v[0:1], v[14:15], 2, v[0:1]
	global_load_dword v2, v[0:1], off
	s_waitcnt vmcnt(0)
	v_fmac_f32_e32 v2, s33, v45
	global_store_dword v[0:1], v2, off
	s_branch .LBB12_3
.LBB12_51:
	s_endpgm
	.section	.rodata,"a",@progbits
	.p2align	6, 0x0
	.amdhsa_kernel _ZL30rocblas_trmm_outofplace_kernelIfLi32ELi2ELb0ELb0ELb0ELb0EPKfS0_fEv17rocblas_diagonal_iiT6_lPT7_lllS5_lllPT8_llli
		.amdhsa_group_segment_fixed_size 8192
		.amdhsa_private_segment_fixed_size 0
		.amdhsa_kernarg_size 392
		.amdhsa_user_sgpr_count 2
		.amdhsa_user_sgpr_dispatch_ptr 0
		.amdhsa_user_sgpr_queue_ptr 0
		.amdhsa_user_sgpr_kernarg_segment_ptr 1
		.amdhsa_user_sgpr_dispatch_id 0
		.amdhsa_user_sgpr_kernarg_preload_length 0
		.amdhsa_user_sgpr_kernarg_preload_offset 0
		.amdhsa_user_sgpr_private_segment_size 0
		.amdhsa_uses_dynamic_stack 0
		.amdhsa_enable_private_segment 0
		.amdhsa_system_sgpr_workgroup_id_x 1
		.amdhsa_system_sgpr_workgroup_id_y 1
		.amdhsa_system_sgpr_workgroup_id_z 1
		.amdhsa_system_sgpr_workgroup_info 0
		.amdhsa_system_vgpr_workitem_id 1
		.amdhsa_next_free_vgpr 92
		.amdhsa_next_free_sgpr 62
		.amdhsa_accum_offset 92
		.amdhsa_reserve_vcc 1
		.amdhsa_float_round_mode_32 0
		.amdhsa_float_round_mode_16_64 0
		.amdhsa_float_denorm_mode_32 3
		.amdhsa_float_denorm_mode_16_64 3
		.amdhsa_dx10_clamp 1
		.amdhsa_ieee_mode 1
		.amdhsa_fp16_overflow 0
		.amdhsa_tg_split 0
		.amdhsa_exception_fp_ieee_invalid_op 0
		.amdhsa_exception_fp_denorm_src 0
		.amdhsa_exception_fp_ieee_div_zero 0
		.amdhsa_exception_fp_ieee_overflow 0
		.amdhsa_exception_fp_ieee_underflow 0
		.amdhsa_exception_fp_ieee_inexact 0
		.amdhsa_exception_int_div_zero 0
	.end_amdhsa_kernel
	.section	.text._ZL30rocblas_trmm_outofplace_kernelIfLi32ELi2ELb0ELb0ELb0ELb0EPKfS0_fEv17rocblas_diagonal_iiT6_lPT7_lllS5_lllPT8_llli,"axG",@progbits,_ZL30rocblas_trmm_outofplace_kernelIfLi32ELi2ELb0ELb0ELb0ELb0EPKfS0_fEv17rocblas_diagonal_iiT6_lPT7_lllS5_lllPT8_llli,comdat
.Lfunc_end12:
	.size	_ZL30rocblas_trmm_outofplace_kernelIfLi32ELi2ELb0ELb0ELb0ELb0EPKfS0_fEv17rocblas_diagonal_iiT6_lPT7_lllS5_lllPT8_llli, .Lfunc_end12-_ZL30rocblas_trmm_outofplace_kernelIfLi32ELi2ELb0ELb0ELb0ELb0EPKfS0_fEv17rocblas_diagonal_iiT6_lPT7_lllS5_lllPT8_llli
                                        ; -- End function
	.set _ZL30rocblas_trmm_outofplace_kernelIfLi32ELi2ELb0ELb0ELb0ELb0EPKfS0_fEv17rocblas_diagonal_iiT6_lPT7_lllS5_lllPT8_llli.num_vgpr, 92
	.set _ZL30rocblas_trmm_outofplace_kernelIfLi32ELi2ELb0ELb0ELb0ELb0EPKfS0_fEv17rocblas_diagonal_iiT6_lPT7_lllS5_lllPT8_llli.num_agpr, 0
	.set _ZL30rocblas_trmm_outofplace_kernelIfLi32ELi2ELb0ELb0ELb0ELb0EPKfS0_fEv17rocblas_diagonal_iiT6_lPT7_lllS5_lllPT8_llli.numbered_sgpr, 62
	.set _ZL30rocblas_trmm_outofplace_kernelIfLi32ELi2ELb0ELb0ELb0ELb0EPKfS0_fEv17rocblas_diagonal_iiT6_lPT7_lllS5_lllPT8_llli.num_named_barrier, 0
	.set _ZL30rocblas_trmm_outofplace_kernelIfLi32ELi2ELb0ELb0ELb0ELb0EPKfS0_fEv17rocblas_diagonal_iiT6_lPT7_lllS5_lllPT8_llli.private_seg_size, 0
	.set _ZL30rocblas_trmm_outofplace_kernelIfLi32ELi2ELb0ELb0ELb0ELb0EPKfS0_fEv17rocblas_diagonal_iiT6_lPT7_lllS5_lllPT8_llli.uses_vcc, 1
	.set _ZL30rocblas_trmm_outofplace_kernelIfLi32ELi2ELb0ELb0ELb0ELb0EPKfS0_fEv17rocblas_diagonal_iiT6_lPT7_lllS5_lllPT8_llli.uses_flat_scratch, 0
	.set _ZL30rocblas_trmm_outofplace_kernelIfLi32ELi2ELb0ELb0ELb0ELb0EPKfS0_fEv17rocblas_diagonal_iiT6_lPT7_lllS5_lllPT8_llli.has_dyn_sized_stack, 0
	.set _ZL30rocblas_trmm_outofplace_kernelIfLi32ELi2ELb0ELb0ELb0ELb0EPKfS0_fEv17rocblas_diagonal_iiT6_lPT7_lllS5_lllPT8_llli.has_recursion, 0
	.set _ZL30rocblas_trmm_outofplace_kernelIfLi32ELi2ELb0ELb0ELb0ELb0EPKfS0_fEv17rocblas_diagonal_iiT6_lPT7_lllS5_lllPT8_llli.has_indirect_call, 0
	.section	.AMDGPU.csdata,"",@progbits
; Kernel info:
; codeLenInByte = 2884
; TotalNumSgprs: 68
; NumVgprs: 92
; NumAgprs: 0
; TotalNumVgprs: 92
; ScratchSize: 0
; MemoryBound: 0
; FloatMode: 240
; IeeeMode: 1
; LDSByteSize: 8192 bytes/workgroup (compile time only)
; SGPRBlocks: 8
; VGPRBlocks: 11
; NumSGPRsForWavesPerEU: 68
; NumVGPRsForWavesPerEU: 92
; AccumOffset: 92
; Occupancy: 5
; WaveLimiterHint : 0
; COMPUTE_PGM_RSRC2:SCRATCH_EN: 0
; COMPUTE_PGM_RSRC2:USER_SGPR: 2
; COMPUTE_PGM_RSRC2:TRAP_HANDLER: 0
; COMPUTE_PGM_RSRC2:TGID_X_EN: 1
; COMPUTE_PGM_RSRC2:TGID_Y_EN: 1
; COMPUTE_PGM_RSRC2:TGID_Z_EN: 1
; COMPUTE_PGM_RSRC2:TIDIG_COMP_CNT: 1
; COMPUTE_PGM_RSRC3_GFX90A:ACCUM_OFFSET: 22
; COMPUTE_PGM_RSRC3_GFX90A:TG_SPLIT: 0
	.section	.text._ZL30rocblas_trmm_outofplace_kernelIfLi32ELi2ELb0ELb0ELb0ELb0EfKffEv17rocblas_diagonal_iiT6_lPT7_lllS4_lllPT8_llli,"axG",@progbits,_ZL30rocblas_trmm_outofplace_kernelIfLi32ELi2ELb0ELb0ELb0ELb0EfKffEv17rocblas_diagonal_iiT6_lPT7_lllS4_lllPT8_llli,comdat
	.globl	_ZL30rocblas_trmm_outofplace_kernelIfLi32ELi2ELb0ELb0ELb0ELb0EfKffEv17rocblas_diagonal_iiT6_lPT7_lllS4_lllPT8_llli ; -- Begin function _ZL30rocblas_trmm_outofplace_kernelIfLi32ELi2ELb0ELb0ELb0ELb0EfKffEv17rocblas_diagonal_iiT6_lPT7_lllS4_lllPT8_llli
	.p2align	8
	.type	_ZL30rocblas_trmm_outofplace_kernelIfLi32ELi2ELb0ELb0ELb0ELb0EfKffEv17rocblas_diagonal_iiT6_lPT7_lllS4_lllPT8_llli,@function
_ZL30rocblas_trmm_outofplace_kernelIfLi32ELi2ELb0ELb0ELb0ELb0EfKffEv17rocblas_diagonal_iiT6_lPT7_lllS4_lllPT8_llli: ; @_ZL30rocblas_trmm_outofplace_kernelIfLi32ELi2ELb0ELb0ELb0ELb0EfKffEv17rocblas_diagonal_iiT6_lPT7_lllS4_lllPT8_llli
; %bb.0:
	s_load_dwordx4 s[24:27], s[0:1], 0x0
	s_waitcnt lgkmcnt(0)
	v_cmp_eq_f32_e64 s[6:7], s27, 0
	s_and_b64 vcc, exec, s[6:7]
	s_cbranch_vccnz .LBB13_51
; %bb.1:
	s_add_i32 s5, s26, -1
	s_ashr_i32 s6, s5, 31
	s_lshr_b32 s6, s6, 27
	s_add_i32 s5, s5, s6
	s_ashr_i32 s33, s5, 5
	s_cmp_gt_i32 s3, s33
	s_cbranch_scc1 .LBB13_51
; %bb.2:
	s_load_dwordx8 s[16:23], s[0:1], 0x58
	s_load_dwordx16 s[36:51], s[0:1], 0x18
	v_and_b32_e32 v2, 0x3ff, v0
	v_lshl_add_u32 v12, s2, 5, v2
	v_bfe_u32 v48, v0, 10, 10
	s_waitcnt lgkmcnt(0)
	s_mul_i32 s5, s23, s4
	s_mul_hi_u32 s7, s22, s4
	s_mul_i32 s6, s22, s4
	s_add_i32 s7, s7, s5
	s_lshl_b64 s[6:7], s[6:7], 2
	s_add_u32 s5, s16, s6
	s_addc_u32 s8, s17, s7
	s_lshl_b64 s[6:7], s[18:19], 2
	s_add_u32 s22, s5, s6
	s_addc_u32 s23, s8, s7
	s_cmpk_eq_i32 s24, 0x84
	s_cselect_b64 s[28:29], -1, 0
	s_ashr_i32 s2, s25, 31
	s_ashr_i32 s31, s26, 31
	v_mov_b32_e32 v1, s2
	s_lshl_b64 s[34:35], s[48:49], 7
	s_load_dword s2, s[0:1], 0x84
	s_add_u32 s52, s26, -16
	s_addc_u32 s53, s31, -1
	s_lshl_b32 s5, s3, 5
	v_add_u32_e32 v16, s5, v2
	v_add_u32_e32 v18, s5, v48
	s_mul_i32 s5, s43, s4
	s_mul_hi_u32 s6, s42, s4
	s_add_i32 s7, s6, s5
	s_mul_i32 s6, s42, s4
	s_waitcnt lgkmcnt(0)
	s_lshl_b32 s58, s2, 5
	s_lshl_b64 s[6:7], s[6:7], 2
	s_lshl_b64 s[8:9], s[38:39], 2
	s_add_u32 s5, s6, s8
	s_addc_u32 s6, s7, s9
	v_add_u32_e32 v14, 16, v12
	s_add_u32 s24, s36, s5
	v_sub_co_u32_e32 v0, vcc, s25, v12
	v_cmp_gt_i32_e64 s[16:17], s25, v12
	v_cmp_gt_i32_e64 s[18:19], s25, v14
	s_addc_u32 s25, s37, s6
	s_add_u32 s36, s44, 64
	s_mul_i32 s5, s51, s4
	s_mul_hi_u32 s6, s50, s4
	s_addc_u32 s37, s45, 0
	s_add_i32 s5, s6, s5
	s_mul_i32 s4, s50, s4
	s_lshl_b64 s[38:39], s[48:49], 2
	s_lshl_b64 s[4:5], s[4:5], 2
	s_lshl_b64 s[6:7], s[46:47], 2
	v_ashrrev_i32_e32 v13, 31, v12
	v_lshlrev_b32_e32 v3, 2, v2
	s_add_u32 s4, s4, s6
	v_lshlrev_b32_e32 v49, 7, v48
	v_subb_co_u32_e32 v1, vcc, v1, v13, vcc
	v_or_b32_e32 v51, 0x1000, v3
	s_addc_u32 s5, s5, s7
	s_mov_b32 s30, s26
	v_add_u32_e32 v50, v49, v3
	v_add_u32_e32 v52, v51, v49
	v_cmp_gt_i64_e32 vcc, 1, v[0:1]
	v_cmp_gt_i64_e64 s[0:1], 17, v[0:1]
	v_ashrrev_i32_e32 v15, 31, v14
	v_lshl_add_u64 v[20:21], v[12:13], 2, s[4:5]
	s_lshl_b64 s[42:43], s[40:41], 2
	v_mov_b32_e32 v53, 0
	v_mov_b32_e32 v54, 1.0
	s_mov_b64 s[46:47], 0x80
	s_branch .LBB13_4
.LBB13_3:                               ;   in Loop: Header=BB13_4 Depth=1
	s_or_b64 exec, exec, s[4:5]
	s_add_i32 s3, s2, s3
	v_add_u32_e32 v16, s58, v16
	s_cmp_le_i32 s3, s33
	v_add_u32_e32 v18, s58, v18
	s_cbranch_scc0 .LBB13_51
.LBB13_4:                               ; =>This Loop Header: Depth=1
                                        ;     Child Loop BB13_7 Depth 2
	s_lshl_b32 s4, s3, 5
	v_add_u32_e32 v22, s4, v48
	s_sub_i32 s59, s26, s4
	v_ashrrev_i32_e32 v17, 31, v16
	v_ashrrev_i32_e32 v19, 31, v18
	;; [unrolled: 1-line block ×3, first 2 shown]
	s_cmp_lt_i32 s59, 1
	v_mov_b32_e32 v47, 0
	v_mov_b32_e32 v46, 0
	;; [unrolled: 1-line block ×4, first 2 shown]
	s_cbranch_scc1 .LBB13_43
; %bb.5:                                ;   in Loop: Header=BB13_4 Depth=1
	v_sub_co_u32_e64 v24, s[4:5], v18, v16
	v_lshl_add_u64 v[0:1], v[18:19], 2, 64
	v_mov_b64_e32 v[2:3], s[24:25]
	v_subb_co_u32_e64 v25, s[4:5], v19, v17, s[4:5]
	v_mul_lo_u32 v4, s40, v1
	v_mul_lo_u32 v5, s41, v0
	v_mad_u64_u32 v[28:29], s[4:5], s40, v0, v[2:3]
	v_add3_u32 v29, v5, v29, v4
	v_mov_b64_e32 v[4:5], s[36:37]
	v_mad_u64_u32 v[32:33], s[4:5], s42, v18, v[2:3]
	v_mul_lo_u32 v2, s42, v19
	v_mul_lo_u32 v3, s43, v18
	v_mad_u64_u32 v[30:31], s[4:5], s38, v18, v[4:5]
	v_mul_lo_u32 v4, s38, v19
	v_mul_lo_u32 v5, s39, v18
	v_add3_u32 v33, v3, v33, v2
	v_mov_b64_e32 v[2:3], s[44:45]
	v_add3_u32 v31, v5, v31, v4
	v_mul_lo_u32 v1, s48, v1
	v_mul_lo_u32 v4, s49, v0
	v_mad_u64_u32 v[34:35], s[4:5], s48, v0, v[2:3]
	v_lshl_add_u64 v[36:37], v[22:23], 0, 16
	v_mov_b32_e32 v44, 0
	v_lshlrev_b64 v[26:27], 2, v[16:17]
	v_add3_u32 v35, v4, v35, v1
	v_cmp_le_i32_e64 s[6:7], s26, v22
	v_cmp_le_i64_e64 s[8:9], s[30:31], v[36:37]
	v_lshl_add_u64 v[38:39], v[24:25], 0, 16
	v_lshl_add_u64 v[40:41], v[24:25], 0, -16
	s_mov_b64 s[50:51], 0
	v_mov_b64_e32 v[42:43], v[20:21]
	v_mov_b32_e32 v45, v44
	v_mov_b32_e32 v46, v44
	;; [unrolled: 1-line block ×3, first 2 shown]
	s_branch .LBB13_7
.LBB13_6:                               ;   in Loop: Header=BB13_7 Depth=2
	s_or_b64 exec, exec, s[4:5]
	s_waitcnt lgkmcnt(0)
	s_barrier
	ds_read_b128 v[56:59], v49
	ds_read_b128 v[60:63], v49 offset:16
	ds_read_b128 v[4:7], v49 offset:32
	;; [unrolled: 1-line block ×3, first 2 shown]
	ds_read2_b32 v[72:73], v51 offset1:16
	ds_read2_b32 v[74:75], v51 offset0:32 offset1:48
	ds_read2_b32 v[76:77], v51 offset0:64 offset1:80
	;; [unrolled: 1-line block ×4, first 2 shown]
	ds_read_b128 v[64:67], v49 offset:2048
	ds_read_b128 v[68:71], v49 offset:2064
	ds_read2_b32 v[82:83], v51 offset0:160 offset1:176
	ds_read2_b32 v[84:85], v51 offset0:192 offset1:208
	;; [unrolled: 1-line block ×3, first 2 shown]
	s_waitcnt lgkmcnt(9)
	v_pk_fma_f32 v[46:47], v[72:73], v[56:57], v[46:47] op_sel_hi:[1,0,1]
	v_add_u32_e32 v55, 0x400, v51
	s_waitcnt lgkmcnt(8)
	v_pk_fma_f32 v[46:47], v[74:75], v[56:57], v[46:47] op_sel:[0,1,0]
	v_mov_b32_e32 v56, v59
	s_waitcnt lgkmcnt(7)
	v_pk_fma_f32 v[46:47], v[76:77], v[58:59], v[46:47] op_sel_hi:[1,0,1]
	ds_read2_b32 v[88:89], v55 offset1:16
	ds_read_b128 v[8:11], v49 offset:2080
	s_waitcnt lgkmcnt(8)
	v_pk_fma_f32 v[46:47], v[78:79], v[56:57], v[46:47] op_sel_hi:[1,0,1]
	ds_read2_b32 v[58:59], v55 offset0:32 offset1:48
	s_waitcnt lgkmcnt(8)
	v_pk_fma_f32 v[46:47], v[80:81], v[60:61], v[46:47] op_sel_hi:[1,0,1]
	v_mov_b32_e32 v56, v63
	s_waitcnt lgkmcnt(5)
	v_pk_fma_f32 v[46:47], v[82:83], v[60:61], v[46:47] op_sel:[0,1,0]
	v_pk_fma_f32 v[44:45], v[72:73], v[64:65], v[44:45] op_sel_hi:[1,0,1]
	s_waitcnt lgkmcnt(4)
	v_pk_fma_f32 v[46:47], v[84:85], v[62:63], v[46:47] op_sel_hi:[1,0,1]
	v_pk_fma_f32 v[44:45], v[74:75], v[64:65], v[44:45] op_sel:[0,1,0]
	s_waitcnt lgkmcnt(3)
	v_pk_fma_f32 v[46:47], v[86:87], v[56:57], v[46:47] op_sel_hi:[1,0,1]
	v_pk_fma_f32 v[44:45], v[76:77], v[66:67], v[44:45] op_sel_hi:[1,0,1]
	s_waitcnt lgkmcnt(2)
	v_pk_fma_f32 v[46:47], v[88:89], v[4:5], v[46:47] op_sel_hi:[1,0,1]
	s_add_u32 s50, s50, 32
	s_waitcnt lgkmcnt(0)
	v_pk_fma_f32 v[4:5], v[58:59], v[4:5], v[46:47] op_sel:[0,1,0]
	v_mov_b32_e32 v46, v67
	v_pk_fma_f32 v[44:45], v[78:79], v[46:47], v[44:45] op_sel_hi:[1,0,1]
	v_mov_b32_e32 v46, v71
	v_pk_fma_f32 v[44:45], v[80:81], v[68:69], v[44:45] op_sel_hi:[1,0,1]
	s_addc_u32 s51, s51, 0
	v_pk_fma_f32 v[44:45], v[82:83], v[68:69], v[44:45] op_sel:[0,1,0]
	v_lshl_add_u64 v[28:29], v[28:29], 0, s[46:47]
	v_pk_fma_f32 v[44:45], v[84:85], v[70:71], v[44:45] op_sel_hi:[1,0,1]
	v_lshl_add_u64 v[42:43], v[42:43], 0, s[34:35]
	v_pk_fma_f32 v[56:57], v[86:87], v[46:47], v[44:45] op_sel_hi:[1,0,1]
	ds_read_b128 v[44:47], v49 offset:2096
	ds_read2_b32 v[64:65], v55 offset0:64 offset1:80
	ds_read2_b32 v[66:67], v55 offset0:96 offset1:112
	;; [unrolled: 1-line block ×6, first 2 shown]
	s_waitcnt lgkmcnt(5)
	v_pk_fma_f32 v[4:5], v[64:65], v[6:7], v[4:5] op_sel_hi:[1,0,1]
	v_mov_b32_e32 v6, v7
	s_waitcnt lgkmcnt(4)
	v_pk_fma_f32 v[4:5], v[66:67], v[6:7], v[4:5] op_sel_hi:[1,0,1]
	v_pk_fma_f32 v[56:57], v[88:89], v[8:9], v[56:57] op_sel_hi:[1,0,1]
	v_add_u32_e32 v55, 0x800, v51
	s_waitcnt lgkmcnt(3)
	v_pk_fma_f32 v[4:5], v[68:69], v[0:1], v[4:5] op_sel_hi:[1,0,1]
	v_pk_fma_f32 v[8:9], v[58:59], v[8:9], v[56:57] op_sel:[0,1,0]
	ds_read2_b32 v[76:77], v55 offset1:16
	ds_read2_b32 v[78:79], v55 offset0:32 offset1:48
	ds_read2_b32 v[80:81], v55 offset0:64 offset1:80
	;; [unrolled: 1-line block ×3, first 2 shown]
	ds_read_b128 v[56:59], v49 offset:64
	ds_read_b128 v[60:63], v49 offset:80
	ds_read2_b32 v[84:85], v55 offset0:128 offset1:144
	s_waitcnt lgkmcnt(9)
	v_pk_fma_f32 v[0:1], v[70:71], v[0:1], v[4:5] op_sel:[0,1,0]
	v_pk_fma_f32 v[8:9], v[64:65], v[10:11], v[8:9] op_sel_hi:[1,0,1]
	s_waitcnt lgkmcnt(8)
	v_pk_fma_f32 v[0:1], v[72:73], v[2:3], v[0:1] op_sel_hi:[1,0,1]
	v_mov_b32_e32 v2, v3
	s_waitcnt lgkmcnt(7)
	v_pk_fma_f32 v[0:1], v[74:75], v[2:3], v[0:1] op_sel_hi:[1,0,1]
	s_waitcnt lgkmcnt(2)
	v_mov_b32_e32 v2, v59
	v_pk_fma_f32 v[0:1], v[76:77], v[56:57], v[0:1] op_sel_hi:[1,0,1]
	v_mov_b32_e32 v10, v11
	v_pk_fma_f32 v[0:1], v[78:79], v[56:57], v[0:1] op_sel:[0,1,0]
	v_pk_fma_f32 v[8:9], v[66:67], v[10:11], v[8:9] op_sel_hi:[1,0,1]
	v_pk_fma_f32 v[0:1], v[80:81], v[58:59], v[0:1] op_sel_hi:[1,0,1]
	v_pk_fma_f32 v[8:9], v[68:69], v[44:45], v[8:9] op_sel_hi:[1,0,1]
	v_pk_fma_f32 v[0:1], v[82:83], v[2:3], v[0:1] op_sel_hi:[1,0,1]
	v_pk_fma_f32 v[8:9], v[70:71], v[44:45], v[8:9] op_sel:[0,1,0]
	s_waitcnt lgkmcnt(0)
	v_pk_fma_f32 v[86:87], v[84:85], v[60:61], v[0:1] op_sel_hi:[1,0,1]
	ds_read_b128 v[0:3], v49 offset:2112
	ds_read_b128 v[4:7], v49 offset:2128
	v_pk_fma_f32 v[8:9], v[72:73], v[46:47], v[8:9] op_sel_hi:[1,0,1]
	v_mov_b32_e32 v10, v47
	v_pk_fma_f32 v[8:9], v[74:75], v[10:11], v[8:9] op_sel_hi:[1,0,1]
	ds_read2_b32 v[68:69], v55 offset0:160 offset1:176
	ds_read2_b32 v[70:71], v55 offset0:192 offset1:208
	ds_read2_b32 v[72:73], v55 offset0:224 offset1:240
	s_waitcnt lgkmcnt(4)
	v_pk_fma_f32 v[8:9], v[76:77], v[0:1], v[8:9] op_sel_hi:[1,0,1]
	v_add_u32_e32 v46, 0xc00, v51
	v_pk_fma_f32 v[0:1], v[78:79], v[0:1], v[8:9] op_sel:[0,1,0]
	s_cmp_ge_i32 s50, s59
	v_pk_fma_f32 v[0:1], v[80:81], v[2:3], v[0:1] op_sel_hi:[1,0,1]
	v_mov_b32_e32 v2, v3
	v_pk_fma_f32 v[0:1], v[82:83], v[2:3], v[0:1] op_sel_hi:[1,0,1]
	v_lshl_add_u64 v[32:33], v[32:33], 0, s[46:47]
	s_waitcnt lgkmcnt(3)
	v_pk_fma_f32 v[44:45], v[84:85], v[4:5], v[0:1] op_sel_hi:[1,0,1]
	ds_read2_b32 v[74:75], v46 offset1:16
	ds_read2_b32 v[76:77], v46 offset0:32 offset1:48
	ds_read2_b32 v[78:79], v46 offset0:64 offset1:80
	;; [unrolled: 1-line block ×3, first 2 shown]
	ds_read_b128 v[0:3], v49 offset:96
	ds_read_b128 v[8:11], v49 offset:112
	ds_read2_b32 v[82:83], v46 offset0:128 offset1:144
	ds_read_b128 v[56:59], v49 offset:2144
	ds_read_b128 v[64:67], v49 offset:2160
	ds_read2_b32 v[84:85], v46 offset0:160 offset1:176
	ds_read2_b32 v[88:89], v46 offset0:192 offset1:208
	;; [unrolled: 1-line block ×3, first 2 shown]
	s_waitcnt lgkmcnt(14)
	v_pk_fma_f32 v[46:47], v[68:69], v[60:61], v[86:87] op_sel:[0,1,0]
	v_mov_b32_e32 v60, v63
	s_waitcnt lgkmcnt(13)
	v_pk_fma_f32 v[46:47], v[70:71], v[62:63], v[46:47] op_sel_hi:[1,0,1]
	s_waitcnt lgkmcnt(0)
	v_pk_fma_f32 v[46:47], v[72:73], v[60:61], v[46:47] op_sel_hi:[1,0,1]
	s_barrier
	v_pk_fma_f32 v[46:47], v[74:75], v[0:1], v[46:47] op_sel_hi:[1,0,1]
	s_nop 0
	v_pk_fma_f32 v[0:1], v[76:77], v[0:1], v[46:47] op_sel:[0,1,0]
	s_nop 0
	v_pk_fma_f32 v[0:1], v[78:79], v[2:3], v[0:1] op_sel_hi:[1,0,1]
	v_mov_b32_e32 v2, v3
	v_pk_fma_f32 v[0:1], v[80:81], v[2:3], v[0:1] op_sel_hi:[1,0,1]
	v_mov_b32_e32 v2, v11
	v_pk_fma_f32 v[0:1], v[82:83], v[8:9], v[0:1] op_sel_hi:[1,0,1]
	s_nop 0
	v_pk_fma_f32 v[0:1], v[84:85], v[8:9], v[0:1] op_sel:[0,1,0]
	s_nop 0
	v_pk_fma_f32 v[0:1], v[88:89], v[10:11], v[0:1] op_sel_hi:[1,0,1]
	s_nop 0
	v_pk_fma_f32 v[46:47], v[90:91], v[2:3], v[0:1] op_sel_hi:[1,0,1]
	v_pk_fma_f32 v[0:1], v[68:69], v[4:5], v[44:45] op_sel:[0,1,0]
	v_mov_b32_e32 v2, v7
	v_pk_fma_f32 v[0:1], v[70:71], v[6:7], v[0:1] op_sel_hi:[1,0,1]
	s_nop 0
	v_pk_fma_f32 v[0:1], v[72:73], v[2:3], v[0:1] op_sel_hi:[1,0,1]
	v_mov_b32_e32 v2, v59
	v_pk_fma_f32 v[0:1], v[74:75], v[56:57], v[0:1] op_sel_hi:[1,0,1]
	s_nop 0
	v_pk_fma_f32 v[0:1], v[76:77], v[56:57], v[0:1] op_sel:[0,1,0]
	s_nop 0
	v_pk_fma_f32 v[0:1], v[78:79], v[58:59], v[0:1] op_sel_hi:[1,0,1]
	s_nop 0
	v_pk_fma_f32 v[0:1], v[80:81], v[2:3], v[0:1] op_sel_hi:[1,0,1]
	v_mov_b32_e32 v2, v67
	v_pk_fma_f32 v[0:1], v[82:83], v[64:65], v[0:1] op_sel_hi:[1,0,1]
	s_nop 0
	v_pk_fma_f32 v[0:1], v[84:85], v[64:65], v[0:1] op_sel:[0,1,0]
	s_nop 0
	v_pk_fma_f32 v[0:1], v[88:89], v[66:67], v[0:1] op_sel_hi:[1,0,1]
	s_nop 0
	v_pk_fma_f32 v[44:45], v[90:91], v[2:3], v[0:1] op_sel_hi:[1,0,1]
	s_cbranch_scc1 .LBB13_43
.LBB13_7:                               ;   Parent Loop BB13_4 Depth=1
                                        ; =>  This Inner Loop Header: Depth=2
	v_lshl_add_u64 v[0:1], v[16:17], 0, s[50:51]
	v_cmp_eq_u64_e64 s[4:5], s[50:51], v[24:25]
	v_cmp_lt_i64_e64 s[10:11], v[0:1], v[22:23]
	s_and_b64 s[54:55], s[28:29], s[4:5]
	v_cmp_le_i64_e64 s[12:13], s[30:31], v[0:1]
	s_or_b64 s[4:5], s[6:7], s[10:11]
	s_or_b64 s[4:5], s[12:13], s[4:5]
	v_lshl_add_u64 v[2:3], v[32:33], 0, v[26:27]
	s_nor_b64 s[4:5], s[4:5], s[54:55]
                                        ; implicit-def: $vgpr4
	s_and_saveexec_b64 s[14:15], s[4:5]
	s_xor_b64 s[4:5], exec, s[14:15]
	s_cbranch_execz .LBB13_9
; %bb.8:                                ;   in Loop: Header=BB13_7 Depth=2
	global_load_dword v4, v[2:3], off
.LBB13_9:                               ;   in Loop: Header=BB13_7 Depth=2
	s_andn2_saveexec_b64 s[4:5], s[4:5]
	s_cbranch_execz .LBB13_11
; %bb.10:                               ;   in Loop: Header=BB13_7 Depth=2
	s_waitcnt vmcnt(0)
	v_cndmask_b32_e64 v4, 0, 1.0, s[54:55]
.LBB13_11:                              ;   in Loop: Header=BB13_7 Depth=2
	s_or_b64 exec, exec, s[4:5]
	s_waitcnt vmcnt(0)
	ds_write_b32 v50, v4
	v_lshl_add_u64 v[4:5], v[0:1], 0, 16
	v_cmp_eq_u64_e64 s[4:5], s[50:51], v[40:41]
	s_and_b64 s[56:57], s[28:29], s[4:5]
	v_cmp_lt_i64_e64 s[4:5], v[4:5], v[22:23]
	v_cmp_le_i64_e64 s[14:15], s[30:31], v[4:5]
	s_or_b64 s[4:5], s[6:7], s[4:5]
	s_or_b64 s[4:5], s[14:15], s[4:5]
	s_nor_b64 s[4:5], s[4:5], s[56:57]
	s_and_saveexec_b64 s[60:61], s[4:5]
	s_xor_b64 s[4:5], exec, s[60:61]
	s_cbranch_execz .LBB13_13
; %bb.12:                               ;   in Loop: Header=BB13_7 Depth=2
	global_load_dword v2, v[2:3], off offset:64
	s_waitcnt vmcnt(0)
	ds_write_b32 v50, v2 offset:64
.LBB13_13:                              ;   in Loop: Header=BB13_7 Depth=2
	s_andn2_saveexec_b64 s[4:5], s[4:5]
	s_cbranch_execz .LBB13_19
; %bb.14:                               ;   in Loop: Header=BB13_7 Depth=2
	s_xor_b64 s[56:57], s[56:57], -1
	s_and_saveexec_b64 s[60:61], s[56:57]
	s_xor_b64 s[56:57], exec, s[60:61]
; %bb.15:                               ;   in Loop: Header=BB13_7 Depth=2
	ds_write_b32 v50, v53 offset:64
; %bb.16:                               ;   in Loop: Header=BB13_7 Depth=2
	s_andn2_saveexec_b64 s[56:57], s[56:57]
; %bb.17:                               ;   in Loop: Header=BB13_7 Depth=2
	ds_write_b32 v50, v54 offset:64
; %bb.18:                               ;   in Loop: Header=BB13_7 Depth=2
	s_or_b64 exec, exec, s[56:57]
.LBB13_19:                              ;   in Loop: Header=BB13_7 Depth=2
	s_or_b64 exec, exec, s[4:5]
	v_cmp_eq_u64_e64 s[4:5], s[50:51], v[38:39]
	s_and_b64 s[56:57], s[28:29], s[4:5]
	v_cmp_lt_i64_e64 s[4:5], v[0:1], v[36:37]
	s_or_b64 s[4:5], s[8:9], s[4:5]
	s_or_b64 s[4:5], s[4:5], s[56:57]
	v_lshl_add_u64 v[2:3], v[28:29], 0, v[26:27]
	s_nor_b64 s[4:5], s[12:13], s[4:5]
                                        ; implicit-def: $vgpr0
	s_and_saveexec_b64 s[12:13], s[4:5]
	s_xor_b64 s[4:5], exec, s[12:13]
	s_cbranch_execz .LBB13_21
; %bb.20:                               ;   in Loop: Header=BB13_7 Depth=2
	global_load_dword v0, v[2:3], off
.LBB13_21:                              ;   in Loop: Header=BB13_7 Depth=2
	s_andn2_saveexec_b64 s[4:5], s[4:5]
	s_cbranch_execz .LBB13_23
; %bb.22:                               ;   in Loop: Header=BB13_7 Depth=2
	s_waitcnt vmcnt(0)
	v_cndmask_b32_e64 v0, 0, 1.0, s[56:57]
.LBB13_23:                              ;   in Loop: Header=BB13_7 Depth=2
	s_or_b64 exec, exec, s[4:5]
	s_or_b64 s[4:5], s[8:9], s[10:11]
	s_or_b64 s[4:5], s[14:15], s[4:5]
	s_nor_b64 s[4:5], s[4:5], s[54:55]
	s_waitcnt vmcnt(0)
	ds_write_b32 v50, v0 offset:2048
	s_and_saveexec_b64 s[10:11], s[4:5]
	s_xor_b64 s[4:5], exec, s[10:11]
	s_cbranch_execz .LBB13_25
; %bb.24:                               ;   in Loop: Header=BB13_7 Depth=2
	global_load_dword v0, v[2:3], off offset:64
	s_waitcnt vmcnt(0)
	ds_write_b32 v50, v0 offset:2112
.LBB13_25:                              ;   in Loop: Header=BB13_7 Depth=2
	s_andn2_saveexec_b64 s[4:5], s[4:5]
	s_cbranch_execz .LBB13_31
; %bb.26:                               ;   in Loop: Header=BB13_7 Depth=2
	s_xor_b64 s[10:11], s[54:55], -1
	s_and_saveexec_b64 s[12:13], s[10:11]
	s_xor_b64 s[10:11], exec, s[12:13]
; %bb.27:                               ;   in Loop: Header=BB13_7 Depth=2
	ds_write_b32 v50, v53 offset:2112
; %bb.28:                               ;   in Loop: Header=BB13_7 Depth=2
	s_andn2_saveexec_b64 s[10:11], s[10:11]
; %bb.29:                               ;   in Loop: Header=BB13_7 Depth=2
	ds_write_b32 v50, v54 offset:2112
; %bb.30:                               ;   in Loop: Header=BB13_7 Depth=2
	s_or_b64 exec, exec, s[10:11]
.LBB13_31:                              ;   in Loop: Header=BB13_7 Depth=2
	s_or_b64 exec, exec, s[4:5]
	v_lshl_add_u64 v[0:1], v[18:19], 0, s[50:51]
	v_cmp_le_i64_e64 s[10:11], s[30:31], v[0:1]
	v_lshl_add_u64 v[2:3], v[30:31], 0, v[42:43]
	s_nor_b64 s[12:13], s[10:11], vcc
	v_mov_b32_e32 v4, 0
	s_and_saveexec_b64 s[4:5], s[12:13]
	s_cbranch_execz .LBB13_33
; %bb.32:                               ;   in Loop: Header=BB13_7 Depth=2
	global_load_dword v4, v[2:3], off offset:-64
.LBB13_33:                              ;   in Loop: Header=BB13_7 Depth=2
	s_or_b64 exec, exec, s[4:5]
	s_nor_b64 s[4:5], s[10:11], s[0:1]
	s_waitcnt vmcnt(0)
	ds_write_b32 v52, v4
	s_and_saveexec_b64 s[10:11], s[4:5]
	s_xor_b64 s[4:5], exec, s[10:11]
	s_cbranch_execz .LBB13_35
; %bb.34:                               ;   in Loop: Header=BB13_7 Depth=2
	global_load_dword v2, v[2:3], off
	s_waitcnt vmcnt(0)
	ds_write_b32 v52, v2 offset:64
.LBB13_35:                              ;   in Loop: Header=BB13_7 Depth=2
	s_andn2_saveexec_b64 s[4:5], s[4:5]
; %bb.36:                               ;   in Loop: Header=BB13_7 Depth=2
	ds_write_b32 v52, v53 offset:64
; %bb.37:                               ;   in Loop: Header=BB13_7 Depth=2
	s_or_b64 exec, exec, s[4:5]
	v_cmp_le_i64_e64 s[10:11], s[52:53], v[0:1]
	v_lshl_add_u64 v[0:1], v[34:35], 0, v[42:43]
	s_nor_b64 s[12:13], s[10:11], vcc
	v_mov_b32_e32 v2, 0
	s_and_saveexec_b64 s[4:5], s[12:13]
	s_cbranch_execz .LBB13_39
; %bb.38:                               ;   in Loop: Header=BB13_7 Depth=2
	global_load_dword v2, v[0:1], off
.LBB13_39:                              ;   in Loop: Header=BB13_7 Depth=2
	s_or_b64 exec, exec, s[4:5]
	s_nor_b64 s[4:5], s[10:11], s[0:1]
	s_waitcnt vmcnt(0)
	ds_write_b32 v52, v2 offset:2048
	s_and_saveexec_b64 s[10:11], s[4:5]
	s_xor_b64 s[4:5], exec, s[10:11]
	s_cbranch_execz .LBB13_41
; %bb.40:                               ;   in Loop: Header=BB13_7 Depth=2
	global_load_dword v0, v[0:1], off offset:64
	s_waitcnt vmcnt(0)
	ds_write_b32 v52, v0 offset:2112
.LBB13_41:                              ;   in Loop: Header=BB13_7 Depth=2
	s_andn2_saveexec_b64 s[4:5], s[4:5]
	s_cbranch_execz .LBB13_6
; %bb.42:                               ;   in Loop: Header=BB13_7 Depth=2
	ds_write_b32 v52, v53 offset:2112
	s_branch .LBB13_6
.LBB13_43:                              ;   in Loop: Header=BB13_4 Depth=1
	v_mul_lo_u32 v2, s21, v22
	v_mul_lo_u32 v3, s20, v23
	v_mad_u64_u32 v[0:1], s[4:5], s20, v22, 0
	v_cmp_gt_i32_e64 s[6:7], s26, v22
	v_add3_u32 v1, v1, v3, v2
	v_lshl_add_u64 v[0:1], v[0:1], 2, s[22:23]
	s_and_b64 s[8:9], s[16:17], s[6:7]
	s_and_saveexec_b64 s[4:5], s[8:9]
	s_cbranch_execz .LBB13_45
; %bb.44:                               ;   in Loop: Header=BB13_4 Depth=1
	v_lshl_add_u64 v[2:3], v[12:13], 2, v[0:1]
	global_load_dword v4, v[2:3], off
	s_waitcnt vmcnt(0)
	v_fmac_f32_e32 v4, s27, v46
	global_store_dword v[2:3], v4, off
.LBB13_45:                              ;   in Loop: Header=BB13_4 Depth=1
	s_or_b64 exec, exec, s[4:5]
	s_and_b64 s[6:7], s[18:19], s[6:7]
	s_and_saveexec_b64 s[4:5], s[6:7]
	s_cbranch_execz .LBB13_47
; %bb.46:                               ;   in Loop: Header=BB13_4 Depth=1
	v_lshl_add_u64 v[0:1], v[14:15], 2, v[0:1]
	global_load_dword v2, v[0:1], off
	s_waitcnt vmcnt(0)
	v_fmac_f32_e32 v2, s27, v47
	global_store_dword v[0:1], v2, off
.LBB13_47:                              ;   in Loop: Header=BB13_4 Depth=1
	s_or_b64 exec, exec, s[4:5]
	v_add_u32_e32 v0, 16, v22
	v_ashrrev_i32_e32 v1, 31, v0
	v_cmp_gt_i32_e64 s[6:7], s26, v0
	v_mul_lo_u32 v2, s20, v1
	v_mul_lo_u32 v3, s21, v0
	v_mad_u64_u32 v[0:1], s[4:5], s20, v0, 0
	v_add3_u32 v1, v1, v2, v3
	v_lshl_add_u64 v[0:1], v[0:1], 2, s[22:23]
	s_and_b64 s[8:9], s[16:17], s[6:7]
	s_and_saveexec_b64 s[4:5], s[8:9]
	s_cbranch_execz .LBB13_49
; %bb.48:                               ;   in Loop: Header=BB13_4 Depth=1
	v_lshl_add_u64 v[2:3], v[12:13], 2, v[0:1]
	global_load_dword v4, v[2:3], off
	s_waitcnt vmcnt(0)
	v_fmac_f32_e32 v4, s27, v44
	global_store_dword v[2:3], v4, off
.LBB13_49:                              ;   in Loop: Header=BB13_4 Depth=1
	s_or_b64 exec, exec, s[4:5]
	s_and_b64 s[6:7], s[18:19], s[6:7]
	s_and_saveexec_b64 s[4:5], s[6:7]
	s_cbranch_execz .LBB13_3
; %bb.50:                               ;   in Loop: Header=BB13_4 Depth=1
	v_lshl_add_u64 v[0:1], v[14:15], 2, v[0:1]
	global_load_dword v2, v[0:1], off
	s_waitcnt vmcnt(0)
	v_fmac_f32_e32 v2, s27, v45
	global_store_dword v[0:1], v2, off
	s_branch .LBB13_3
.LBB13_51:
	s_endpgm
	.section	.rodata,"a",@progbits
	.p2align	6, 0x0
	.amdhsa_kernel _ZL30rocblas_trmm_outofplace_kernelIfLi32ELi2ELb0ELb0ELb0ELb0EfKffEv17rocblas_diagonal_iiT6_lPT7_lllS4_lllPT8_llli
		.amdhsa_group_segment_fixed_size 8192
		.amdhsa_private_segment_fixed_size 0
		.amdhsa_kernarg_size 384
		.amdhsa_user_sgpr_count 2
		.amdhsa_user_sgpr_dispatch_ptr 0
		.amdhsa_user_sgpr_queue_ptr 0
		.amdhsa_user_sgpr_kernarg_segment_ptr 1
		.amdhsa_user_sgpr_dispatch_id 0
		.amdhsa_user_sgpr_kernarg_preload_length 0
		.amdhsa_user_sgpr_kernarg_preload_offset 0
		.amdhsa_user_sgpr_private_segment_size 0
		.amdhsa_uses_dynamic_stack 0
		.amdhsa_enable_private_segment 0
		.amdhsa_system_sgpr_workgroup_id_x 1
		.amdhsa_system_sgpr_workgroup_id_y 1
		.amdhsa_system_sgpr_workgroup_id_z 1
		.amdhsa_system_sgpr_workgroup_info 0
		.amdhsa_system_vgpr_workitem_id 1
		.amdhsa_next_free_vgpr 92
		.amdhsa_next_free_sgpr 62
		.amdhsa_accum_offset 92
		.amdhsa_reserve_vcc 1
		.amdhsa_float_round_mode_32 0
		.amdhsa_float_round_mode_16_64 0
		.amdhsa_float_denorm_mode_32 3
		.amdhsa_float_denorm_mode_16_64 3
		.amdhsa_dx10_clamp 1
		.amdhsa_ieee_mode 1
		.amdhsa_fp16_overflow 0
		.amdhsa_tg_split 0
		.amdhsa_exception_fp_ieee_invalid_op 0
		.amdhsa_exception_fp_denorm_src 0
		.amdhsa_exception_fp_ieee_div_zero 0
		.amdhsa_exception_fp_ieee_overflow 0
		.amdhsa_exception_fp_ieee_underflow 0
		.amdhsa_exception_fp_ieee_inexact 0
		.amdhsa_exception_int_div_zero 0
	.end_amdhsa_kernel
	.section	.text._ZL30rocblas_trmm_outofplace_kernelIfLi32ELi2ELb0ELb0ELb0ELb0EfKffEv17rocblas_diagonal_iiT6_lPT7_lllS4_lllPT8_llli,"axG",@progbits,_ZL30rocblas_trmm_outofplace_kernelIfLi32ELi2ELb0ELb0ELb0ELb0EfKffEv17rocblas_diagonal_iiT6_lPT7_lllS4_lllPT8_llli,comdat
.Lfunc_end13:
	.size	_ZL30rocblas_trmm_outofplace_kernelIfLi32ELi2ELb0ELb0ELb0ELb0EfKffEv17rocblas_diagonal_iiT6_lPT7_lllS4_lllPT8_llli, .Lfunc_end13-_ZL30rocblas_trmm_outofplace_kernelIfLi32ELi2ELb0ELb0ELb0ELb0EfKffEv17rocblas_diagonal_iiT6_lPT7_lllS4_lllPT8_llli
                                        ; -- End function
	.set _ZL30rocblas_trmm_outofplace_kernelIfLi32ELi2ELb0ELb0ELb0ELb0EfKffEv17rocblas_diagonal_iiT6_lPT7_lllS4_lllPT8_llli.num_vgpr, 92
	.set _ZL30rocblas_trmm_outofplace_kernelIfLi32ELi2ELb0ELb0ELb0ELb0EfKffEv17rocblas_diagonal_iiT6_lPT7_lllS4_lllPT8_llli.num_agpr, 0
	.set _ZL30rocblas_trmm_outofplace_kernelIfLi32ELi2ELb0ELb0ELb0ELb0EfKffEv17rocblas_diagonal_iiT6_lPT7_lllS4_lllPT8_llli.numbered_sgpr, 62
	.set _ZL30rocblas_trmm_outofplace_kernelIfLi32ELi2ELb0ELb0ELb0ELb0EfKffEv17rocblas_diagonal_iiT6_lPT7_lllS4_lllPT8_llli.num_named_barrier, 0
	.set _ZL30rocblas_trmm_outofplace_kernelIfLi32ELi2ELb0ELb0ELb0ELb0EfKffEv17rocblas_diagonal_iiT6_lPT7_lllS4_lllPT8_llli.private_seg_size, 0
	.set _ZL30rocblas_trmm_outofplace_kernelIfLi32ELi2ELb0ELb0ELb0ELb0EfKffEv17rocblas_diagonal_iiT6_lPT7_lllS4_lllPT8_llli.uses_vcc, 1
	.set _ZL30rocblas_trmm_outofplace_kernelIfLi32ELi2ELb0ELb0ELb0ELb0EfKffEv17rocblas_diagonal_iiT6_lPT7_lllS4_lllPT8_llli.uses_flat_scratch, 0
	.set _ZL30rocblas_trmm_outofplace_kernelIfLi32ELi2ELb0ELb0ELb0ELb0EfKffEv17rocblas_diagonal_iiT6_lPT7_lllS4_lllPT8_llli.has_dyn_sized_stack, 0
	.set _ZL30rocblas_trmm_outofplace_kernelIfLi32ELi2ELb0ELb0ELb0ELb0EfKffEv17rocblas_diagonal_iiT6_lPT7_lllS4_lllPT8_llli.has_recursion, 0
	.set _ZL30rocblas_trmm_outofplace_kernelIfLi32ELi2ELb0ELb0ELb0ELb0EfKffEv17rocblas_diagonal_iiT6_lPT7_lllS4_lllPT8_llli.has_indirect_call, 0
	.section	.AMDGPU.csdata,"",@progbits
; Kernel info:
; codeLenInByte = 2840
; TotalNumSgprs: 68
; NumVgprs: 92
; NumAgprs: 0
; TotalNumVgprs: 92
; ScratchSize: 0
; MemoryBound: 0
; FloatMode: 240
; IeeeMode: 1
; LDSByteSize: 8192 bytes/workgroup (compile time only)
; SGPRBlocks: 8
; VGPRBlocks: 11
; NumSGPRsForWavesPerEU: 68
; NumVGPRsForWavesPerEU: 92
; AccumOffset: 92
; Occupancy: 5
; WaveLimiterHint : 0
; COMPUTE_PGM_RSRC2:SCRATCH_EN: 0
; COMPUTE_PGM_RSRC2:USER_SGPR: 2
; COMPUTE_PGM_RSRC2:TRAP_HANDLER: 0
; COMPUTE_PGM_RSRC2:TGID_X_EN: 1
; COMPUTE_PGM_RSRC2:TGID_Y_EN: 1
; COMPUTE_PGM_RSRC2:TGID_Z_EN: 1
; COMPUTE_PGM_RSRC2:TIDIG_COMP_CNT: 1
; COMPUTE_PGM_RSRC3_GFX90A:ACCUM_OFFSET: 22
; COMPUTE_PGM_RSRC3_GFX90A:TG_SPLIT: 0
	.section	.text._ZL30rocblas_trmm_outofplace_kernelIfLi32ELi2ELb0ELb1ELb0ELb0EPKfS0_fEv17rocblas_diagonal_iiT6_lPT7_lllS5_lllPT8_llli,"axG",@progbits,_ZL30rocblas_trmm_outofplace_kernelIfLi32ELi2ELb0ELb1ELb0ELb0EPKfS0_fEv17rocblas_diagonal_iiT6_lPT7_lllS5_lllPT8_llli,comdat
	.globl	_ZL30rocblas_trmm_outofplace_kernelIfLi32ELi2ELb0ELb1ELb0ELb0EPKfS0_fEv17rocblas_diagonal_iiT6_lPT7_lllS5_lllPT8_llli ; -- Begin function _ZL30rocblas_trmm_outofplace_kernelIfLi32ELi2ELb0ELb1ELb0ELb0EPKfS0_fEv17rocblas_diagonal_iiT6_lPT7_lllS5_lllPT8_llli
	.p2align	8
	.type	_ZL30rocblas_trmm_outofplace_kernelIfLi32ELi2ELb0ELb1ELb0ELb0EPKfS0_fEv17rocblas_diagonal_iiT6_lPT7_lllS5_lllPT8_llli,@function
_ZL30rocblas_trmm_outofplace_kernelIfLi32ELi2ELb0ELb1ELb0ELb0EPKfS0_fEv17rocblas_diagonal_iiT6_lPT7_lllS5_lllPT8_llli: ; @_ZL30rocblas_trmm_outofplace_kernelIfLi32ELi2ELb0ELb1ELb0ELb0EPKfS0_fEv17rocblas_diagonal_iiT6_lPT7_lllS5_lllPT8_llli
; %bb.0:
	s_load_dwordx16 s[16:31], s[0:1], 0x10
	s_waitcnt lgkmcnt(0)
	s_mul_i32 s5, s19, s4
	s_mul_hi_u32 s6, s18, s4
	s_add_i32 s7, s6, s5
	s_mul_i32 s6, s18, s4
	s_lshl_b64 s[6:7], s[6:7], 2
	s_add_u32 s6, s16, s6
	s_addc_u32 s7, s17, s7
	s_load_dword s33, s[6:7], 0x0
	s_waitcnt lgkmcnt(0)
	v_cmp_eq_f32_e64 s[6:7], s33, 0
	s_and_b64 vcc, exec, s[6:7]
	s_cbranch_vccnz .LBB14_51
; %bb.1:
	s_load_dwordx4 s[36:39], s[0:1], 0x0
	s_waitcnt lgkmcnt(0)
	s_add_i32 s5, s38, -1
	s_ashr_i32 s6, s5, 31
	s_lshr_b32 s6, s6, 27
	s_add_i32 s5, s5, s6
	s_ashr_i32 s48, s5, 5
	s_cmp_gt_i32 s3, s48
	s_cbranch_scc1 .LBB14_51
; %bb.2:
	s_load_dwordx8 s[8:15], s[0:1], 0x50
	s_load_dwordx4 s[40:43], s[0:1], 0x70
	s_load_dword s49, s[0:1], 0x8c
	v_and_b32_e32 v14, 0x3ff, v0
	v_lshl_add_u32 v16, s2, 5, v14
	s_waitcnt lgkmcnt(0)
	s_mul_i32 s5, s11, s4
	s_mul_hi_u32 s7, s10, s4
	s_mul_i32 s6, s10, s4
	s_add_i32 s7, s7, s5
	s_lshl_b64 s[6:7], s[6:7], 2
	s_add_u32 s5, s28, s6
	s_addc_u32 s10, s29, s7
	s_lshl_b64 s[6:7], s[30:31], 2
	s_add_u32 s6, s5, s6
	s_mul_i32 s0, s43, s4
	s_mul_hi_u32 s1, s42, s4
	s_addc_u32 s7, s10, s7
	s_add_i32 s1, s1, s0
	s_mul_i32 s0, s42, s4
	s_lshl_b64 s[0:1], s[0:1], 2
	s_add_u32 s5, s12, s0
	s_addc_u32 s10, s13, s1
	s_lshl_b64 s[0:1], s[14:15], 2
	s_add_u32 s28, s5, s0
	s_addc_u32 s29, s10, s1
	v_ashrrev_i32_e32 v17, 31, v16
	v_lshl_add_u64 v[18:19], v[16:17], 2, s[6:7]
	s_cmpk_eq_i32 s36, 0x84
	v_sub_co_u32_e64 v24, s[6:7], 0, v14
	s_cselect_b64 s[30:31], -1, 0
	s_ashr_i32 s39, s38, 31
	s_ashr_i32 s0, s37, 31
	s_lshl_b64 s[34:35], s[8:9], 7
	v_subb_co_u32_e64 v25, s[6:7], 0, 0, s[6:7]
	s_add_u32 s42, s38, -16
	s_mul_i32 s5, s27, s4
	s_mul_hi_u32 s6, s26, s4
	s_addc_u32 s43, s39, -1
	s_add_i32 s5, s6, s5
	s_mul_i32 s4, s26, s4
	s_lshl_b32 s2, s49, 5
	s_lshl_b64 s[4:5], s[4:5], 2
	s_lshl_b64 s[6:7], s[22:23], 2
	s_add_u32 s4, s4, s6
	v_bfe_u32 v12, v0, 10, 10
	v_mov_b32_e32 v1, s0
	v_sub_co_u32_e32 v0, vcc, s37, v16
	s_addc_u32 s5, s5, s7
	s_nop 0
	v_subb_co_u32_e32 v1, vcc, v1, v17, vcc
	s_add_u32 s20, s20, s4
	v_cmp_gt_i64_e32 vcc, 1, v[0:1]
	v_cmp_gt_i64_e64 s[0:1], 17, v[0:1]
	s_addc_u32 s21, s21, s5
	v_mad_u64_u32 v[0:1], s[4:5], s8, v12, 0
	v_mov_b32_e32 v2, v1
	v_mad_u64_u32 v[2:3], s[4:5], s9, v12, v[2:3]
	v_mov_b32_e32 v1, v2
	v_lshl_add_u64 v[28:29], v[0:1], 2, 64
	v_lshl_add_u32 v1, v12, 2, 64
	v_mad_u64_u32 v[30:31], s[4:5], s8, v1, 0
	v_lshlrev_b32_e32 v20, 2, v14
	v_mov_b32_e32 v0, v31
	v_mov_b32_e32 v15, 0
	v_lshlrev_b32_e32 v52, 7, v12
	v_or_b32_e32 v54, 0x1000, v20
	v_add_u32_e32 v22, 16, v16
	v_mad_u64_u32 v[0:1], s[4:5], s9, v1, v[0:1]
	v_mov_b32_e32 v13, v15
	v_add_u32_e32 v53, v52, v20
	v_add_u32_e32 v55, v54, v52
	v_cmp_gt_i32_e64 s[16:17], s37, v16
	v_cmp_gt_i32_e64 s[18:19], s37, v22
	v_ashrrev_i32_e32 v23, 31, v22
	v_lshl_add_u32 v26, s3, 5, v12
	v_mov_b32_e32 v21, v15
	s_lshl_b64 s[22:23], s[24:25], 2
	v_mov_b32_e32 v31, v0
	v_mov_b32_e32 v56, 1.0
	s_mov_b64 s[26:27], 0x80
	s_branch .LBB14_4
.LBB14_3:                               ;   in Loop: Header=BB14_4 Depth=1
	s_or_b64 exec, exec, s[4:5]
	s_add_i32 s3, s49, s3
	s_cmp_le_i32 s3, s48
	v_add_u32_e32 v26, s2, v26
	s_cbranch_scc0 .LBB14_51
.LBB14_4:                               ; =>This Loop Header: Depth=1
                                        ;     Child Loop BB14_7 Depth 2
	s_lshl_b32 s50, s3, 5
	v_add_u32_e32 v32, s50, v12
	v_ashrrev_i32_e32 v33, 31, v32
	s_cmp_lt_i32 s3, 0
	v_mov_b32_e32 v51, 0
	v_mov_b32_e32 v50, 0
	;; [unrolled: 1-line block ×4, first 2 shown]
	s_cbranch_scc1 .LBB14_43
; %bb.5:                                ;   in Loop: Header=BB14_4 Depth=1
	v_ashrrev_i32_e32 v27, 31, v26
	v_lshl_add_u64 v[0:1], v[26:27], 2, 64
	v_mov_b64_e32 v[2:3], s[20:21]
	v_mul_lo_u32 v1, s24, v1
	v_mul_lo_u32 v4, s25, v0
	v_mad_u64_u32 v[36:37], s[4:5], s24, v0, v[2:3]
	v_lshl_add_u64 v[34:35], v[24:25], 0, v[26:27]
	v_add3_u32 v37, v4, v37, v1
	v_mad_u64_u32 v[38:39], s[4:5], s22, v26, v[2:3]
	v_mul_lo_u32 v0, s23, v26
	v_mul_lo_u32 v1, s22, v27
	v_lshl_add_u64 v[40:41], v[32:33], 0, 16
	v_mov_b32_e32 v48, 0
	v_add3_u32 v39, v0, v39, v1
	v_cmp_le_i32_e64 s[6:7], s38, v32
	v_cmp_le_i64_e64 s[8:9], s[38:39], v[40:41]
	v_lshl_add_u64 v[42:43], v[34:35], 0, 16
	v_lshl_add_u64 v[44:45], v[34:35], 0, -16
	s_mov_b64 s[36:37], 0
	v_mov_b64_e32 v[46:47], v[18:19]
	v_mov_b32_e32 v49, v48
	v_mov_b32_e32 v50, v48
	;; [unrolled: 1-line block ×3, first 2 shown]
	s_branch .LBB14_7
.LBB14_6:                               ;   in Loop: Header=BB14_7 Depth=2
	s_or_b64 exec, exec, s[4:5]
	s_waitcnt lgkmcnt(0)
	s_barrier
	ds_read_b128 v[58:61], v52
	ds_read_b128 v[62:65], v52 offset:16
	ds_read_b128 v[4:7], v52 offset:32
	;; [unrolled: 1-line block ×3, first 2 shown]
	ds_read2_b32 v[74:75], v54 offset1:16
	ds_read2_b32 v[76:77], v54 offset0:32 offset1:48
	ds_read2_b32 v[78:79], v54 offset0:64 offset1:80
	;; [unrolled: 1-line block ×4, first 2 shown]
	ds_read_b128 v[66:69], v52 offset:2048
	ds_read_b128 v[70:73], v52 offset:2064
	ds_read2_b32 v[84:85], v54 offset0:160 offset1:176
	ds_read2_b32 v[86:87], v54 offset0:192 offset1:208
	;; [unrolled: 1-line block ×3, first 2 shown]
	s_waitcnt lgkmcnt(9)
	v_pk_fma_f32 v[50:51], v[74:75], v[58:59], v[50:51] op_sel_hi:[1,0,1]
	v_add_u32_e32 v27, 0x400, v54
	s_waitcnt lgkmcnt(8)
	v_pk_fma_f32 v[50:51], v[76:77], v[58:59], v[50:51] op_sel:[0,1,0]
	v_mov_b32_e32 v58, v61
	s_waitcnt lgkmcnt(7)
	v_pk_fma_f32 v[50:51], v[78:79], v[60:61], v[50:51] op_sel_hi:[1,0,1]
	ds_read2_b32 v[90:91], v27 offset1:16
	ds_read_b128 v[8:11], v52 offset:2080
	s_waitcnt lgkmcnt(8)
	v_pk_fma_f32 v[50:51], v[80:81], v[58:59], v[50:51] op_sel_hi:[1,0,1]
	ds_read2_b32 v[60:61], v27 offset0:32 offset1:48
	s_waitcnt lgkmcnt(8)
	v_pk_fma_f32 v[50:51], v[82:83], v[62:63], v[50:51] op_sel_hi:[1,0,1]
	v_mov_b32_e32 v58, v65
	s_waitcnt lgkmcnt(5)
	v_pk_fma_f32 v[50:51], v[84:85], v[62:63], v[50:51] op_sel:[0,1,0]
	v_pk_fma_f32 v[48:49], v[74:75], v[66:67], v[48:49] op_sel_hi:[1,0,1]
	s_waitcnt lgkmcnt(4)
	v_pk_fma_f32 v[50:51], v[86:87], v[64:65], v[50:51] op_sel_hi:[1,0,1]
	v_pk_fma_f32 v[48:49], v[76:77], v[66:67], v[48:49] op_sel:[0,1,0]
	s_waitcnt lgkmcnt(3)
	v_pk_fma_f32 v[50:51], v[88:89], v[58:59], v[50:51] op_sel_hi:[1,0,1]
	v_pk_fma_f32 v[48:49], v[78:79], v[68:69], v[48:49] op_sel_hi:[1,0,1]
	s_waitcnt lgkmcnt(2)
	v_pk_fma_f32 v[50:51], v[90:91], v[4:5], v[50:51] op_sel_hi:[1,0,1]
	s_add_u32 s36, s36, 32
	s_waitcnt lgkmcnt(0)
	v_pk_fma_f32 v[4:5], v[60:61], v[4:5], v[50:51] op_sel:[0,1,0]
	v_mov_b32_e32 v50, v69
	v_pk_fma_f32 v[48:49], v[80:81], v[50:51], v[48:49] op_sel_hi:[1,0,1]
	v_mov_b32_e32 v50, v73
	v_pk_fma_f32 v[48:49], v[82:83], v[70:71], v[48:49] op_sel_hi:[1,0,1]
	s_addc_u32 s37, s37, 0
	v_pk_fma_f32 v[48:49], v[84:85], v[70:71], v[48:49] op_sel:[0,1,0]
	s_sub_i32 s4, s36, 32
	v_pk_fma_f32 v[48:49], v[86:87], v[72:73], v[48:49] op_sel_hi:[1,0,1]
	v_lshl_add_u64 v[36:37], v[36:37], 0, s[26:27]
	v_pk_fma_f32 v[58:59], v[88:89], v[50:51], v[48:49] op_sel_hi:[1,0,1]
	ds_read_b128 v[48:51], v52 offset:2096
	ds_read2_b32 v[66:67], v27 offset0:64 offset1:80
	ds_read2_b32 v[68:69], v27 offset0:96 offset1:112
	;; [unrolled: 1-line block ×6, first 2 shown]
	s_waitcnt lgkmcnt(5)
	v_pk_fma_f32 v[4:5], v[66:67], v[6:7], v[4:5] op_sel_hi:[1,0,1]
	v_mov_b32_e32 v6, v7
	s_waitcnt lgkmcnt(4)
	v_pk_fma_f32 v[4:5], v[68:69], v[6:7], v[4:5] op_sel_hi:[1,0,1]
	v_pk_fma_f32 v[58:59], v[90:91], v[8:9], v[58:59] op_sel_hi:[1,0,1]
	v_add_u32_e32 v27, 0x800, v54
	s_waitcnt lgkmcnt(3)
	v_pk_fma_f32 v[4:5], v[70:71], v[0:1], v[4:5] op_sel_hi:[1,0,1]
	v_pk_fma_f32 v[8:9], v[60:61], v[8:9], v[58:59] op_sel:[0,1,0]
	ds_read2_b32 v[78:79], v27 offset1:16
	ds_read2_b32 v[80:81], v27 offset0:32 offset1:48
	ds_read2_b32 v[82:83], v27 offset0:64 offset1:80
	;; [unrolled: 1-line block ×3, first 2 shown]
	ds_read_b128 v[58:61], v52 offset:64
	ds_read_b128 v[62:65], v52 offset:80
	ds_read2_b32 v[86:87], v27 offset0:128 offset1:144
	s_waitcnt lgkmcnt(9)
	v_pk_fma_f32 v[0:1], v[72:73], v[0:1], v[4:5] op_sel:[0,1,0]
	v_pk_fma_f32 v[8:9], v[66:67], v[10:11], v[8:9] op_sel_hi:[1,0,1]
	s_waitcnt lgkmcnt(8)
	v_pk_fma_f32 v[0:1], v[74:75], v[2:3], v[0:1] op_sel_hi:[1,0,1]
	v_mov_b32_e32 v2, v3
	s_waitcnt lgkmcnt(7)
	v_pk_fma_f32 v[0:1], v[76:77], v[2:3], v[0:1] op_sel_hi:[1,0,1]
	s_waitcnt lgkmcnt(2)
	v_mov_b32_e32 v2, v61
	v_pk_fma_f32 v[0:1], v[78:79], v[58:59], v[0:1] op_sel_hi:[1,0,1]
	v_mov_b32_e32 v10, v11
	v_pk_fma_f32 v[0:1], v[80:81], v[58:59], v[0:1] op_sel:[0,1,0]
	v_pk_fma_f32 v[8:9], v[68:69], v[10:11], v[8:9] op_sel_hi:[1,0,1]
	v_pk_fma_f32 v[0:1], v[82:83], v[60:61], v[0:1] op_sel_hi:[1,0,1]
	;; [unrolled: 1-line block ×4, first 2 shown]
	v_pk_fma_f32 v[8:9], v[72:73], v[48:49], v[8:9] op_sel:[0,1,0]
	s_waitcnt lgkmcnt(0)
	v_pk_fma_f32 v[88:89], v[86:87], v[62:63], v[0:1] op_sel_hi:[1,0,1]
	ds_read_b128 v[0:3], v52 offset:2112
	ds_read_b128 v[4:7], v52 offset:2128
	v_pk_fma_f32 v[8:9], v[74:75], v[50:51], v[8:9] op_sel_hi:[1,0,1]
	v_mov_b32_e32 v10, v51
	ds_read2_b32 v[70:71], v27 offset0:160 offset1:176
	ds_read2_b32 v[72:73], v27 offset0:192 offset1:208
	;; [unrolled: 1-line block ×3, first 2 shown]
	v_pk_fma_f32 v[8:9], v[76:77], v[10:11], v[8:9] op_sel_hi:[1,0,1]
	v_add_u32_e32 v27, 0xc00, v54
	s_waitcnt lgkmcnt(4)
	v_pk_fma_f32 v[8:9], v[78:79], v[0:1], v[8:9] op_sel_hi:[1,0,1]
	s_waitcnt lgkmcnt(2)
	v_pk_fma_f32 v[50:51], v[70:71], v[62:63], v[88:89] op_sel:[0,1,0]
	v_pk_fma_f32 v[0:1], v[80:81], v[0:1], v[8:9] op_sel:[0,1,0]
	s_waitcnt lgkmcnt(1)
	v_pk_fma_f32 v[50:51], v[72:73], v[64:65], v[50:51] op_sel_hi:[1,0,1]
	v_pk_fma_f32 v[0:1], v[82:83], v[2:3], v[0:1] op_sel_hi:[1,0,1]
	v_mov_b32_e32 v2, v3
	v_mov_b32_e32 v62, v65
	v_pk_fma_f32 v[0:1], v[84:85], v[2:3], v[0:1] op_sel_hi:[1,0,1]
	s_waitcnt lgkmcnt(0)
	v_pk_fma_f32 v[50:51], v[74:75], v[62:63], v[50:51] op_sel_hi:[1,0,1]
	v_pk_fma_f32 v[48:49], v[86:87], v[4:5], v[0:1] op_sel_hi:[1,0,1]
	ds_read2_b32 v[76:77], v27 offset1:16
	ds_read2_b32 v[78:79], v27 offset0:32 offset1:48
	ds_read2_b32 v[80:81], v27 offset0:64 offset1:80
	;; [unrolled: 1-line block ×3, first 2 shown]
	ds_read_b128 v[0:3], v52 offset:96
	ds_read_b128 v[8:11], v52 offset:112
	ds_read2_b32 v[84:85], v27 offset0:128 offset1:144
	ds_read_b128 v[58:61], v52 offset:2144
	ds_read_b128 v[66:69], v52 offset:2160
	ds_read2_b32 v[86:87], v27 offset0:160 offset1:176
	ds_read2_b32 v[90:91], v27 offset0:192 offset1:208
	;; [unrolled: 1-line block ×3, first 2 shown]
	s_waitcnt lgkmcnt(7)
	v_pk_fma_f32 v[50:51], v[76:77], v[0:1], v[50:51] op_sel_hi:[1,0,1]
	v_lshl_add_u64 v[46:47], v[46:47], 0, s[34:35]
	v_pk_fma_f32 v[0:1], v[78:79], v[0:1], v[50:51] op_sel:[0,1,0]
	s_cmp_ge_i32 s4, s50
	v_pk_fma_f32 v[0:1], v[80:81], v[2:3], v[0:1] op_sel_hi:[1,0,1]
	v_mov_b32_e32 v2, v3
	v_pk_fma_f32 v[0:1], v[82:83], v[2:3], v[0:1] op_sel_hi:[1,0,1]
	s_waitcnt lgkmcnt(6)
	v_mov_b32_e32 v2, v11
	s_waitcnt lgkmcnt(5)
	v_pk_fma_f32 v[0:1], v[84:85], v[8:9], v[0:1] op_sel_hi:[1,0,1]
	v_lshl_add_u64 v[38:39], v[38:39], 0, s[26:27]
	s_waitcnt lgkmcnt(2)
	v_pk_fma_f32 v[0:1], v[86:87], v[8:9], v[0:1] op_sel:[0,1,0]
	s_waitcnt lgkmcnt(0)
	v_pk_fma_f32 v[0:1], v[90:91], v[10:11], v[0:1] op_sel_hi:[1,0,1]
	s_barrier
	v_pk_fma_f32 v[50:51], v[92:93], v[2:3], v[0:1] op_sel_hi:[1,0,1]
	v_pk_fma_f32 v[0:1], v[70:71], v[4:5], v[48:49] op_sel:[0,1,0]
	v_mov_b32_e32 v2, v7
	v_pk_fma_f32 v[0:1], v[72:73], v[6:7], v[0:1] op_sel_hi:[1,0,1]
	s_nop 0
	v_pk_fma_f32 v[0:1], v[74:75], v[2:3], v[0:1] op_sel_hi:[1,0,1]
	v_mov_b32_e32 v2, v61
	v_pk_fma_f32 v[0:1], v[76:77], v[58:59], v[0:1] op_sel_hi:[1,0,1]
	s_nop 0
	v_pk_fma_f32 v[0:1], v[78:79], v[58:59], v[0:1] op_sel:[0,1,0]
	s_nop 0
	v_pk_fma_f32 v[0:1], v[80:81], v[60:61], v[0:1] op_sel_hi:[1,0,1]
	s_nop 0
	v_pk_fma_f32 v[0:1], v[82:83], v[2:3], v[0:1] op_sel_hi:[1,0,1]
	v_mov_b32_e32 v2, v69
	v_pk_fma_f32 v[0:1], v[84:85], v[66:67], v[0:1] op_sel_hi:[1,0,1]
	s_nop 0
	v_pk_fma_f32 v[0:1], v[86:87], v[66:67], v[0:1] op_sel:[0,1,0]
	s_nop 0
	v_pk_fma_f32 v[0:1], v[90:91], v[68:69], v[0:1] op_sel_hi:[1,0,1]
	s_nop 0
	v_pk_fma_f32 v[48:49], v[92:93], v[2:3], v[0:1] op_sel_hi:[1,0,1]
	s_cbranch_scc1 .LBB14_43
.LBB14_7:                               ;   Parent Loop BB14_4 Depth=1
                                        ; =>  This Inner Loop Header: Depth=2
	v_lshl_add_u64 v[0:1], v[14:15], 0, s[36:37]
	v_cmp_eq_u64_e64 s[4:5], s[36:37], v[34:35]
	v_cmp_gt_i64_e64 s[10:11], v[0:1], v[32:33]
	s_and_b64 s[44:45], s[30:31], s[4:5]
	s_or_b64 s[4:5], s[6:7], s[10:11]
	v_cmp_le_i64_e64 s[12:13], s[38:39], v[0:1]
	s_or_b64 s[4:5], s[4:5], s[44:45]
	v_lshl_add_u64 v[2:3], v[38:39], 0, v[20:21]
	s_nor_b64 s[4:5], s[12:13], s[4:5]
                                        ; implicit-def: $vgpr4
	s_and_saveexec_b64 s[14:15], s[4:5]
	s_xor_b64 s[4:5], exec, s[14:15]
	s_cbranch_execz .LBB14_9
; %bb.8:                                ;   in Loop: Header=BB14_7 Depth=2
	global_load_dword v4, v[2:3], off
.LBB14_9:                               ;   in Loop: Header=BB14_7 Depth=2
	s_andn2_saveexec_b64 s[4:5], s[4:5]
	s_cbranch_execz .LBB14_11
; %bb.10:                               ;   in Loop: Header=BB14_7 Depth=2
	s_waitcnt vmcnt(0)
	v_cndmask_b32_e64 v4, 0, 1.0, s[44:45]
.LBB14_11:                              ;   in Loop: Header=BB14_7 Depth=2
	s_or_b64 exec, exec, s[4:5]
	s_waitcnt vmcnt(0)
	ds_write_b32 v53, v4
	v_lshl_add_u64 v[4:5], v[0:1], 0, 16
	v_cmp_eq_u64_e64 s[4:5], s[36:37], v[44:45]
	s_and_b64 s[46:47], s[30:31], s[4:5]
	v_cmp_gt_i64_e64 s[4:5], v[4:5], v[32:33]
	s_or_b64 s[4:5], s[6:7], s[4:5]
	v_cmp_le_i64_e64 s[14:15], s[38:39], v[4:5]
	s_or_b64 s[4:5], s[4:5], s[46:47]
	s_nor_b64 s[4:5], s[14:15], s[4:5]
	s_and_saveexec_b64 s[52:53], s[4:5]
	s_xor_b64 s[4:5], exec, s[52:53]
	s_cbranch_execz .LBB14_13
; %bb.12:                               ;   in Loop: Header=BB14_7 Depth=2
	global_load_dword v2, v[2:3], off offset:64
	s_waitcnt vmcnt(0)
	ds_write_b32 v53, v2 offset:64
.LBB14_13:                              ;   in Loop: Header=BB14_7 Depth=2
	s_andn2_saveexec_b64 s[4:5], s[4:5]
	s_cbranch_execz .LBB14_19
; %bb.14:                               ;   in Loop: Header=BB14_7 Depth=2
	s_xor_b64 s[46:47], s[46:47], -1
	s_and_saveexec_b64 s[52:53], s[46:47]
	s_xor_b64 s[46:47], exec, s[52:53]
; %bb.15:                               ;   in Loop: Header=BB14_7 Depth=2
	ds_write_b32 v53, v15 offset:64
; %bb.16:                               ;   in Loop: Header=BB14_7 Depth=2
	s_andn2_saveexec_b64 s[46:47], s[46:47]
; %bb.17:                               ;   in Loop: Header=BB14_7 Depth=2
	ds_write_b32 v53, v56 offset:64
; %bb.18:                               ;   in Loop: Header=BB14_7 Depth=2
	s_or_b64 exec, exec, s[46:47]
.LBB14_19:                              ;   in Loop: Header=BB14_7 Depth=2
	s_or_b64 exec, exec, s[4:5]
	v_cmp_eq_u64_e64 s[4:5], s[36:37], v[42:43]
	s_and_b64 s[46:47], s[30:31], s[4:5]
	v_cmp_gt_i64_e64 s[4:5], v[0:1], v[40:41]
	s_or_b64 s[4:5], s[8:9], s[4:5]
	s_or_b64 s[4:5], s[4:5], s[46:47]
	v_lshl_add_u64 v[2:3], v[36:37], 0, v[20:21]
	s_nor_b64 s[4:5], s[12:13], s[4:5]
                                        ; implicit-def: $vgpr0
	s_and_saveexec_b64 s[12:13], s[4:5]
	s_xor_b64 s[4:5], exec, s[12:13]
	s_cbranch_execz .LBB14_21
; %bb.20:                               ;   in Loop: Header=BB14_7 Depth=2
	global_load_dword v0, v[2:3], off
.LBB14_21:                              ;   in Loop: Header=BB14_7 Depth=2
	s_andn2_saveexec_b64 s[4:5], s[4:5]
	s_cbranch_execz .LBB14_23
; %bb.22:                               ;   in Loop: Header=BB14_7 Depth=2
	s_waitcnt vmcnt(0)
	v_cndmask_b32_e64 v0, 0, 1.0, s[46:47]
.LBB14_23:                              ;   in Loop: Header=BB14_7 Depth=2
	s_or_b64 exec, exec, s[4:5]
	s_or_b64 s[4:5], s[8:9], s[10:11]
	s_or_b64 s[4:5], s[4:5], s[44:45]
	s_nor_b64 s[4:5], s[14:15], s[4:5]
	s_waitcnt vmcnt(0)
	ds_write_b32 v53, v0 offset:2048
	s_and_saveexec_b64 s[10:11], s[4:5]
	s_xor_b64 s[4:5], exec, s[10:11]
	s_cbranch_execz .LBB14_25
; %bb.24:                               ;   in Loop: Header=BB14_7 Depth=2
	global_load_dword v0, v[2:3], off offset:64
	s_waitcnt vmcnt(0)
	ds_write_b32 v53, v0 offset:2112
.LBB14_25:                              ;   in Loop: Header=BB14_7 Depth=2
	s_andn2_saveexec_b64 s[4:5], s[4:5]
	s_cbranch_execz .LBB14_31
; %bb.26:                               ;   in Loop: Header=BB14_7 Depth=2
	s_xor_b64 s[10:11], s[44:45], -1
	s_and_saveexec_b64 s[12:13], s[10:11]
	s_xor_b64 s[10:11], exec, s[12:13]
; %bb.27:                               ;   in Loop: Header=BB14_7 Depth=2
	ds_write_b32 v53, v15 offset:2112
; %bb.28:                               ;   in Loop: Header=BB14_7 Depth=2
	s_andn2_saveexec_b64 s[10:11], s[10:11]
; %bb.29:                               ;   in Loop: Header=BB14_7 Depth=2
	ds_write_b32 v53, v56 offset:2112
; %bb.30:                               ;   in Loop: Header=BB14_7 Depth=2
	s_or_b64 exec, exec, s[10:11]
.LBB14_31:                              ;   in Loop: Header=BB14_7 Depth=2
	s_or_b64 exec, exec, s[4:5]
	v_lshl_add_u64 v[0:1], v[12:13], 0, s[36:37]
	v_cmp_le_i64_e64 s[10:11], s[38:39], v[0:1]
	v_lshl_add_u64 v[2:3], v[46:47], 0, v[28:29]
	s_nor_b64 s[12:13], s[10:11], vcc
	v_mov_b32_e32 v4, 0
	s_and_saveexec_b64 s[4:5], s[12:13]
	s_cbranch_execz .LBB14_33
; %bb.32:                               ;   in Loop: Header=BB14_7 Depth=2
	global_load_dword v4, v[2:3], off offset:-64
.LBB14_33:                              ;   in Loop: Header=BB14_7 Depth=2
	s_or_b64 exec, exec, s[4:5]
	s_nor_b64 s[4:5], s[10:11], s[0:1]
	s_waitcnt vmcnt(0)
	ds_write_b32 v55, v4
	s_and_saveexec_b64 s[10:11], s[4:5]
	s_xor_b64 s[4:5], exec, s[10:11]
	s_cbranch_execz .LBB14_35
; %bb.34:                               ;   in Loop: Header=BB14_7 Depth=2
	global_load_dword v2, v[2:3], off
	s_waitcnt vmcnt(0)
	ds_write_b32 v55, v2 offset:64
.LBB14_35:                              ;   in Loop: Header=BB14_7 Depth=2
	s_andn2_saveexec_b64 s[4:5], s[4:5]
; %bb.36:                               ;   in Loop: Header=BB14_7 Depth=2
	ds_write_b32 v55, v15 offset:64
; %bb.37:                               ;   in Loop: Header=BB14_7 Depth=2
	s_or_b64 exec, exec, s[4:5]
	v_cmp_le_i64_e64 s[10:11], s[42:43], v[0:1]
	v_lshl_add_u64 v[0:1], v[46:47], 0, v[30:31]
	s_nor_b64 s[12:13], s[10:11], vcc
	v_mov_b32_e32 v2, 0
	s_and_saveexec_b64 s[4:5], s[12:13]
	s_cbranch_execz .LBB14_39
; %bb.38:                               ;   in Loop: Header=BB14_7 Depth=2
	global_load_dword v2, v[0:1], off
.LBB14_39:                              ;   in Loop: Header=BB14_7 Depth=2
	s_or_b64 exec, exec, s[4:5]
	s_nor_b64 s[4:5], s[10:11], s[0:1]
	s_waitcnt vmcnt(0)
	ds_write_b32 v55, v2 offset:2048
	s_and_saveexec_b64 s[10:11], s[4:5]
	s_xor_b64 s[4:5], exec, s[10:11]
	s_cbranch_execz .LBB14_41
; %bb.40:                               ;   in Loop: Header=BB14_7 Depth=2
	global_load_dword v0, v[0:1], off offset:64
	s_waitcnt vmcnt(0)
	ds_write_b32 v55, v0 offset:2112
.LBB14_41:                              ;   in Loop: Header=BB14_7 Depth=2
	s_andn2_saveexec_b64 s[4:5], s[4:5]
	s_cbranch_execz .LBB14_6
; %bb.42:                               ;   in Loop: Header=BB14_7 Depth=2
	ds_write_b32 v55, v15 offset:2112
	s_branch .LBB14_6
.LBB14_43:                              ;   in Loop: Header=BB14_4 Depth=1
	v_mul_lo_u32 v2, s41, v32
	v_mul_lo_u32 v3, s40, v33
	v_mad_u64_u32 v[0:1], s[4:5], s40, v32, 0
	v_cmp_gt_i32_e64 s[6:7], s38, v32
	v_add3_u32 v1, v1, v3, v2
	v_lshl_add_u64 v[0:1], v[0:1], 2, s[28:29]
	s_and_b64 s[8:9], s[16:17], s[6:7]
	s_and_saveexec_b64 s[4:5], s[8:9]
	s_cbranch_execz .LBB14_45
; %bb.44:                               ;   in Loop: Header=BB14_4 Depth=1
	v_lshl_add_u64 v[2:3], v[16:17], 2, v[0:1]
	global_load_dword v4, v[2:3], off
	s_waitcnt vmcnt(0)
	v_fmac_f32_e32 v4, s33, v50
	global_store_dword v[2:3], v4, off
.LBB14_45:                              ;   in Loop: Header=BB14_4 Depth=1
	s_or_b64 exec, exec, s[4:5]
	s_and_b64 s[6:7], s[18:19], s[6:7]
	s_and_saveexec_b64 s[4:5], s[6:7]
	s_cbranch_execz .LBB14_47
; %bb.46:                               ;   in Loop: Header=BB14_4 Depth=1
	v_lshl_add_u64 v[0:1], v[22:23], 2, v[0:1]
	global_load_dword v2, v[0:1], off
	s_waitcnt vmcnt(0)
	v_fmac_f32_e32 v2, s33, v51
	global_store_dword v[0:1], v2, off
.LBB14_47:                              ;   in Loop: Header=BB14_4 Depth=1
	s_or_b64 exec, exec, s[4:5]
	v_add_u32_e32 v0, 16, v32
	v_ashrrev_i32_e32 v1, 31, v0
	v_cmp_gt_i32_e64 s[6:7], s38, v0
	v_mul_lo_u32 v2, s40, v1
	v_mul_lo_u32 v3, s41, v0
	v_mad_u64_u32 v[0:1], s[4:5], s40, v0, 0
	v_add3_u32 v1, v1, v2, v3
	v_lshl_add_u64 v[0:1], v[0:1], 2, s[28:29]
	s_and_b64 s[8:9], s[16:17], s[6:7]
	s_and_saveexec_b64 s[4:5], s[8:9]
	s_cbranch_execz .LBB14_49
; %bb.48:                               ;   in Loop: Header=BB14_4 Depth=1
	v_lshl_add_u64 v[2:3], v[16:17], 2, v[0:1]
	global_load_dword v4, v[2:3], off
	s_waitcnt vmcnt(0)
	v_fmac_f32_e32 v4, s33, v48
	global_store_dword v[2:3], v4, off
.LBB14_49:                              ;   in Loop: Header=BB14_4 Depth=1
	s_or_b64 exec, exec, s[4:5]
	s_and_b64 s[6:7], s[18:19], s[6:7]
	s_and_saveexec_b64 s[4:5], s[6:7]
	s_cbranch_execz .LBB14_3
; %bb.50:                               ;   in Loop: Header=BB14_4 Depth=1
	v_lshl_add_u64 v[0:1], v[22:23], 2, v[0:1]
	global_load_dword v2, v[0:1], off
	s_waitcnt vmcnt(0)
	v_fmac_f32_e32 v2, s33, v49
	global_store_dword v[0:1], v2, off
	s_branch .LBB14_3
.LBB14_51:
	s_endpgm
	.section	.rodata,"a",@progbits
	.p2align	6, 0x0
	.amdhsa_kernel _ZL30rocblas_trmm_outofplace_kernelIfLi32ELi2ELb0ELb1ELb0ELb0EPKfS0_fEv17rocblas_diagonal_iiT6_lPT7_lllS5_lllPT8_llli
		.amdhsa_group_segment_fixed_size 8192
		.amdhsa_private_segment_fixed_size 0
		.amdhsa_kernarg_size 392
		.amdhsa_user_sgpr_count 2
		.amdhsa_user_sgpr_dispatch_ptr 0
		.amdhsa_user_sgpr_queue_ptr 0
		.amdhsa_user_sgpr_kernarg_segment_ptr 1
		.amdhsa_user_sgpr_dispatch_id 0
		.amdhsa_user_sgpr_kernarg_preload_length 0
		.amdhsa_user_sgpr_kernarg_preload_offset 0
		.amdhsa_user_sgpr_private_segment_size 0
		.amdhsa_uses_dynamic_stack 0
		.amdhsa_enable_private_segment 0
		.amdhsa_system_sgpr_workgroup_id_x 1
		.amdhsa_system_sgpr_workgroup_id_y 1
		.amdhsa_system_sgpr_workgroup_id_z 1
		.amdhsa_system_sgpr_workgroup_info 0
		.amdhsa_system_vgpr_workitem_id 1
		.amdhsa_next_free_vgpr 94
		.amdhsa_next_free_sgpr 54
		.amdhsa_accum_offset 96
		.amdhsa_reserve_vcc 1
		.amdhsa_float_round_mode_32 0
		.amdhsa_float_round_mode_16_64 0
		.amdhsa_float_denorm_mode_32 3
		.amdhsa_float_denorm_mode_16_64 3
		.amdhsa_dx10_clamp 1
		.amdhsa_ieee_mode 1
		.amdhsa_fp16_overflow 0
		.amdhsa_tg_split 0
		.amdhsa_exception_fp_ieee_invalid_op 0
		.amdhsa_exception_fp_denorm_src 0
		.amdhsa_exception_fp_ieee_div_zero 0
		.amdhsa_exception_fp_ieee_overflow 0
		.amdhsa_exception_fp_ieee_underflow 0
		.amdhsa_exception_fp_ieee_inexact 0
		.amdhsa_exception_int_div_zero 0
	.end_amdhsa_kernel
	.section	.text._ZL30rocblas_trmm_outofplace_kernelIfLi32ELi2ELb0ELb1ELb0ELb0EPKfS0_fEv17rocblas_diagonal_iiT6_lPT7_lllS5_lllPT8_llli,"axG",@progbits,_ZL30rocblas_trmm_outofplace_kernelIfLi32ELi2ELb0ELb1ELb0ELb0EPKfS0_fEv17rocblas_diagonal_iiT6_lPT7_lllS5_lllPT8_llli,comdat
.Lfunc_end14:
	.size	_ZL30rocblas_trmm_outofplace_kernelIfLi32ELi2ELb0ELb1ELb0ELb0EPKfS0_fEv17rocblas_diagonal_iiT6_lPT7_lllS5_lllPT8_llli, .Lfunc_end14-_ZL30rocblas_trmm_outofplace_kernelIfLi32ELi2ELb0ELb1ELb0ELb0EPKfS0_fEv17rocblas_diagonal_iiT6_lPT7_lllS5_lllPT8_llli
                                        ; -- End function
	.set _ZL30rocblas_trmm_outofplace_kernelIfLi32ELi2ELb0ELb1ELb0ELb0EPKfS0_fEv17rocblas_diagonal_iiT6_lPT7_lllS5_lllPT8_llli.num_vgpr, 94
	.set _ZL30rocblas_trmm_outofplace_kernelIfLi32ELi2ELb0ELb1ELb0ELb0EPKfS0_fEv17rocblas_diagonal_iiT6_lPT7_lllS5_lllPT8_llli.num_agpr, 0
	.set _ZL30rocblas_trmm_outofplace_kernelIfLi32ELi2ELb0ELb1ELb0ELb0EPKfS0_fEv17rocblas_diagonal_iiT6_lPT7_lllS5_lllPT8_llli.numbered_sgpr, 54
	.set _ZL30rocblas_trmm_outofplace_kernelIfLi32ELi2ELb0ELb1ELb0ELb0EPKfS0_fEv17rocblas_diagonal_iiT6_lPT7_lllS5_lllPT8_llli.num_named_barrier, 0
	.set _ZL30rocblas_trmm_outofplace_kernelIfLi32ELi2ELb0ELb1ELb0ELb0EPKfS0_fEv17rocblas_diagonal_iiT6_lPT7_lllS5_lllPT8_llli.private_seg_size, 0
	.set _ZL30rocblas_trmm_outofplace_kernelIfLi32ELi2ELb0ELb1ELb0ELb0EPKfS0_fEv17rocblas_diagonal_iiT6_lPT7_lllS5_lllPT8_llli.uses_vcc, 1
	.set _ZL30rocblas_trmm_outofplace_kernelIfLi32ELi2ELb0ELb1ELb0ELb0EPKfS0_fEv17rocblas_diagonal_iiT6_lPT7_lllS5_lllPT8_llli.uses_flat_scratch, 0
	.set _ZL30rocblas_trmm_outofplace_kernelIfLi32ELi2ELb0ELb1ELb0ELb0EPKfS0_fEv17rocblas_diagonal_iiT6_lPT7_lllS5_lllPT8_llli.has_dyn_sized_stack, 0
	.set _ZL30rocblas_trmm_outofplace_kernelIfLi32ELi2ELb0ELb1ELb0ELb0EPKfS0_fEv17rocblas_diagonal_iiT6_lPT7_lllS5_lllPT8_llli.has_recursion, 0
	.set _ZL30rocblas_trmm_outofplace_kernelIfLi32ELi2ELb0ELb1ELb0ELb0EPKfS0_fEv17rocblas_diagonal_iiT6_lPT7_lllS5_lllPT8_llli.has_indirect_call, 0
	.section	.AMDGPU.csdata,"",@progbits
; Kernel info:
; codeLenInByte = 2868
; TotalNumSgprs: 60
; NumVgprs: 94
; NumAgprs: 0
; TotalNumVgprs: 94
; ScratchSize: 0
; MemoryBound: 0
; FloatMode: 240
; IeeeMode: 1
; LDSByteSize: 8192 bytes/workgroup (compile time only)
; SGPRBlocks: 7
; VGPRBlocks: 11
; NumSGPRsForWavesPerEU: 60
; NumVGPRsForWavesPerEU: 94
; AccumOffset: 96
; Occupancy: 5
; WaveLimiterHint : 0
; COMPUTE_PGM_RSRC2:SCRATCH_EN: 0
; COMPUTE_PGM_RSRC2:USER_SGPR: 2
; COMPUTE_PGM_RSRC2:TRAP_HANDLER: 0
; COMPUTE_PGM_RSRC2:TGID_X_EN: 1
; COMPUTE_PGM_RSRC2:TGID_Y_EN: 1
; COMPUTE_PGM_RSRC2:TGID_Z_EN: 1
; COMPUTE_PGM_RSRC2:TIDIG_COMP_CNT: 1
; COMPUTE_PGM_RSRC3_GFX90A:ACCUM_OFFSET: 23
; COMPUTE_PGM_RSRC3_GFX90A:TG_SPLIT: 0
	.section	.text._ZL30rocblas_trmm_outofplace_kernelIfLi32ELi2ELb0ELb1ELb0ELb0EfKffEv17rocblas_diagonal_iiT6_lPT7_lllS4_lllPT8_llli,"axG",@progbits,_ZL30rocblas_trmm_outofplace_kernelIfLi32ELi2ELb0ELb1ELb0ELb0EfKffEv17rocblas_diagonal_iiT6_lPT7_lllS4_lllPT8_llli,comdat
	.globl	_ZL30rocblas_trmm_outofplace_kernelIfLi32ELi2ELb0ELb1ELb0ELb0EfKffEv17rocblas_diagonal_iiT6_lPT7_lllS4_lllPT8_llli ; -- Begin function _ZL30rocblas_trmm_outofplace_kernelIfLi32ELi2ELb0ELb1ELb0ELb0EfKffEv17rocblas_diagonal_iiT6_lPT7_lllS4_lllPT8_llli
	.p2align	8
	.type	_ZL30rocblas_trmm_outofplace_kernelIfLi32ELi2ELb0ELb1ELb0ELb0EfKffEv17rocblas_diagonal_iiT6_lPT7_lllS4_lllPT8_llli,@function
_ZL30rocblas_trmm_outofplace_kernelIfLi32ELi2ELb0ELb1ELb0ELb0EfKffEv17rocblas_diagonal_iiT6_lPT7_lllS4_lllPT8_llli: ; @_ZL30rocblas_trmm_outofplace_kernelIfLi32ELi2ELb0ELb1ELb0ELb0EfKffEv17rocblas_diagonal_iiT6_lPT7_lllS4_lllPT8_llli
; %bb.0:
	s_load_dwordx4 s[24:27], s[0:1], 0x0
	s_waitcnt lgkmcnt(0)
	v_cmp_eq_f32_e64 s[6:7], s27, 0
	s_and_b64 vcc, exec, s[6:7]
	s_cbranch_vccnz .LBB15_51
; %bb.1:
	s_add_i32 s5, s26, -1
	s_ashr_i32 s6, s5, 31
	s_lshr_b32 s6, s6, 27
	s_add_i32 s5, s5, s6
	s_ashr_i32 s33, s5, 5
	s_cmp_gt_i32 s3, s33
	s_cbranch_scc1 .LBB15_51
; %bb.2:
	s_load_dwordx16 s[36:51], s[0:1], 0x18
	s_load_dwordx8 s[16:23], s[0:1], 0x58
	v_and_b32_e32 v14, 0x3ff, v0
	v_lshl_add_u32 v16, s2, 5, v14
	v_ashrrev_i32_e32 v17, 31, v16
	s_waitcnt lgkmcnt(0)
	s_mul_i32 s5, s51, s4
	s_mul_hi_u32 s7, s50, s4
	s_mul_i32 s6, s50, s4
	s_add_i32 s7, s7, s5
	s_lshl_b64 s[6:7], s[6:7], 2
	s_add_u32 s5, s44, s6
	s_addc_u32 s8, s45, s7
	s_lshl_b64 s[6:7], s[46:47], 2
	s_add_u32 s6, s5, s6
	s_addc_u32 s7, s8, s7
	s_mul_i32 s5, s23, s4
	s_mul_hi_u32 s8, s22, s4
	s_add_i32 s9, s8, s5
	s_mul_i32 s8, s22, s4
	s_lshl_b64 s[8:9], s[8:9], 2
	s_add_u32 s5, s16, s8
	s_addc_u32 s10, s17, s9
	s_lshl_b64 s[8:9], s[18:19], 2
	s_add_u32 s22, s5, s8
	s_addc_u32 s23, s10, s9
	s_cmpk_eq_i32 s24, 0x84
	s_cselect_b64 s[28:29], -1, 0
	s_ashr_i32 s2, s25, 31
	v_mov_b32_e32 v1, s2
	s_load_dword s2, s[0:1], 0x84
	v_lshl_add_u64 v[18:19], v[16:17], 2, s[6:7]
	v_sub_co_u32_e64 v24, s[6:7], 0, v14
	s_ashr_i32 s31, s26, 31
	s_lshl_b64 s[34:35], s[48:49], 7
	v_subb_co_u32_e64 v25, s[6:7], 0, 0, s[6:7]
	s_add_u32 s44, s26, -16
	s_mul_i32 s5, s43, s4
	s_mul_hi_u32 s6, s42, s4
	s_addc_u32 s45, s31, -1
	s_add_i32 s5, s6, s5
	s_mul_i32 s4, s42, s4
	s_waitcnt lgkmcnt(0)
	s_lshl_b32 s50, s2, 5
	s_lshl_b64 s[4:5], s[4:5], 2
	s_lshl_b64 s[6:7], s[38:39], 2
	s_add_u32 s4, s4, s6
	v_bfe_u32 v12, v0, 10, 10
	v_sub_co_u32_e32 v0, vcc, s25, v16
	s_addc_u32 s5, s5, s7
	s_nop 0
	v_subb_co_u32_e32 v1, vcc, v1, v17, vcc
	v_add_u32_e32 v22, 16, v16
	s_add_u32 s24, s36, s4
	v_cmp_gt_i64_e32 vcc, 1, v[0:1]
	v_cmp_gt_i64_e64 s[0:1], 17, v[0:1]
	v_cmp_gt_i32_e64 s[16:17], s25, v16
	v_cmp_gt_i32_e64 s[18:19], s25, v22
	s_addc_u32 s25, s37, s5
	v_mad_u64_u32 v[0:1], s[4:5], s48, v12, 0
	v_mov_b32_e32 v2, v1
	v_mad_u64_u32 v[2:3], s[4:5], s49, v12, v[2:3]
	v_mov_b32_e32 v1, v2
	v_lshl_add_u64 v[28:29], v[0:1], 2, 64
	v_lshl_add_u32 v1, v12, 2, 64
	v_mad_u64_u32 v[30:31], s[4:5], s48, v1, 0
	v_lshlrev_b32_e32 v20, 2, v14
	v_mov_b32_e32 v0, v31
	v_mov_b32_e32 v15, 0
	v_lshlrev_b32_e32 v52, 7, v12
	v_or_b32_e32 v54, 0x1000, v20
	v_mad_u64_u32 v[0:1], s[4:5], s49, v1, v[0:1]
	v_mov_b32_e32 v13, v15
	s_mov_b32 s30, s26
	v_add_u32_e32 v53, v52, v20
	v_add_u32_e32 v55, v54, v52
	v_ashrrev_i32_e32 v23, 31, v22
	v_lshl_add_u32 v26, s3, 5, v12
	v_mov_b32_e32 v21, v15
	s_lshl_b64 s[36:37], s[40:41], 2
	v_mov_b32_e32 v31, v0
	v_mov_b32_e32 v56, 1.0
	s_mov_b64 s[38:39], 0x80
	s_branch .LBB15_4
.LBB15_3:                               ;   in Loop: Header=BB15_4 Depth=1
	s_or_b64 exec, exec, s[4:5]
	s_add_i32 s3, s2, s3
	s_cmp_le_i32 s3, s33
	v_add_u32_e32 v26, s50, v26
	s_cbranch_scc0 .LBB15_51
.LBB15_4:                               ; =>This Loop Header: Depth=1
                                        ;     Child Loop BB15_7 Depth 2
	s_lshl_b32 s51, s3, 5
	v_add_u32_e32 v32, s51, v12
	v_ashrrev_i32_e32 v33, 31, v32
	s_cmp_lt_i32 s3, 0
	v_mov_b32_e32 v51, 0
	v_mov_b32_e32 v50, 0
	;; [unrolled: 1-line block ×4, first 2 shown]
	s_cbranch_scc1 .LBB15_43
; %bb.5:                                ;   in Loop: Header=BB15_4 Depth=1
	v_ashrrev_i32_e32 v27, 31, v26
	v_lshl_add_u64 v[0:1], v[26:27], 2, 64
	v_mov_b64_e32 v[2:3], s[24:25]
	v_mul_lo_u32 v1, s40, v1
	v_mul_lo_u32 v4, s41, v0
	v_mad_u64_u32 v[36:37], s[4:5], s40, v0, v[2:3]
	v_lshl_add_u64 v[34:35], v[24:25], 0, v[26:27]
	v_add3_u32 v37, v4, v37, v1
	v_mad_u64_u32 v[38:39], s[4:5], s36, v26, v[2:3]
	v_mul_lo_u32 v0, s37, v26
	v_mul_lo_u32 v1, s36, v27
	v_lshl_add_u64 v[40:41], v[32:33], 0, 16
	v_mov_b32_e32 v48, 0
	v_add3_u32 v39, v0, v39, v1
	v_cmp_le_i32_e64 s[6:7], s26, v32
	v_cmp_le_i64_e64 s[8:9], s[30:31], v[40:41]
	v_lshl_add_u64 v[42:43], v[34:35], 0, 16
	v_lshl_add_u64 v[44:45], v[34:35], 0, -16
	s_mov_b64 s[42:43], 0
	v_mov_b64_e32 v[46:47], v[18:19]
	v_mov_b32_e32 v49, v48
	v_mov_b32_e32 v50, v48
	;; [unrolled: 1-line block ×3, first 2 shown]
	s_branch .LBB15_7
.LBB15_6:                               ;   in Loop: Header=BB15_7 Depth=2
	s_or_b64 exec, exec, s[4:5]
	s_waitcnt lgkmcnt(0)
	s_barrier
	ds_read_b128 v[58:61], v52
	ds_read_b128 v[62:65], v52 offset:16
	ds_read_b128 v[4:7], v52 offset:32
	;; [unrolled: 1-line block ×3, first 2 shown]
	ds_read2_b32 v[74:75], v54 offset1:16
	ds_read2_b32 v[76:77], v54 offset0:32 offset1:48
	ds_read2_b32 v[78:79], v54 offset0:64 offset1:80
	;; [unrolled: 1-line block ×4, first 2 shown]
	ds_read_b128 v[66:69], v52 offset:2048
	ds_read_b128 v[70:73], v52 offset:2064
	ds_read2_b32 v[84:85], v54 offset0:160 offset1:176
	ds_read2_b32 v[86:87], v54 offset0:192 offset1:208
	;; [unrolled: 1-line block ×3, first 2 shown]
	s_waitcnt lgkmcnt(9)
	v_pk_fma_f32 v[50:51], v[74:75], v[58:59], v[50:51] op_sel_hi:[1,0,1]
	v_add_u32_e32 v27, 0x400, v54
	s_waitcnt lgkmcnt(8)
	v_pk_fma_f32 v[50:51], v[76:77], v[58:59], v[50:51] op_sel:[0,1,0]
	v_mov_b32_e32 v58, v61
	s_waitcnt lgkmcnt(7)
	v_pk_fma_f32 v[50:51], v[78:79], v[60:61], v[50:51] op_sel_hi:[1,0,1]
	ds_read2_b32 v[90:91], v27 offset1:16
	ds_read_b128 v[8:11], v52 offset:2080
	s_waitcnt lgkmcnt(8)
	v_pk_fma_f32 v[50:51], v[80:81], v[58:59], v[50:51] op_sel_hi:[1,0,1]
	ds_read2_b32 v[60:61], v27 offset0:32 offset1:48
	s_waitcnt lgkmcnt(8)
	v_pk_fma_f32 v[50:51], v[82:83], v[62:63], v[50:51] op_sel_hi:[1,0,1]
	v_mov_b32_e32 v58, v65
	s_waitcnt lgkmcnt(5)
	v_pk_fma_f32 v[50:51], v[84:85], v[62:63], v[50:51] op_sel:[0,1,0]
	v_pk_fma_f32 v[48:49], v[74:75], v[66:67], v[48:49] op_sel_hi:[1,0,1]
	s_waitcnt lgkmcnt(4)
	v_pk_fma_f32 v[50:51], v[86:87], v[64:65], v[50:51] op_sel_hi:[1,0,1]
	v_pk_fma_f32 v[48:49], v[76:77], v[66:67], v[48:49] op_sel:[0,1,0]
	s_waitcnt lgkmcnt(3)
	v_pk_fma_f32 v[50:51], v[88:89], v[58:59], v[50:51] op_sel_hi:[1,0,1]
	v_pk_fma_f32 v[48:49], v[78:79], v[68:69], v[48:49] op_sel_hi:[1,0,1]
	s_waitcnt lgkmcnt(2)
	v_pk_fma_f32 v[50:51], v[90:91], v[4:5], v[50:51] op_sel_hi:[1,0,1]
	s_add_u32 s42, s42, 32
	s_waitcnt lgkmcnt(0)
	v_pk_fma_f32 v[4:5], v[60:61], v[4:5], v[50:51] op_sel:[0,1,0]
	v_mov_b32_e32 v50, v69
	v_pk_fma_f32 v[48:49], v[80:81], v[50:51], v[48:49] op_sel_hi:[1,0,1]
	v_mov_b32_e32 v50, v73
	v_pk_fma_f32 v[48:49], v[82:83], v[70:71], v[48:49] op_sel_hi:[1,0,1]
	s_addc_u32 s43, s43, 0
	v_pk_fma_f32 v[48:49], v[84:85], v[70:71], v[48:49] op_sel:[0,1,0]
	s_sub_i32 s4, s42, 32
	v_pk_fma_f32 v[48:49], v[86:87], v[72:73], v[48:49] op_sel_hi:[1,0,1]
	v_lshl_add_u64 v[36:37], v[36:37], 0, s[38:39]
	v_pk_fma_f32 v[58:59], v[88:89], v[50:51], v[48:49] op_sel_hi:[1,0,1]
	ds_read_b128 v[48:51], v52 offset:2096
	ds_read2_b32 v[66:67], v27 offset0:64 offset1:80
	ds_read2_b32 v[68:69], v27 offset0:96 offset1:112
	;; [unrolled: 1-line block ×6, first 2 shown]
	s_waitcnt lgkmcnt(5)
	v_pk_fma_f32 v[4:5], v[66:67], v[6:7], v[4:5] op_sel_hi:[1,0,1]
	v_mov_b32_e32 v6, v7
	s_waitcnt lgkmcnt(4)
	v_pk_fma_f32 v[4:5], v[68:69], v[6:7], v[4:5] op_sel_hi:[1,0,1]
	v_pk_fma_f32 v[58:59], v[90:91], v[8:9], v[58:59] op_sel_hi:[1,0,1]
	v_add_u32_e32 v27, 0x800, v54
	s_waitcnt lgkmcnt(3)
	v_pk_fma_f32 v[4:5], v[70:71], v[0:1], v[4:5] op_sel_hi:[1,0,1]
	v_pk_fma_f32 v[8:9], v[60:61], v[8:9], v[58:59] op_sel:[0,1,0]
	ds_read2_b32 v[78:79], v27 offset1:16
	ds_read2_b32 v[80:81], v27 offset0:32 offset1:48
	ds_read2_b32 v[82:83], v27 offset0:64 offset1:80
	;; [unrolled: 1-line block ×3, first 2 shown]
	ds_read_b128 v[58:61], v52 offset:64
	ds_read_b128 v[62:65], v52 offset:80
	ds_read2_b32 v[86:87], v27 offset0:128 offset1:144
	s_waitcnt lgkmcnt(9)
	v_pk_fma_f32 v[0:1], v[72:73], v[0:1], v[4:5] op_sel:[0,1,0]
	v_pk_fma_f32 v[8:9], v[66:67], v[10:11], v[8:9] op_sel_hi:[1,0,1]
	s_waitcnt lgkmcnt(8)
	v_pk_fma_f32 v[0:1], v[74:75], v[2:3], v[0:1] op_sel_hi:[1,0,1]
	v_mov_b32_e32 v2, v3
	s_waitcnt lgkmcnt(7)
	v_pk_fma_f32 v[0:1], v[76:77], v[2:3], v[0:1] op_sel_hi:[1,0,1]
	s_waitcnt lgkmcnt(2)
	v_mov_b32_e32 v2, v61
	v_pk_fma_f32 v[0:1], v[78:79], v[58:59], v[0:1] op_sel_hi:[1,0,1]
	v_mov_b32_e32 v10, v11
	v_pk_fma_f32 v[0:1], v[80:81], v[58:59], v[0:1] op_sel:[0,1,0]
	v_pk_fma_f32 v[8:9], v[68:69], v[10:11], v[8:9] op_sel_hi:[1,0,1]
	v_pk_fma_f32 v[0:1], v[82:83], v[60:61], v[0:1] op_sel_hi:[1,0,1]
	;; [unrolled: 1-line block ×4, first 2 shown]
	v_pk_fma_f32 v[8:9], v[72:73], v[48:49], v[8:9] op_sel:[0,1,0]
	s_waitcnt lgkmcnt(0)
	v_pk_fma_f32 v[88:89], v[86:87], v[62:63], v[0:1] op_sel_hi:[1,0,1]
	ds_read_b128 v[0:3], v52 offset:2112
	ds_read_b128 v[4:7], v52 offset:2128
	v_pk_fma_f32 v[8:9], v[74:75], v[50:51], v[8:9] op_sel_hi:[1,0,1]
	v_mov_b32_e32 v10, v51
	ds_read2_b32 v[70:71], v27 offset0:160 offset1:176
	ds_read2_b32 v[72:73], v27 offset0:192 offset1:208
	;; [unrolled: 1-line block ×3, first 2 shown]
	v_pk_fma_f32 v[8:9], v[76:77], v[10:11], v[8:9] op_sel_hi:[1,0,1]
	v_add_u32_e32 v27, 0xc00, v54
	s_waitcnt lgkmcnt(4)
	v_pk_fma_f32 v[8:9], v[78:79], v[0:1], v[8:9] op_sel_hi:[1,0,1]
	s_waitcnt lgkmcnt(2)
	v_pk_fma_f32 v[50:51], v[70:71], v[62:63], v[88:89] op_sel:[0,1,0]
	v_pk_fma_f32 v[0:1], v[80:81], v[0:1], v[8:9] op_sel:[0,1,0]
	s_waitcnt lgkmcnt(1)
	v_pk_fma_f32 v[50:51], v[72:73], v[64:65], v[50:51] op_sel_hi:[1,0,1]
	v_pk_fma_f32 v[0:1], v[82:83], v[2:3], v[0:1] op_sel_hi:[1,0,1]
	v_mov_b32_e32 v2, v3
	v_mov_b32_e32 v62, v65
	v_pk_fma_f32 v[0:1], v[84:85], v[2:3], v[0:1] op_sel_hi:[1,0,1]
	s_waitcnt lgkmcnt(0)
	v_pk_fma_f32 v[50:51], v[74:75], v[62:63], v[50:51] op_sel_hi:[1,0,1]
	v_pk_fma_f32 v[48:49], v[86:87], v[4:5], v[0:1] op_sel_hi:[1,0,1]
	ds_read2_b32 v[76:77], v27 offset1:16
	ds_read2_b32 v[78:79], v27 offset0:32 offset1:48
	ds_read2_b32 v[80:81], v27 offset0:64 offset1:80
	;; [unrolled: 1-line block ×3, first 2 shown]
	ds_read_b128 v[0:3], v52 offset:96
	ds_read_b128 v[8:11], v52 offset:112
	ds_read2_b32 v[84:85], v27 offset0:128 offset1:144
	ds_read_b128 v[58:61], v52 offset:2144
	ds_read_b128 v[66:69], v52 offset:2160
	ds_read2_b32 v[86:87], v27 offset0:160 offset1:176
	ds_read2_b32 v[90:91], v27 offset0:192 offset1:208
	;; [unrolled: 1-line block ×3, first 2 shown]
	s_waitcnt lgkmcnt(7)
	v_pk_fma_f32 v[50:51], v[76:77], v[0:1], v[50:51] op_sel_hi:[1,0,1]
	v_lshl_add_u64 v[46:47], v[46:47], 0, s[34:35]
	v_pk_fma_f32 v[0:1], v[78:79], v[0:1], v[50:51] op_sel:[0,1,0]
	s_cmp_ge_i32 s4, s51
	v_pk_fma_f32 v[0:1], v[80:81], v[2:3], v[0:1] op_sel_hi:[1,0,1]
	v_mov_b32_e32 v2, v3
	v_pk_fma_f32 v[0:1], v[82:83], v[2:3], v[0:1] op_sel_hi:[1,0,1]
	s_waitcnt lgkmcnt(6)
	v_mov_b32_e32 v2, v11
	s_waitcnt lgkmcnt(5)
	v_pk_fma_f32 v[0:1], v[84:85], v[8:9], v[0:1] op_sel_hi:[1,0,1]
	v_lshl_add_u64 v[38:39], v[38:39], 0, s[38:39]
	s_waitcnt lgkmcnt(2)
	v_pk_fma_f32 v[0:1], v[86:87], v[8:9], v[0:1] op_sel:[0,1,0]
	s_waitcnt lgkmcnt(0)
	v_pk_fma_f32 v[0:1], v[90:91], v[10:11], v[0:1] op_sel_hi:[1,0,1]
	s_barrier
	v_pk_fma_f32 v[50:51], v[92:93], v[2:3], v[0:1] op_sel_hi:[1,0,1]
	v_pk_fma_f32 v[0:1], v[70:71], v[4:5], v[48:49] op_sel:[0,1,0]
	v_mov_b32_e32 v2, v7
	v_pk_fma_f32 v[0:1], v[72:73], v[6:7], v[0:1] op_sel_hi:[1,0,1]
	s_nop 0
	v_pk_fma_f32 v[0:1], v[74:75], v[2:3], v[0:1] op_sel_hi:[1,0,1]
	v_mov_b32_e32 v2, v61
	v_pk_fma_f32 v[0:1], v[76:77], v[58:59], v[0:1] op_sel_hi:[1,0,1]
	s_nop 0
	v_pk_fma_f32 v[0:1], v[78:79], v[58:59], v[0:1] op_sel:[0,1,0]
	s_nop 0
	v_pk_fma_f32 v[0:1], v[80:81], v[60:61], v[0:1] op_sel_hi:[1,0,1]
	s_nop 0
	v_pk_fma_f32 v[0:1], v[82:83], v[2:3], v[0:1] op_sel_hi:[1,0,1]
	v_mov_b32_e32 v2, v69
	v_pk_fma_f32 v[0:1], v[84:85], v[66:67], v[0:1] op_sel_hi:[1,0,1]
	s_nop 0
	v_pk_fma_f32 v[0:1], v[86:87], v[66:67], v[0:1] op_sel:[0,1,0]
	s_nop 0
	v_pk_fma_f32 v[0:1], v[90:91], v[68:69], v[0:1] op_sel_hi:[1,0,1]
	s_nop 0
	v_pk_fma_f32 v[48:49], v[92:93], v[2:3], v[0:1] op_sel_hi:[1,0,1]
	s_cbranch_scc1 .LBB15_43
.LBB15_7:                               ;   Parent Loop BB15_4 Depth=1
                                        ; =>  This Inner Loop Header: Depth=2
	v_lshl_add_u64 v[0:1], v[14:15], 0, s[42:43]
	v_cmp_eq_u64_e64 s[4:5], s[42:43], v[34:35]
	v_cmp_gt_i64_e64 s[10:11], v[0:1], v[32:33]
	s_and_b64 s[46:47], s[28:29], s[4:5]
	s_or_b64 s[4:5], s[6:7], s[10:11]
	v_cmp_le_i64_e64 s[12:13], s[30:31], v[0:1]
	s_or_b64 s[4:5], s[4:5], s[46:47]
	v_lshl_add_u64 v[2:3], v[38:39], 0, v[20:21]
	s_nor_b64 s[4:5], s[12:13], s[4:5]
                                        ; implicit-def: $vgpr4
	s_and_saveexec_b64 s[14:15], s[4:5]
	s_xor_b64 s[4:5], exec, s[14:15]
	s_cbranch_execz .LBB15_9
; %bb.8:                                ;   in Loop: Header=BB15_7 Depth=2
	global_load_dword v4, v[2:3], off
.LBB15_9:                               ;   in Loop: Header=BB15_7 Depth=2
	s_andn2_saveexec_b64 s[4:5], s[4:5]
	s_cbranch_execz .LBB15_11
; %bb.10:                               ;   in Loop: Header=BB15_7 Depth=2
	s_waitcnt vmcnt(0)
	v_cndmask_b32_e64 v4, 0, 1.0, s[46:47]
.LBB15_11:                              ;   in Loop: Header=BB15_7 Depth=2
	s_or_b64 exec, exec, s[4:5]
	s_waitcnt vmcnt(0)
	ds_write_b32 v53, v4
	v_lshl_add_u64 v[4:5], v[0:1], 0, 16
	v_cmp_eq_u64_e64 s[4:5], s[42:43], v[44:45]
	s_and_b64 s[48:49], s[28:29], s[4:5]
	v_cmp_gt_i64_e64 s[4:5], v[4:5], v[32:33]
	s_or_b64 s[4:5], s[6:7], s[4:5]
	v_cmp_le_i64_e64 s[14:15], s[30:31], v[4:5]
	s_or_b64 s[4:5], s[4:5], s[48:49]
	s_nor_b64 s[4:5], s[14:15], s[4:5]
	s_and_saveexec_b64 s[52:53], s[4:5]
	s_xor_b64 s[4:5], exec, s[52:53]
	s_cbranch_execz .LBB15_13
; %bb.12:                               ;   in Loop: Header=BB15_7 Depth=2
	global_load_dword v2, v[2:3], off offset:64
	s_waitcnt vmcnt(0)
	ds_write_b32 v53, v2 offset:64
.LBB15_13:                              ;   in Loop: Header=BB15_7 Depth=2
	s_andn2_saveexec_b64 s[4:5], s[4:5]
	s_cbranch_execz .LBB15_19
; %bb.14:                               ;   in Loop: Header=BB15_7 Depth=2
	s_xor_b64 s[48:49], s[48:49], -1
	s_and_saveexec_b64 s[52:53], s[48:49]
	s_xor_b64 s[48:49], exec, s[52:53]
; %bb.15:                               ;   in Loop: Header=BB15_7 Depth=2
	ds_write_b32 v53, v15 offset:64
; %bb.16:                               ;   in Loop: Header=BB15_7 Depth=2
	s_andn2_saveexec_b64 s[48:49], s[48:49]
; %bb.17:                               ;   in Loop: Header=BB15_7 Depth=2
	ds_write_b32 v53, v56 offset:64
; %bb.18:                               ;   in Loop: Header=BB15_7 Depth=2
	s_or_b64 exec, exec, s[48:49]
.LBB15_19:                              ;   in Loop: Header=BB15_7 Depth=2
	s_or_b64 exec, exec, s[4:5]
	v_cmp_eq_u64_e64 s[4:5], s[42:43], v[42:43]
	s_and_b64 s[48:49], s[28:29], s[4:5]
	v_cmp_gt_i64_e64 s[4:5], v[0:1], v[40:41]
	s_or_b64 s[4:5], s[8:9], s[4:5]
	s_or_b64 s[4:5], s[4:5], s[48:49]
	v_lshl_add_u64 v[2:3], v[36:37], 0, v[20:21]
	s_nor_b64 s[4:5], s[12:13], s[4:5]
                                        ; implicit-def: $vgpr0
	s_and_saveexec_b64 s[12:13], s[4:5]
	s_xor_b64 s[4:5], exec, s[12:13]
	s_cbranch_execz .LBB15_21
; %bb.20:                               ;   in Loop: Header=BB15_7 Depth=2
	global_load_dword v0, v[2:3], off
.LBB15_21:                              ;   in Loop: Header=BB15_7 Depth=2
	s_andn2_saveexec_b64 s[4:5], s[4:5]
	s_cbranch_execz .LBB15_23
; %bb.22:                               ;   in Loop: Header=BB15_7 Depth=2
	s_waitcnt vmcnt(0)
	v_cndmask_b32_e64 v0, 0, 1.0, s[48:49]
.LBB15_23:                              ;   in Loop: Header=BB15_7 Depth=2
	s_or_b64 exec, exec, s[4:5]
	s_or_b64 s[4:5], s[8:9], s[10:11]
	s_or_b64 s[4:5], s[4:5], s[46:47]
	s_nor_b64 s[4:5], s[14:15], s[4:5]
	s_waitcnt vmcnt(0)
	ds_write_b32 v53, v0 offset:2048
	s_and_saveexec_b64 s[10:11], s[4:5]
	s_xor_b64 s[4:5], exec, s[10:11]
	s_cbranch_execz .LBB15_25
; %bb.24:                               ;   in Loop: Header=BB15_7 Depth=2
	global_load_dword v0, v[2:3], off offset:64
	s_waitcnt vmcnt(0)
	ds_write_b32 v53, v0 offset:2112
.LBB15_25:                              ;   in Loop: Header=BB15_7 Depth=2
	s_andn2_saveexec_b64 s[4:5], s[4:5]
	s_cbranch_execz .LBB15_31
; %bb.26:                               ;   in Loop: Header=BB15_7 Depth=2
	s_xor_b64 s[10:11], s[46:47], -1
	s_and_saveexec_b64 s[12:13], s[10:11]
	s_xor_b64 s[10:11], exec, s[12:13]
; %bb.27:                               ;   in Loop: Header=BB15_7 Depth=2
	ds_write_b32 v53, v15 offset:2112
; %bb.28:                               ;   in Loop: Header=BB15_7 Depth=2
	s_andn2_saveexec_b64 s[10:11], s[10:11]
; %bb.29:                               ;   in Loop: Header=BB15_7 Depth=2
	ds_write_b32 v53, v56 offset:2112
; %bb.30:                               ;   in Loop: Header=BB15_7 Depth=2
	s_or_b64 exec, exec, s[10:11]
.LBB15_31:                              ;   in Loop: Header=BB15_7 Depth=2
	s_or_b64 exec, exec, s[4:5]
	v_lshl_add_u64 v[0:1], v[12:13], 0, s[42:43]
	v_cmp_le_i64_e64 s[10:11], s[30:31], v[0:1]
	v_lshl_add_u64 v[2:3], v[46:47], 0, v[28:29]
	s_nor_b64 s[12:13], s[10:11], vcc
	v_mov_b32_e32 v4, 0
	s_and_saveexec_b64 s[4:5], s[12:13]
	s_cbranch_execz .LBB15_33
; %bb.32:                               ;   in Loop: Header=BB15_7 Depth=2
	global_load_dword v4, v[2:3], off offset:-64
.LBB15_33:                              ;   in Loop: Header=BB15_7 Depth=2
	s_or_b64 exec, exec, s[4:5]
	s_nor_b64 s[4:5], s[10:11], s[0:1]
	s_waitcnt vmcnt(0)
	ds_write_b32 v55, v4
	s_and_saveexec_b64 s[10:11], s[4:5]
	s_xor_b64 s[4:5], exec, s[10:11]
	s_cbranch_execz .LBB15_35
; %bb.34:                               ;   in Loop: Header=BB15_7 Depth=2
	global_load_dword v2, v[2:3], off
	s_waitcnt vmcnt(0)
	ds_write_b32 v55, v2 offset:64
.LBB15_35:                              ;   in Loop: Header=BB15_7 Depth=2
	s_andn2_saveexec_b64 s[4:5], s[4:5]
; %bb.36:                               ;   in Loop: Header=BB15_7 Depth=2
	ds_write_b32 v55, v15 offset:64
; %bb.37:                               ;   in Loop: Header=BB15_7 Depth=2
	s_or_b64 exec, exec, s[4:5]
	v_cmp_le_i64_e64 s[10:11], s[44:45], v[0:1]
	v_lshl_add_u64 v[0:1], v[46:47], 0, v[30:31]
	s_nor_b64 s[12:13], s[10:11], vcc
	v_mov_b32_e32 v2, 0
	s_and_saveexec_b64 s[4:5], s[12:13]
	s_cbranch_execz .LBB15_39
; %bb.38:                               ;   in Loop: Header=BB15_7 Depth=2
	global_load_dword v2, v[0:1], off
.LBB15_39:                              ;   in Loop: Header=BB15_7 Depth=2
	s_or_b64 exec, exec, s[4:5]
	s_nor_b64 s[4:5], s[10:11], s[0:1]
	s_waitcnt vmcnt(0)
	ds_write_b32 v55, v2 offset:2048
	s_and_saveexec_b64 s[10:11], s[4:5]
	s_xor_b64 s[4:5], exec, s[10:11]
	s_cbranch_execz .LBB15_41
; %bb.40:                               ;   in Loop: Header=BB15_7 Depth=2
	global_load_dword v0, v[0:1], off offset:64
	s_waitcnt vmcnt(0)
	ds_write_b32 v55, v0 offset:2112
.LBB15_41:                              ;   in Loop: Header=BB15_7 Depth=2
	s_andn2_saveexec_b64 s[4:5], s[4:5]
	s_cbranch_execz .LBB15_6
; %bb.42:                               ;   in Loop: Header=BB15_7 Depth=2
	ds_write_b32 v55, v15 offset:2112
	s_branch .LBB15_6
.LBB15_43:                              ;   in Loop: Header=BB15_4 Depth=1
	v_mul_lo_u32 v2, s21, v32
	v_mul_lo_u32 v3, s20, v33
	v_mad_u64_u32 v[0:1], s[4:5], s20, v32, 0
	v_cmp_gt_i32_e64 s[6:7], s26, v32
	v_add3_u32 v1, v1, v3, v2
	v_lshl_add_u64 v[0:1], v[0:1], 2, s[22:23]
	s_and_b64 s[8:9], s[16:17], s[6:7]
	s_and_saveexec_b64 s[4:5], s[8:9]
	s_cbranch_execz .LBB15_45
; %bb.44:                               ;   in Loop: Header=BB15_4 Depth=1
	v_lshl_add_u64 v[2:3], v[16:17], 2, v[0:1]
	global_load_dword v4, v[2:3], off
	s_waitcnt vmcnt(0)
	v_fmac_f32_e32 v4, s27, v50
	global_store_dword v[2:3], v4, off
.LBB15_45:                              ;   in Loop: Header=BB15_4 Depth=1
	s_or_b64 exec, exec, s[4:5]
	s_and_b64 s[6:7], s[18:19], s[6:7]
	s_and_saveexec_b64 s[4:5], s[6:7]
	s_cbranch_execz .LBB15_47
; %bb.46:                               ;   in Loop: Header=BB15_4 Depth=1
	v_lshl_add_u64 v[0:1], v[22:23], 2, v[0:1]
	global_load_dword v2, v[0:1], off
	s_waitcnt vmcnt(0)
	v_fmac_f32_e32 v2, s27, v51
	global_store_dword v[0:1], v2, off
.LBB15_47:                              ;   in Loop: Header=BB15_4 Depth=1
	s_or_b64 exec, exec, s[4:5]
	v_add_u32_e32 v0, 16, v32
	v_ashrrev_i32_e32 v1, 31, v0
	v_cmp_gt_i32_e64 s[6:7], s26, v0
	v_mul_lo_u32 v2, s20, v1
	v_mul_lo_u32 v3, s21, v0
	v_mad_u64_u32 v[0:1], s[4:5], s20, v0, 0
	v_add3_u32 v1, v1, v2, v3
	v_lshl_add_u64 v[0:1], v[0:1], 2, s[22:23]
	s_and_b64 s[8:9], s[16:17], s[6:7]
	s_and_saveexec_b64 s[4:5], s[8:9]
	s_cbranch_execz .LBB15_49
; %bb.48:                               ;   in Loop: Header=BB15_4 Depth=1
	v_lshl_add_u64 v[2:3], v[16:17], 2, v[0:1]
	global_load_dword v4, v[2:3], off
	s_waitcnt vmcnt(0)
	v_fmac_f32_e32 v4, s27, v48
	global_store_dword v[2:3], v4, off
.LBB15_49:                              ;   in Loop: Header=BB15_4 Depth=1
	s_or_b64 exec, exec, s[4:5]
	s_and_b64 s[6:7], s[18:19], s[6:7]
	s_and_saveexec_b64 s[4:5], s[6:7]
	s_cbranch_execz .LBB15_3
; %bb.50:                               ;   in Loop: Header=BB15_4 Depth=1
	v_lshl_add_u64 v[0:1], v[22:23], 2, v[0:1]
	global_load_dword v2, v[0:1], off
	s_waitcnt vmcnt(0)
	v_fmac_f32_e32 v2, s27, v49
	global_store_dword v[0:1], v2, off
	s_branch .LBB15_3
.LBB15_51:
	s_endpgm
	.section	.rodata,"a",@progbits
	.p2align	6, 0x0
	.amdhsa_kernel _ZL30rocblas_trmm_outofplace_kernelIfLi32ELi2ELb0ELb1ELb0ELb0EfKffEv17rocblas_diagonal_iiT6_lPT7_lllS4_lllPT8_llli
		.amdhsa_group_segment_fixed_size 8192
		.amdhsa_private_segment_fixed_size 0
		.amdhsa_kernarg_size 384
		.amdhsa_user_sgpr_count 2
		.amdhsa_user_sgpr_dispatch_ptr 0
		.amdhsa_user_sgpr_queue_ptr 0
		.amdhsa_user_sgpr_kernarg_segment_ptr 1
		.amdhsa_user_sgpr_dispatch_id 0
		.amdhsa_user_sgpr_kernarg_preload_length 0
		.amdhsa_user_sgpr_kernarg_preload_offset 0
		.amdhsa_user_sgpr_private_segment_size 0
		.amdhsa_uses_dynamic_stack 0
		.amdhsa_enable_private_segment 0
		.amdhsa_system_sgpr_workgroup_id_x 1
		.amdhsa_system_sgpr_workgroup_id_y 1
		.amdhsa_system_sgpr_workgroup_id_z 1
		.amdhsa_system_sgpr_workgroup_info 0
		.amdhsa_system_vgpr_workitem_id 1
		.amdhsa_next_free_vgpr 94
		.amdhsa_next_free_sgpr 54
		.amdhsa_accum_offset 96
		.amdhsa_reserve_vcc 1
		.amdhsa_float_round_mode_32 0
		.amdhsa_float_round_mode_16_64 0
		.amdhsa_float_denorm_mode_32 3
		.amdhsa_float_denorm_mode_16_64 3
		.amdhsa_dx10_clamp 1
		.amdhsa_ieee_mode 1
		.amdhsa_fp16_overflow 0
		.amdhsa_tg_split 0
		.amdhsa_exception_fp_ieee_invalid_op 0
		.amdhsa_exception_fp_denorm_src 0
		.amdhsa_exception_fp_ieee_div_zero 0
		.amdhsa_exception_fp_ieee_overflow 0
		.amdhsa_exception_fp_ieee_underflow 0
		.amdhsa_exception_fp_ieee_inexact 0
		.amdhsa_exception_int_div_zero 0
	.end_amdhsa_kernel
	.section	.text._ZL30rocblas_trmm_outofplace_kernelIfLi32ELi2ELb0ELb1ELb0ELb0EfKffEv17rocblas_diagonal_iiT6_lPT7_lllS4_lllPT8_llli,"axG",@progbits,_ZL30rocblas_trmm_outofplace_kernelIfLi32ELi2ELb0ELb1ELb0ELb0EfKffEv17rocblas_diagonal_iiT6_lPT7_lllS4_lllPT8_llli,comdat
.Lfunc_end15:
	.size	_ZL30rocblas_trmm_outofplace_kernelIfLi32ELi2ELb0ELb1ELb0ELb0EfKffEv17rocblas_diagonal_iiT6_lPT7_lllS4_lllPT8_llli, .Lfunc_end15-_ZL30rocblas_trmm_outofplace_kernelIfLi32ELi2ELb0ELb1ELb0ELb0EfKffEv17rocblas_diagonal_iiT6_lPT7_lllS4_lllPT8_llli
                                        ; -- End function
	.set _ZL30rocblas_trmm_outofplace_kernelIfLi32ELi2ELb0ELb1ELb0ELb0EfKffEv17rocblas_diagonal_iiT6_lPT7_lllS4_lllPT8_llli.num_vgpr, 94
	.set _ZL30rocblas_trmm_outofplace_kernelIfLi32ELi2ELb0ELb1ELb0ELb0EfKffEv17rocblas_diagonal_iiT6_lPT7_lllS4_lllPT8_llli.num_agpr, 0
	.set _ZL30rocblas_trmm_outofplace_kernelIfLi32ELi2ELb0ELb1ELb0ELb0EfKffEv17rocblas_diagonal_iiT6_lPT7_lllS4_lllPT8_llli.numbered_sgpr, 54
	.set _ZL30rocblas_trmm_outofplace_kernelIfLi32ELi2ELb0ELb1ELb0ELb0EfKffEv17rocblas_diagonal_iiT6_lPT7_lllS4_lllPT8_llli.num_named_barrier, 0
	.set _ZL30rocblas_trmm_outofplace_kernelIfLi32ELi2ELb0ELb1ELb0ELb0EfKffEv17rocblas_diagonal_iiT6_lPT7_lllS4_lllPT8_llli.private_seg_size, 0
	.set _ZL30rocblas_trmm_outofplace_kernelIfLi32ELi2ELb0ELb1ELb0ELb0EfKffEv17rocblas_diagonal_iiT6_lPT7_lllS4_lllPT8_llli.uses_vcc, 1
	.set _ZL30rocblas_trmm_outofplace_kernelIfLi32ELi2ELb0ELb1ELb0ELb0EfKffEv17rocblas_diagonal_iiT6_lPT7_lllS4_lllPT8_llli.uses_flat_scratch, 0
	.set _ZL30rocblas_trmm_outofplace_kernelIfLi32ELi2ELb0ELb1ELb0ELb0EfKffEv17rocblas_diagonal_iiT6_lPT7_lllS4_lllPT8_llli.has_dyn_sized_stack, 0
	.set _ZL30rocblas_trmm_outofplace_kernelIfLi32ELi2ELb0ELb1ELb0ELb0EfKffEv17rocblas_diagonal_iiT6_lPT7_lllS4_lllPT8_llli.has_recursion, 0
	.set _ZL30rocblas_trmm_outofplace_kernelIfLi32ELi2ELb0ELb1ELb0ELb0EfKffEv17rocblas_diagonal_iiT6_lPT7_lllS4_lllPT8_llli.has_indirect_call, 0
	.section	.AMDGPU.csdata,"",@progbits
; Kernel info:
; codeLenInByte = 2824
; TotalNumSgprs: 60
; NumVgprs: 94
; NumAgprs: 0
; TotalNumVgprs: 94
; ScratchSize: 0
; MemoryBound: 0
; FloatMode: 240
; IeeeMode: 1
; LDSByteSize: 8192 bytes/workgroup (compile time only)
; SGPRBlocks: 7
; VGPRBlocks: 11
; NumSGPRsForWavesPerEU: 60
; NumVGPRsForWavesPerEU: 94
; AccumOffset: 96
; Occupancy: 5
; WaveLimiterHint : 0
; COMPUTE_PGM_RSRC2:SCRATCH_EN: 0
; COMPUTE_PGM_RSRC2:USER_SGPR: 2
; COMPUTE_PGM_RSRC2:TRAP_HANDLER: 0
; COMPUTE_PGM_RSRC2:TGID_X_EN: 1
; COMPUTE_PGM_RSRC2:TGID_Y_EN: 1
; COMPUTE_PGM_RSRC2:TGID_Z_EN: 1
; COMPUTE_PGM_RSRC2:TIDIG_COMP_CNT: 1
; COMPUTE_PGM_RSRC3_GFX90A:ACCUM_OFFSET: 23
; COMPUTE_PGM_RSRC3_GFX90A:TG_SPLIT: 0
	.section	.text._ZL30rocblas_trmm_outofplace_kernelIfLi32ELi2ELb0ELb0ELb1ELb0EPKfS0_fEv17rocblas_diagonal_iiT6_lPT7_lllS5_lllPT8_llli,"axG",@progbits,_ZL30rocblas_trmm_outofplace_kernelIfLi32ELi2ELb0ELb0ELb1ELb0EPKfS0_fEv17rocblas_diagonal_iiT6_lPT7_lllS5_lllPT8_llli,comdat
	.globl	_ZL30rocblas_trmm_outofplace_kernelIfLi32ELi2ELb0ELb0ELb1ELb0EPKfS0_fEv17rocblas_diagonal_iiT6_lPT7_lllS5_lllPT8_llli ; -- Begin function _ZL30rocblas_trmm_outofplace_kernelIfLi32ELi2ELb0ELb0ELb1ELb0EPKfS0_fEv17rocblas_diagonal_iiT6_lPT7_lllS5_lllPT8_llli
	.p2align	8
	.type	_ZL30rocblas_trmm_outofplace_kernelIfLi32ELi2ELb0ELb0ELb1ELb0EPKfS0_fEv17rocblas_diagonal_iiT6_lPT7_lllS5_lllPT8_llli,@function
_ZL30rocblas_trmm_outofplace_kernelIfLi32ELi2ELb0ELb0ELb1ELb0EPKfS0_fEv17rocblas_diagonal_iiT6_lPT7_lllS5_lllPT8_llli: ; @_ZL30rocblas_trmm_outofplace_kernelIfLi32ELi2ELb0ELb0ELb1ELb0EPKfS0_fEv17rocblas_diagonal_iiT6_lPT7_lllS5_lllPT8_llli
; %bb.0:
	s_load_dwordx16 s[16:31], s[0:1], 0x10
	s_waitcnt lgkmcnt(0)
	s_mul_i32 s5, s19, s4
	s_mul_hi_u32 s6, s18, s4
	s_add_i32 s7, s6, s5
	s_mul_i32 s6, s18, s4
	s_lshl_b64 s[6:7], s[6:7], 2
	s_add_u32 s6, s16, s6
	s_addc_u32 s7, s17, s7
	s_load_dword s33, s[6:7], 0x0
	s_waitcnt lgkmcnt(0)
	v_cmp_eq_f32_e64 s[6:7], s33, 0
	s_and_b64 vcc, exec, s[6:7]
	s_cbranch_vccnz .LBB16_51
; %bb.1:
	s_load_dwordx4 s[36:39], s[0:1], 0x0
	s_waitcnt lgkmcnt(0)
	s_add_i32 s5, s38, -1
	s_ashr_i32 s6, s5, 31
	s_lshr_b32 s6, s6, 27
	s_add_i32 s5, s5, s6
	s_ashr_i32 s46, s5, 5
	s_cmp_gt_i32 s3, s46
	s_cbranch_scc1 .LBB16_51
; %bb.2:
	s_mul_i32 s5, s27, s4
	s_mul_hi_u32 s6, s26, s4
	s_load_dwordx8 s[8:15], s[0:1], 0x50
	s_load_dwordx4 s[40:43], s[0:1], 0x70
	s_add_i32 s7, s6, s5
	s_mul_i32 s6, s26, s4
	s_lshl_b64 s[18:19], s[6:7], 2
	s_add_u32 s5, s20, s18
	s_addc_u32 s7, s21, s19
	s_lshl_b64 s[44:45], s[22:23], 2
	s_add_u32 s6, s5, s44
	s_waitcnt lgkmcnt(0)
	s_mul_i32 s5, s11, s4
	s_mul_hi_u32 s11, s10, s4
	s_addc_u32 s7, s7, s45
	s_add_i32 s11, s11, s5
	s_mul_i32 s10, s10, s4
	s_lshl_b64 s[10:11], s[10:11], 2
	s_add_u32 s5, s28, s10
	s_addc_u32 s16, s29, s11
	s_lshl_b64 s[10:11], s[30:31], 2
	s_add_u32 s10, s5, s10
	s_load_dword s47, s[0:1], 0x8c
	s_mul_i32 s0, s43, s4
	s_mul_hi_u32 s1, s42, s4
	s_addc_u32 s11, s16, s11
	s_add_i32 s1, s1, s0
	s_mul_i32 s0, s42, s4
	s_lshl_b64 s[0:1], s[0:1], 2
	s_add_u32 s4, s12, s0
	s_addc_u32 s5, s13, s1
	s_lshl_b64 s[0:1], s[14:15], 2
	s_add_u32 s22, s4, s0
	v_and_b32_e32 v14, 0x3ff, v0
	v_bfe_u32 v12, v0, 10, 10
	s_addc_u32 s23, s5, s1
	v_mad_u64_u32 v[0:1], s[0:1], s24, v14, 0
	v_mov_b32_e32 v2, v1
	v_mad_u64_u32 v[2:3], s[0:1], s25, v14, v[2:3]
	s_cmpk_eq_i32 s36, 0x84
	v_lshl_add_u32 v16, s2, 5, v14
	v_mov_b32_e32 v1, v2
	s_cselect_b64 s[26:27], -1, 0
	s_ashr_i32 s0, s37, 31
	v_ashrrev_i32_e32 v17, 31, v16
	v_lshl_add_u64 v[18:19], v[0:1], 2, s[6:7]
	v_mov_b32_e32 v1, s0
	v_sub_co_u32_e32 v0, vcc, s37, v16
	v_sub_co_u32_e64 v24, s[6:7], 0, v14
	s_nop 0
	v_subb_co_u32_e32 v1, vcc, v1, v17, vcc
	s_ashr_i32 s39, s38, 31
	s_lshl_b64 s[28:29], s[24:25], 7
	s_lshl_b64 s[30:31], s[8:9], 7
	v_cmp_gt_i64_e32 vcc, 1, v[0:1]
	v_cmp_gt_i64_e64 s[0:1], 17, v[0:1]
	v_subb_co_u32_e64 v25, s[6:7], 0, 0, s[6:7]
	v_mad_u64_u32 v[0:1], s[6:7], s8, v12, 0
	s_add_u32 s34, s38, -16
	v_mov_b32_e32 v2, v1
	s_addc_u32 s35, s39, -1
	s_waitcnt lgkmcnt(0)
	s_lshl_b32 s2, s47, 5
	v_mad_u64_u32 v[2:3], s[6:7], s9, v12, v[2:3]
	s_add_u32 s6, s20, s44
	s_addc_u32 s7, s21, s45
	s_add_u32 s6, s6, s18
	v_lshlrev_b32_e32 v4, 2, v14
	v_mov_b32_e32 v1, v2
	s_addc_u32 s7, s7, s19
	v_lshl_add_u64 v[28:29], v[0:1], 2, 64
	v_add_u32_e32 v2, 64, v4
	v_mov_b64_e32 v[0:1], s[6:7]
	v_mad_u64_u32 v[30:31], s[6:7], s24, v2, v[0:1]
	v_mov_b32_e32 v0, v31
	v_mad_u64_u32 v[0:1], s[6:7], s25, v2, v[0:1]
	v_lshl_add_u32 v1, v12, 2, 64
	v_mad_u64_u32 v[32:33], s[6:7], s8, v1, 0
	v_mov_b32_e32 v31, v0
	v_mov_b32_e32 v0, v33
	;; [unrolled: 1-line block ×3, first 2 shown]
	v_lshlrev_b32_e32 v56, 7, v12
	v_or_b32_e32 v58, 0x1000, v4
	v_add_u32_e32 v22, 16, v16
	v_mad_u64_u32 v[0:1], s[6:7], s9, v1, v[0:1]
	v_mov_b32_e32 v13, v15
	v_lshl_add_u64 v[20:21], v[16:17], 2, s[10:11]
	v_add_u32_e32 v57, v56, v4
	v_add_u32_e32 v59, v58, v56
	v_cmp_gt_i32_e64 s[16:17], s37, v16
	v_cmp_gt_i32_e64 s[4:5], s37, v22
	v_ashrrev_i32_e32 v23, 31, v22
	v_lshl_add_u32 v26, s3, 5, v12
	v_mov_b32_e32 v33, v0
	v_mov_b32_e32 v60, 1.0
	s_branch .LBB16_4
.LBB16_3:                               ;   in Loop: Header=BB16_4 Depth=1
	s_or_b64 exec, exec, s[6:7]
	s_add_i32 s3, s47, s3
	s_cmp_le_i32 s3, s46
	v_add_u32_e32 v26, s2, v26
	s_cbranch_scc0 .LBB16_51
.LBB16_4:                               ; =>This Loop Header: Depth=1
                                        ;     Child Loop BB16_7 Depth 2
	s_lshl_b32 s42, s3, 5
	v_add_u32_e32 v34, s42, v12
	v_ashrrev_i32_e32 v35, 31, v34
	s_cmp_lt_i32 s3, 0
	v_mov_b32_e32 v55, 0
	v_mov_b32_e32 v54, 0
	v_mov_b32_e32 v53, 0
	v_mov_b32_e32 v52, 0
	s_cbranch_scc1 .LBB16_43
; %bb.5:                                ;   in Loop: Header=BB16_4 Depth=1
	v_ashrrev_i32_e32 v27, 31, v26
	v_lshl_add_u64 v[36:37], v[24:25], 0, v[26:27]
	v_lshl_add_u64 v[40:41], v[34:35], 0, 16
	v_mov_b32_e32 v52, 0
	v_lshlrev_b64 v[38:39], 2, v[26:27]
	v_cmp_le_i32_e64 s[6:7], s38, v34
	v_cmp_le_i64_e64 s[8:9], s[38:39], v[40:41]
	v_lshl_add_u64 v[42:43], v[36:37], 0, 16
	v_lshl_add_u64 v[44:45], v[36:37], 0, -16
	s_mov_b64 s[20:21], 0
	v_mov_b64_e32 v[46:47], v[18:19]
	v_mov_b64_e32 v[48:49], v[30:31]
	;; [unrolled: 1-line block ×3, first 2 shown]
	v_mov_b32_e32 v53, v52
	v_mov_b32_e32 v54, v52
	v_mov_b32_e32 v55, v52
	s_branch .LBB16_7
.LBB16_6:                               ;   in Loop: Header=BB16_7 Depth=2
	s_or_b64 exec, exec, s[10:11]
	s_waitcnt lgkmcnt(0)
	s_barrier
	ds_read_b128 v[62:65], v56
	ds_read_b128 v[66:69], v56 offset:16
	ds_read_b128 v[4:7], v56 offset:32
	;; [unrolled: 1-line block ×3, first 2 shown]
	ds_read2_b32 v[78:79], v58 offset1:16
	ds_read2_b32 v[80:81], v58 offset0:32 offset1:48
	ds_read2_b32 v[82:83], v58 offset0:64 offset1:80
	;; [unrolled: 1-line block ×4, first 2 shown]
	ds_read_b128 v[70:73], v56 offset:2048
	ds_read_b128 v[74:77], v56 offset:2064
	ds_read2_b32 v[88:89], v58 offset0:160 offset1:176
	ds_read2_b32 v[90:91], v58 offset0:192 offset1:208
	;; [unrolled: 1-line block ×3, first 2 shown]
	s_waitcnt lgkmcnt(9)
	v_pk_fma_f32 v[54:55], v[78:79], v[62:63], v[54:55] op_sel_hi:[1,0,1]
	v_add_u32_e32 v27, 0x400, v58
	s_waitcnt lgkmcnt(8)
	v_pk_fma_f32 v[54:55], v[80:81], v[62:63], v[54:55] op_sel:[0,1,0]
	v_mov_b32_e32 v62, v65
	s_waitcnt lgkmcnt(7)
	v_pk_fma_f32 v[54:55], v[82:83], v[64:65], v[54:55] op_sel_hi:[1,0,1]
	ds_read2_b32 v[94:95], v27 offset1:16
	ds_read_b128 v[8:11], v56 offset:2080
	s_waitcnt lgkmcnt(8)
	v_pk_fma_f32 v[54:55], v[84:85], v[62:63], v[54:55] op_sel_hi:[1,0,1]
	ds_read2_b32 v[64:65], v27 offset0:32 offset1:48
	s_waitcnt lgkmcnt(8)
	v_pk_fma_f32 v[54:55], v[86:87], v[66:67], v[54:55] op_sel_hi:[1,0,1]
	v_mov_b32_e32 v62, v69
	s_waitcnt lgkmcnt(5)
	v_pk_fma_f32 v[54:55], v[88:89], v[66:67], v[54:55] op_sel:[0,1,0]
	v_pk_fma_f32 v[52:53], v[78:79], v[70:71], v[52:53] op_sel_hi:[1,0,1]
	s_waitcnt lgkmcnt(4)
	v_pk_fma_f32 v[54:55], v[90:91], v[68:69], v[54:55] op_sel_hi:[1,0,1]
	v_pk_fma_f32 v[52:53], v[80:81], v[70:71], v[52:53] op_sel:[0,1,0]
	s_waitcnt lgkmcnt(3)
	v_pk_fma_f32 v[54:55], v[92:93], v[62:63], v[54:55] op_sel_hi:[1,0,1]
	v_pk_fma_f32 v[52:53], v[82:83], v[72:73], v[52:53] op_sel_hi:[1,0,1]
	s_waitcnt lgkmcnt(2)
	v_pk_fma_f32 v[54:55], v[94:95], v[4:5], v[54:55] op_sel_hi:[1,0,1]
	s_add_u32 s20, s20, 32
	s_waitcnt lgkmcnt(0)
	v_pk_fma_f32 v[4:5], v[64:65], v[4:5], v[54:55] op_sel:[0,1,0]
	v_mov_b32_e32 v54, v73
	v_pk_fma_f32 v[52:53], v[84:85], v[54:55], v[52:53] op_sel_hi:[1,0,1]
	v_mov_b32_e32 v54, v77
	v_pk_fma_f32 v[52:53], v[86:87], v[74:75], v[52:53] op_sel_hi:[1,0,1]
	s_addc_u32 s21, s21, 0
	v_pk_fma_f32 v[52:53], v[88:89], v[74:75], v[52:53] op_sel:[0,1,0]
	s_sub_i32 s10, s20, 32
	v_pk_fma_f32 v[52:53], v[90:91], v[76:77], v[52:53] op_sel_hi:[1,0,1]
	v_lshl_add_u64 v[50:51], v[50:51], 0, s[30:31]
	v_pk_fma_f32 v[62:63], v[92:93], v[54:55], v[52:53] op_sel_hi:[1,0,1]
	ds_read_b128 v[52:55], v56 offset:2096
	ds_read2_b32 v[70:71], v27 offset0:64 offset1:80
	ds_read2_b32 v[72:73], v27 offset0:96 offset1:112
	;; [unrolled: 1-line block ×6, first 2 shown]
	s_waitcnt lgkmcnt(5)
	v_pk_fma_f32 v[4:5], v[70:71], v[6:7], v[4:5] op_sel_hi:[1,0,1]
	v_mov_b32_e32 v6, v7
	s_waitcnt lgkmcnt(4)
	v_pk_fma_f32 v[4:5], v[72:73], v[6:7], v[4:5] op_sel_hi:[1,0,1]
	v_pk_fma_f32 v[62:63], v[94:95], v[8:9], v[62:63] op_sel_hi:[1,0,1]
	v_add_u32_e32 v27, 0x800, v58
	s_waitcnt lgkmcnt(3)
	v_pk_fma_f32 v[4:5], v[74:75], v[0:1], v[4:5] op_sel_hi:[1,0,1]
	v_pk_fma_f32 v[8:9], v[64:65], v[8:9], v[62:63] op_sel:[0,1,0]
	ds_read2_b32 v[82:83], v27 offset1:16
	ds_read2_b32 v[84:85], v27 offset0:32 offset1:48
	ds_read2_b32 v[86:87], v27 offset0:64 offset1:80
	;; [unrolled: 1-line block ×3, first 2 shown]
	ds_read_b128 v[62:65], v56 offset:64
	ds_read_b128 v[66:69], v56 offset:80
	ds_read2_b32 v[90:91], v27 offset0:128 offset1:144
	s_waitcnt lgkmcnt(9)
	v_pk_fma_f32 v[0:1], v[76:77], v[0:1], v[4:5] op_sel:[0,1,0]
	v_pk_fma_f32 v[8:9], v[70:71], v[10:11], v[8:9] op_sel_hi:[1,0,1]
	s_waitcnt lgkmcnt(8)
	v_pk_fma_f32 v[0:1], v[78:79], v[2:3], v[0:1] op_sel_hi:[1,0,1]
	v_mov_b32_e32 v2, v3
	s_waitcnt lgkmcnt(7)
	v_pk_fma_f32 v[0:1], v[80:81], v[2:3], v[0:1] op_sel_hi:[1,0,1]
	s_waitcnt lgkmcnt(2)
	v_mov_b32_e32 v2, v65
	v_pk_fma_f32 v[0:1], v[82:83], v[62:63], v[0:1] op_sel_hi:[1,0,1]
	v_mov_b32_e32 v10, v11
	v_pk_fma_f32 v[0:1], v[84:85], v[62:63], v[0:1] op_sel:[0,1,0]
	v_pk_fma_f32 v[8:9], v[72:73], v[10:11], v[8:9] op_sel_hi:[1,0,1]
	v_pk_fma_f32 v[0:1], v[86:87], v[64:65], v[0:1] op_sel_hi:[1,0,1]
	;; [unrolled: 1-line block ×4, first 2 shown]
	v_pk_fma_f32 v[8:9], v[76:77], v[52:53], v[8:9] op_sel:[0,1,0]
	s_waitcnt lgkmcnt(0)
	v_pk_fma_f32 v[92:93], v[90:91], v[66:67], v[0:1] op_sel_hi:[1,0,1]
	ds_read_b128 v[0:3], v56 offset:2112
	ds_read_b128 v[4:7], v56 offset:2128
	v_pk_fma_f32 v[8:9], v[78:79], v[54:55], v[8:9] op_sel_hi:[1,0,1]
	v_mov_b32_e32 v10, v55
	ds_read2_b32 v[74:75], v27 offset0:160 offset1:176
	ds_read2_b32 v[76:77], v27 offset0:192 offset1:208
	;; [unrolled: 1-line block ×3, first 2 shown]
	v_pk_fma_f32 v[8:9], v[80:81], v[10:11], v[8:9] op_sel_hi:[1,0,1]
	v_add_u32_e32 v27, 0xc00, v58
	s_waitcnt lgkmcnt(4)
	v_pk_fma_f32 v[8:9], v[82:83], v[0:1], v[8:9] op_sel_hi:[1,0,1]
	s_waitcnt lgkmcnt(2)
	v_pk_fma_f32 v[54:55], v[74:75], v[66:67], v[92:93] op_sel:[0,1,0]
	v_pk_fma_f32 v[0:1], v[84:85], v[0:1], v[8:9] op_sel:[0,1,0]
	s_waitcnt lgkmcnt(1)
	v_pk_fma_f32 v[54:55], v[76:77], v[68:69], v[54:55] op_sel_hi:[1,0,1]
	v_pk_fma_f32 v[0:1], v[86:87], v[2:3], v[0:1] op_sel_hi:[1,0,1]
	v_mov_b32_e32 v2, v3
	v_mov_b32_e32 v66, v69
	v_pk_fma_f32 v[0:1], v[88:89], v[2:3], v[0:1] op_sel_hi:[1,0,1]
	s_waitcnt lgkmcnt(0)
	v_pk_fma_f32 v[54:55], v[78:79], v[66:67], v[54:55] op_sel_hi:[1,0,1]
	v_pk_fma_f32 v[52:53], v[90:91], v[4:5], v[0:1] op_sel_hi:[1,0,1]
	ds_read2_b32 v[80:81], v27 offset1:16
	ds_read2_b32 v[82:83], v27 offset0:32 offset1:48
	ds_read2_b32 v[84:85], v27 offset0:64 offset1:80
	;; [unrolled: 1-line block ×3, first 2 shown]
	ds_read_b128 v[0:3], v56 offset:96
	ds_read_b128 v[8:11], v56 offset:112
	ds_read2_b32 v[88:89], v27 offset0:128 offset1:144
	ds_read_b128 v[62:65], v56 offset:2144
	ds_read_b128 v[70:73], v56 offset:2160
	ds_read2_b32 v[90:91], v27 offset0:160 offset1:176
	ds_read2_b32 v[94:95], v27 offset0:192 offset1:208
	;; [unrolled: 1-line block ×3, first 2 shown]
	s_waitcnt lgkmcnt(7)
	v_pk_fma_f32 v[54:55], v[80:81], v[0:1], v[54:55] op_sel_hi:[1,0,1]
	v_lshl_add_u64 v[48:49], v[48:49], 0, s[28:29]
	v_pk_fma_f32 v[0:1], v[82:83], v[0:1], v[54:55] op_sel:[0,1,0]
	s_cmp_ge_i32 s10, s42
	v_pk_fma_f32 v[0:1], v[84:85], v[2:3], v[0:1] op_sel_hi:[1,0,1]
	v_mov_b32_e32 v2, v3
	v_pk_fma_f32 v[0:1], v[86:87], v[2:3], v[0:1] op_sel_hi:[1,0,1]
	s_waitcnt lgkmcnt(6)
	v_mov_b32_e32 v2, v11
	s_waitcnt lgkmcnt(5)
	v_pk_fma_f32 v[0:1], v[88:89], v[8:9], v[0:1] op_sel_hi:[1,0,1]
	v_lshl_add_u64 v[46:47], v[46:47], 0, s[28:29]
	s_waitcnt lgkmcnt(2)
	v_pk_fma_f32 v[0:1], v[90:91], v[8:9], v[0:1] op_sel:[0,1,0]
	s_waitcnt lgkmcnt(0)
	v_pk_fma_f32 v[0:1], v[94:95], v[10:11], v[0:1] op_sel_hi:[1,0,1]
	s_barrier
	v_pk_fma_f32 v[54:55], v[96:97], v[2:3], v[0:1] op_sel_hi:[1,0,1]
	v_pk_fma_f32 v[0:1], v[74:75], v[4:5], v[52:53] op_sel:[0,1,0]
	v_mov_b32_e32 v2, v7
	v_pk_fma_f32 v[0:1], v[76:77], v[6:7], v[0:1] op_sel_hi:[1,0,1]
	s_nop 0
	v_pk_fma_f32 v[0:1], v[78:79], v[2:3], v[0:1] op_sel_hi:[1,0,1]
	v_mov_b32_e32 v2, v65
	v_pk_fma_f32 v[0:1], v[80:81], v[62:63], v[0:1] op_sel_hi:[1,0,1]
	s_nop 0
	v_pk_fma_f32 v[0:1], v[82:83], v[62:63], v[0:1] op_sel:[0,1,0]
	s_nop 0
	v_pk_fma_f32 v[0:1], v[84:85], v[64:65], v[0:1] op_sel_hi:[1,0,1]
	s_nop 0
	v_pk_fma_f32 v[0:1], v[86:87], v[2:3], v[0:1] op_sel_hi:[1,0,1]
	v_mov_b32_e32 v2, v73
	v_pk_fma_f32 v[0:1], v[88:89], v[70:71], v[0:1] op_sel_hi:[1,0,1]
	s_nop 0
	v_pk_fma_f32 v[0:1], v[90:91], v[70:71], v[0:1] op_sel:[0,1,0]
	s_nop 0
	v_pk_fma_f32 v[0:1], v[94:95], v[72:73], v[0:1] op_sel_hi:[1,0,1]
	s_nop 0
	v_pk_fma_f32 v[52:53], v[96:97], v[2:3], v[0:1] op_sel_hi:[1,0,1]
	s_cbranch_scc1 .LBB16_43
.LBB16_7:                               ;   Parent Loop BB16_4 Depth=1
                                        ; =>  This Inner Loop Header: Depth=2
	v_lshl_add_u64 v[2:3], v[14:15], 0, s[20:21]
	v_cmp_eq_u64_e64 s[10:11], s[20:21], v[36:37]
	s_and_b64 s[24:25], s[26:27], s[10:11]
	v_cmp_gt_i64_e64 s[10:11], v[2:3], v[34:35]
	s_or_b64 s[14:15], s[6:7], s[10:11]
	v_cmp_le_i64_e64 s[12:13], s[38:39], v[2:3]
	s_or_b64 s[14:15], s[14:15], s[24:25]
	v_lshl_add_u64 v[0:1], v[46:47], 0, v[38:39]
	s_nor_b64 s[14:15], s[12:13], s[14:15]
                                        ; implicit-def: $vgpr4
	s_and_saveexec_b64 s[18:19], s[14:15]
	s_xor_b64 s[14:15], exec, s[18:19]
	s_cbranch_execz .LBB16_9
; %bb.8:                                ;   in Loop: Header=BB16_7 Depth=2
	global_load_dword v4, v[0:1], off
.LBB16_9:                               ;   in Loop: Header=BB16_7 Depth=2
	s_andn2_saveexec_b64 s[14:15], s[14:15]
	s_cbranch_execz .LBB16_11
; %bb.10:                               ;   in Loop: Header=BB16_7 Depth=2
	s_waitcnt vmcnt(0)
	v_cndmask_b32_e64 v4, 0, 1.0, s[24:25]
.LBB16_11:                              ;   in Loop: Header=BB16_7 Depth=2
	s_or_b64 exec, exec, s[14:15]
	s_waitcnt vmcnt(0)
	ds_write_b32 v57, v4
	v_lshl_add_u64 v[4:5], v[2:3], 0, 16
	v_cmp_eq_u64_e64 s[14:15], s[20:21], v[44:45]
	v_cmp_gt_i64_e64 s[18:19], v[4:5], v[34:35]
	s_and_b64 s[36:37], s[26:27], s[14:15]
	s_or_b64 s[18:19], s[6:7], s[18:19]
	v_cmp_le_i64_e64 s[14:15], s[38:39], v[4:5]
	s_or_b64 s[18:19], s[18:19], s[36:37]
	s_nor_b64 s[18:19], s[14:15], s[18:19]
	v_lshl_add_u64 v[4:5], v[48:49], 0, v[38:39]
	s_and_saveexec_b64 s[44:45], s[18:19]
	s_xor_b64 s[18:19], exec, s[44:45]
	s_cbranch_execz .LBB16_13
; %bb.12:                               ;   in Loop: Header=BB16_7 Depth=2
	global_load_dword v6, v[4:5], off
	s_waitcnt vmcnt(0)
	ds_write_b32 v57, v6 offset:64
.LBB16_13:                              ;   in Loop: Header=BB16_7 Depth=2
	s_andn2_saveexec_b64 s[18:19], s[18:19]
	s_cbranch_execz .LBB16_19
; %bb.14:                               ;   in Loop: Header=BB16_7 Depth=2
	s_xor_b64 s[36:37], s[36:37], -1
	s_and_saveexec_b64 s[44:45], s[36:37]
	s_xor_b64 s[36:37], exec, s[44:45]
; %bb.15:                               ;   in Loop: Header=BB16_7 Depth=2
	ds_write_b32 v57, v15 offset:64
; %bb.16:                               ;   in Loop: Header=BB16_7 Depth=2
	s_andn2_saveexec_b64 s[36:37], s[36:37]
; %bb.17:                               ;   in Loop: Header=BB16_7 Depth=2
	ds_write_b32 v57, v60 offset:64
; %bb.18:                               ;   in Loop: Header=BB16_7 Depth=2
	s_or_b64 exec, exec, s[36:37]
.LBB16_19:                              ;   in Loop: Header=BB16_7 Depth=2
	s_or_b64 exec, exec, s[18:19]
	v_cmp_eq_u64_e64 s[18:19], s[20:21], v[42:43]
	s_and_b64 s[36:37], s[26:27], s[18:19]
	v_cmp_gt_i64_e64 s[18:19], v[2:3], v[40:41]
	s_or_b64 s[18:19], s[8:9], s[18:19]
	s_or_b64 s[18:19], s[18:19], s[36:37]
	s_nor_b64 s[12:13], s[12:13], s[18:19]
                                        ; implicit-def: $vgpr2
	s_and_saveexec_b64 s[18:19], s[12:13]
	s_xor_b64 s[12:13], exec, s[18:19]
	s_cbranch_execz .LBB16_21
; %bb.20:                               ;   in Loop: Header=BB16_7 Depth=2
	global_load_dword v2, v[0:1], off offset:64
.LBB16_21:                              ;   in Loop: Header=BB16_7 Depth=2
	s_andn2_saveexec_b64 s[12:13], s[12:13]
	s_cbranch_execz .LBB16_23
; %bb.22:                               ;   in Loop: Header=BB16_7 Depth=2
	s_waitcnt vmcnt(0)
	v_cndmask_b32_e64 v2, 0, 1.0, s[36:37]
.LBB16_23:                              ;   in Loop: Header=BB16_7 Depth=2
	s_or_b64 exec, exec, s[12:13]
	s_or_b64 s[10:11], s[8:9], s[10:11]
	s_or_b64 s[10:11], s[10:11], s[24:25]
	s_nor_b64 s[10:11], s[14:15], s[10:11]
	s_waitcnt vmcnt(0)
	ds_write_b32 v57, v2 offset:2048
	s_and_saveexec_b64 s[12:13], s[10:11]
	s_xor_b64 s[10:11], exec, s[12:13]
	s_cbranch_execz .LBB16_25
; %bb.24:                               ;   in Loop: Header=BB16_7 Depth=2
	global_load_dword v0, v[4:5], off offset:64
	s_waitcnt vmcnt(0)
	ds_write_b32 v57, v0 offset:2112
.LBB16_25:                              ;   in Loop: Header=BB16_7 Depth=2
	s_andn2_saveexec_b64 s[10:11], s[10:11]
	s_cbranch_execz .LBB16_31
; %bb.26:                               ;   in Loop: Header=BB16_7 Depth=2
	s_xor_b64 s[12:13], s[24:25], -1
	s_and_saveexec_b64 s[14:15], s[12:13]
	s_xor_b64 s[12:13], exec, s[14:15]
; %bb.27:                               ;   in Loop: Header=BB16_7 Depth=2
	ds_write_b32 v57, v15 offset:2112
; %bb.28:                               ;   in Loop: Header=BB16_7 Depth=2
	s_andn2_saveexec_b64 s[12:13], s[12:13]
; %bb.29:                               ;   in Loop: Header=BB16_7 Depth=2
	ds_write_b32 v57, v60 offset:2112
; %bb.30:                               ;   in Loop: Header=BB16_7 Depth=2
	s_or_b64 exec, exec, s[12:13]
.LBB16_31:                              ;   in Loop: Header=BB16_7 Depth=2
	s_or_b64 exec, exec, s[10:11]
	v_lshl_add_u64 v[0:1], v[12:13], 0, s[20:21]
	v_cmp_le_i64_e64 s[10:11], s[38:39], v[0:1]
	v_lshl_add_u64 v[2:3], v[50:51], 0, v[28:29]
	s_nor_b64 s[14:15], s[10:11], vcc
	v_mov_b32_e32 v4, 0
	s_and_saveexec_b64 s[12:13], s[14:15]
	s_cbranch_execz .LBB16_33
; %bb.32:                               ;   in Loop: Header=BB16_7 Depth=2
	global_load_dword v4, v[2:3], off offset:-64
.LBB16_33:                              ;   in Loop: Header=BB16_7 Depth=2
	s_or_b64 exec, exec, s[12:13]
	s_nor_b64 s[10:11], s[10:11], s[0:1]
	s_waitcnt vmcnt(0)
	ds_write_b32 v59, v4
	s_and_saveexec_b64 s[12:13], s[10:11]
	s_xor_b64 s[10:11], exec, s[12:13]
	s_cbranch_execz .LBB16_35
; %bb.34:                               ;   in Loop: Header=BB16_7 Depth=2
	global_load_dword v2, v[2:3], off
	s_waitcnt vmcnt(0)
	ds_write_b32 v59, v2 offset:64
.LBB16_35:                              ;   in Loop: Header=BB16_7 Depth=2
	s_andn2_saveexec_b64 s[10:11], s[10:11]
; %bb.36:                               ;   in Loop: Header=BB16_7 Depth=2
	ds_write_b32 v59, v15 offset:64
; %bb.37:                               ;   in Loop: Header=BB16_7 Depth=2
	s_or_b64 exec, exec, s[10:11]
	v_cmp_le_i64_e64 s[10:11], s[34:35], v[0:1]
	v_lshl_add_u64 v[0:1], v[50:51], 0, v[32:33]
	s_nor_b64 s[14:15], s[10:11], vcc
	v_mov_b32_e32 v2, 0
	s_and_saveexec_b64 s[12:13], s[14:15]
	s_cbranch_execz .LBB16_39
; %bb.38:                               ;   in Loop: Header=BB16_7 Depth=2
	global_load_dword v2, v[0:1], off
.LBB16_39:                              ;   in Loop: Header=BB16_7 Depth=2
	s_or_b64 exec, exec, s[12:13]
	s_nor_b64 s[10:11], s[10:11], s[0:1]
	s_waitcnt vmcnt(0)
	ds_write_b32 v59, v2 offset:2048
	s_and_saveexec_b64 s[12:13], s[10:11]
	s_xor_b64 s[10:11], exec, s[12:13]
	s_cbranch_execz .LBB16_41
; %bb.40:                               ;   in Loop: Header=BB16_7 Depth=2
	global_load_dword v0, v[0:1], off offset:64
	s_waitcnt vmcnt(0)
	ds_write_b32 v59, v0 offset:2112
.LBB16_41:                              ;   in Loop: Header=BB16_7 Depth=2
	s_andn2_saveexec_b64 s[10:11], s[10:11]
	s_cbranch_execz .LBB16_6
; %bb.42:                               ;   in Loop: Header=BB16_7 Depth=2
	ds_write_b32 v59, v15 offset:2112
	s_branch .LBB16_6
.LBB16_43:                              ;   in Loop: Header=BB16_4 Depth=1
	v_mul_lo_u32 v2, s41, v34
	v_mul_lo_u32 v3, s40, v35
	v_mad_u64_u32 v[0:1], s[8:9], s40, v34, 0
	v_cmp_gt_i32_e64 s[6:7], s38, v34
	v_add3_u32 v1, v1, v3, v2
	v_lshl_add_u64 v[0:1], v[0:1], 2, s[22:23]
	s_and_b64 s[10:11], s[16:17], s[6:7]
	s_and_saveexec_b64 s[8:9], s[10:11]
	s_cbranch_execz .LBB16_45
; %bb.44:                               ;   in Loop: Header=BB16_4 Depth=1
	v_lshl_add_u64 v[2:3], v[16:17], 2, v[0:1]
	global_load_dword v4, v[2:3], off
	s_waitcnt vmcnt(0)
	v_fmac_f32_e32 v4, s33, v54
	global_store_dword v[2:3], v4, off
.LBB16_45:                              ;   in Loop: Header=BB16_4 Depth=1
	s_or_b64 exec, exec, s[8:9]
	s_and_b64 s[8:9], s[4:5], s[6:7]
	s_and_saveexec_b64 s[6:7], s[8:9]
	s_cbranch_execz .LBB16_47
; %bb.46:                               ;   in Loop: Header=BB16_4 Depth=1
	v_lshl_add_u64 v[0:1], v[22:23], 2, v[0:1]
	global_load_dword v2, v[0:1], off
	s_waitcnt vmcnt(0)
	v_fmac_f32_e32 v2, s33, v55
	global_store_dword v[0:1], v2, off
.LBB16_47:                              ;   in Loop: Header=BB16_4 Depth=1
	s_or_b64 exec, exec, s[6:7]
	v_add_u32_e32 v0, 16, v34
	v_ashrrev_i32_e32 v1, 31, v0
	v_cmp_gt_i32_e64 s[6:7], s38, v0
	v_mul_lo_u32 v2, s40, v1
	v_mul_lo_u32 v3, s41, v0
	v_mad_u64_u32 v[0:1], s[8:9], s40, v0, 0
	v_add3_u32 v1, v1, v2, v3
	v_lshl_add_u64 v[0:1], v[0:1], 2, s[22:23]
	s_and_b64 s[10:11], s[16:17], s[6:7]
	s_and_saveexec_b64 s[8:9], s[10:11]
	s_cbranch_execz .LBB16_49
; %bb.48:                               ;   in Loop: Header=BB16_4 Depth=1
	v_lshl_add_u64 v[2:3], v[16:17], 2, v[0:1]
	global_load_dword v4, v[2:3], off
	s_waitcnt vmcnt(0)
	v_fmac_f32_e32 v4, s33, v52
	global_store_dword v[2:3], v4, off
.LBB16_49:                              ;   in Loop: Header=BB16_4 Depth=1
	s_or_b64 exec, exec, s[8:9]
	s_and_b64 s[8:9], s[4:5], s[6:7]
	s_and_saveexec_b64 s[6:7], s[8:9]
	s_cbranch_execz .LBB16_3
; %bb.50:                               ;   in Loop: Header=BB16_4 Depth=1
	v_lshl_add_u64 v[0:1], v[22:23], 2, v[0:1]
	global_load_dword v2, v[0:1], off
	s_waitcnt vmcnt(0)
	v_fmac_f32_e32 v2, s33, v53
	global_store_dword v[0:1], v2, off
	s_branch .LBB16_3
.LBB16_51:
	s_endpgm
	.section	.rodata,"a",@progbits
	.p2align	6, 0x0
	.amdhsa_kernel _ZL30rocblas_trmm_outofplace_kernelIfLi32ELi2ELb0ELb0ELb1ELb0EPKfS0_fEv17rocblas_diagonal_iiT6_lPT7_lllS5_lllPT8_llli
		.amdhsa_group_segment_fixed_size 8192
		.amdhsa_private_segment_fixed_size 0
		.amdhsa_kernarg_size 392
		.amdhsa_user_sgpr_count 2
		.amdhsa_user_sgpr_dispatch_ptr 0
		.amdhsa_user_sgpr_queue_ptr 0
		.amdhsa_user_sgpr_kernarg_segment_ptr 1
		.amdhsa_user_sgpr_dispatch_id 0
		.amdhsa_user_sgpr_kernarg_preload_length 0
		.amdhsa_user_sgpr_kernarg_preload_offset 0
		.amdhsa_user_sgpr_private_segment_size 0
		.amdhsa_uses_dynamic_stack 0
		.amdhsa_enable_private_segment 0
		.amdhsa_system_sgpr_workgroup_id_x 1
		.amdhsa_system_sgpr_workgroup_id_y 1
		.amdhsa_system_sgpr_workgroup_id_z 1
		.amdhsa_system_sgpr_workgroup_info 0
		.amdhsa_system_vgpr_workitem_id 1
		.amdhsa_next_free_vgpr 98
		.amdhsa_next_free_sgpr 48
		.amdhsa_accum_offset 100
		.amdhsa_reserve_vcc 1
		.amdhsa_float_round_mode_32 0
		.amdhsa_float_round_mode_16_64 0
		.amdhsa_float_denorm_mode_32 3
		.amdhsa_float_denorm_mode_16_64 3
		.amdhsa_dx10_clamp 1
		.amdhsa_ieee_mode 1
		.amdhsa_fp16_overflow 0
		.amdhsa_tg_split 0
		.amdhsa_exception_fp_ieee_invalid_op 0
		.amdhsa_exception_fp_denorm_src 0
		.amdhsa_exception_fp_ieee_div_zero 0
		.amdhsa_exception_fp_ieee_overflow 0
		.amdhsa_exception_fp_ieee_underflow 0
		.amdhsa_exception_fp_ieee_inexact 0
		.amdhsa_exception_int_div_zero 0
	.end_amdhsa_kernel
	.section	.text._ZL30rocblas_trmm_outofplace_kernelIfLi32ELi2ELb0ELb0ELb1ELb0EPKfS0_fEv17rocblas_diagonal_iiT6_lPT7_lllS5_lllPT8_llli,"axG",@progbits,_ZL30rocblas_trmm_outofplace_kernelIfLi32ELi2ELb0ELb0ELb1ELb0EPKfS0_fEv17rocblas_diagonal_iiT6_lPT7_lllS5_lllPT8_llli,comdat
.Lfunc_end16:
	.size	_ZL30rocblas_trmm_outofplace_kernelIfLi32ELi2ELb0ELb0ELb1ELb0EPKfS0_fEv17rocblas_diagonal_iiT6_lPT7_lllS5_lllPT8_llli, .Lfunc_end16-_ZL30rocblas_trmm_outofplace_kernelIfLi32ELi2ELb0ELb0ELb1ELb0EPKfS0_fEv17rocblas_diagonal_iiT6_lPT7_lllS5_lllPT8_llli
                                        ; -- End function
	.set _ZL30rocblas_trmm_outofplace_kernelIfLi32ELi2ELb0ELb0ELb1ELb0EPKfS0_fEv17rocblas_diagonal_iiT6_lPT7_lllS5_lllPT8_llli.num_vgpr, 98
	.set _ZL30rocblas_trmm_outofplace_kernelIfLi32ELi2ELb0ELb0ELb1ELb0EPKfS0_fEv17rocblas_diagonal_iiT6_lPT7_lllS5_lllPT8_llli.num_agpr, 0
	.set _ZL30rocblas_trmm_outofplace_kernelIfLi32ELi2ELb0ELb0ELb1ELb0EPKfS0_fEv17rocblas_diagonal_iiT6_lPT7_lllS5_lllPT8_llli.numbered_sgpr, 48
	.set _ZL30rocblas_trmm_outofplace_kernelIfLi32ELi2ELb0ELb0ELb1ELb0EPKfS0_fEv17rocblas_diagonal_iiT6_lPT7_lllS5_lllPT8_llli.num_named_barrier, 0
	.set _ZL30rocblas_trmm_outofplace_kernelIfLi32ELi2ELb0ELb0ELb1ELb0EPKfS0_fEv17rocblas_diagonal_iiT6_lPT7_lllS5_lllPT8_llli.private_seg_size, 0
	.set _ZL30rocblas_trmm_outofplace_kernelIfLi32ELi2ELb0ELb0ELb1ELb0EPKfS0_fEv17rocblas_diagonal_iiT6_lPT7_lllS5_lllPT8_llli.uses_vcc, 1
	.set _ZL30rocblas_trmm_outofplace_kernelIfLi32ELi2ELb0ELb0ELb1ELb0EPKfS0_fEv17rocblas_diagonal_iiT6_lPT7_lllS5_lllPT8_llli.uses_flat_scratch, 0
	.set _ZL30rocblas_trmm_outofplace_kernelIfLi32ELi2ELb0ELb0ELb1ELb0EPKfS0_fEv17rocblas_diagonal_iiT6_lPT7_lllS5_lllPT8_llli.has_dyn_sized_stack, 0
	.set _ZL30rocblas_trmm_outofplace_kernelIfLi32ELi2ELb0ELb0ELb1ELb0EPKfS0_fEv17rocblas_diagonal_iiT6_lPT7_lllS5_lllPT8_llli.has_recursion, 0
	.set _ZL30rocblas_trmm_outofplace_kernelIfLi32ELi2ELb0ELb0ELb1ELb0EPKfS0_fEv17rocblas_diagonal_iiT6_lPT7_lllS5_lllPT8_llli.has_indirect_call, 0
	.section	.AMDGPU.csdata,"",@progbits
; Kernel info:
; codeLenInByte = 2880
; TotalNumSgprs: 54
; NumVgprs: 98
; NumAgprs: 0
; TotalNumVgprs: 98
; ScratchSize: 0
; MemoryBound: 0
; FloatMode: 240
; IeeeMode: 1
; LDSByteSize: 8192 bytes/workgroup (compile time only)
; SGPRBlocks: 6
; VGPRBlocks: 12
; NumSGPRsForWavesPerEU: 54
; NumVGPRsForWavesPerEU: 98
; AccumOffset: 100
; Occupancy: 4
; WaveLimiterHint : 0
; COMPUTE_PGM_RSRC2:SCRATCH_EN: 0
; COMPUTE_PGM_RSRC2:USER_SGPR: 2
; COMPUTE_PGM_RSRC2:TRAP_HANDLER: 0
; COMPUTE_PGM_RSRC2:TGID_X_EN: 1
; COMPUTE_PGM_RSRC2:TGID_Y_EN: 1
; COMPUTE_PGM_RSRC2:TGID_Z_EN: 1
; COMPUTE_PGM_RSRC2:TIDIG_COMP_CNT: 1
; COMPUTE_PGM_RSRC3_GFX90A:ACCUM_OFFSET: 24
; COMPUTE_PGM_RSRC3_GFX90A:TG_SPLIT: 0
	.section	.text._ZL30rocblas_trmm_outofplace_kernelIfLi32ELi2ELb0ELb0ELb1ELb0EfKffEv17rocblas_diagonal_iiT6_lPT7_lllS4_lllPT8_llli,"axG",@progbits,_ZL30rocblas_trmm_outofplace_kernelIfLi32ELi2ELb0ELb0ELb1ELb0EfKffEv17rocblas_diagonal_iiT6_lPT7_lllS4_lllPT8_llli,comdat
	.globl	_ZL30rocblas_trmm_outofplace_kernelIfLi32ELi2ELb0ELb0ELb1ELb0EfKffEv17rocblas_diagonal_iiT6_lPT7_lllS4_lllPT8_llli ; -- Begin function _ZL30rocblas_trmm_outofplace_kernelIfLi32ELi2ELb0ELb0ELb1ELb0EfKffEv17rocblas_diagonal_iiT6_lPT7_lllS4_lllPT8_llli
	.p2align	8
	.type	_ZL30rocblas_trmm_outofplace_kernelIfLi32ELi2ELb0ELb0ELb1ELb0EfKffEv17rocblas_diagonal_iiT6_lPT7_lllS4_lllPT8_llli,@function
_ZL30rocblas_trmm_outofplace_kernelIfLi32ELi2ELb0ELb0ELb1ELb0EfKffEv17rocblas_diagonal_iiT6_lPT7_lllS4_lllPT8_llli: ; @_ZL30rocblas_trmm_outofplace_kernelIfLi32ELi2ELb0ELb0ELb1ELb0EfKffEv17rocblas_diagonal_iiT6_lPT7_lllS4_lllPT8_llli
; %bb.0:
	s_load_dwordx4 s[36:39], s[0:1], 0x0
	s_waitcnt lgkmcnt(0)
	v_cmp_eq_f32_e64 s[6:7], s39, 0
	s_and_b64 vcc, exec, s[6:7]
	s_cbranch_vccnz .LBB17_51
; %bb.1:
	s_add_i32 s5, s38, -1
	s_ashr_i32 s6, s5, 31
	s_lshr_b32 s6, s6, 27
	s_add_i32 s5, s5, s6
	s_ashr_i32 s33, s5, 5
	s_cmp_gt_i32 s3, s33
	s_cbranch_scc1 .LBB17_51
; %bb.2:
	s_load_dwordx16 s[8:23], s[0:1], 0x18
	s_load_dwordx8 s[24:31], s[0:1], 0x58
	v_and_b32_e32 v14, 0x3ff, v0
	v_bfe_u32 v12, v0, 10, 10
	v_lshl_add_u32 v16, s2, 5, v14
	s_waitcnt lgkmcnt(0)
	s_mul_i32 s5, s15, s4
	s_mul_hi_u32 s7, s14, s4
	s_mul_i32 s6, s14, s4
	s_add_i32 s7, s7, s5
	s_lshl_b64 s[14:15], s[6:7], 2
	s_add_u32 s5, s8, s14
	s_addc_u32 s7, s9, s15
	s_lshl_b64 s[10:11], s[10:11], 2
	s_add_u32 s6, s5, s10
	s_mul_i32 s5, s23, s4
	s_mul_hi_u32 s23, s22, s4
	s_addc_u32 s7, s7, s11
	s_add_i32 s23, s23, s5
	s_mul_i32 s22, s22, s4
	s_lshl_b64 s[22:23], s[22:23], 2
	s_add_u32 s5, s16, s22
	s_addc_u32 s22, s17, s23
	s_lshl_b64 s[16:17], s[18:19], 2
	s_add_u32 s16, s5, s16
	s_mul_i32 s5, s31, s4
	s_mul_hi_u32 s18, s30, s4
	s_addc_u32 s17, s22, s17
	s_add_i32 s5, s18, s5
	s_mul_i32 s4, s30, s4
	s_lshl_b64 s[4:5], s[4:5], 2
	s_add_u32 s18, s24, s4
	s_addc_u32 s19, s25, s5
	s_lshl_b64 s[4:5], s[26:27], 2
	s_add_u32 s22, s18, s4
	s_addc_u32 s23, s19, s5
	v_mad_u64_u32 v[0:1], s[4:5], s12, v14, 0
	v_mov_b32_e32 v2, v1
	v_mad_u64_u32 v[2:3], s[4:5], s13, v14, v[2:3]
	s_cmpk_eq_i32 s36, 0x84
	v_mov_b32_e32 v1, v2
	s_cselect_b64 s[24:25], -1, 0
	s_ashr_i32 s2, s37, 31
	v_lshl_add_u64 v[18:19], v[0:1], 2, s[6:7]
	v_mov_b32_e32 v1, s2
	s_load_dword s2, s[0:1], 0x84
	v_ashrrev_i32_e32 v17, 31, v16
	v_sub_co_u32_e32 v0, vcc, s37, v16
	v_sub_co_u32_e64 v24, s[6:7], 0, v14
	s_nop 0
	v_subb_co_u32_e32 v1, vcc, v1, v17, vcc
	s_ashr_i32 s27, s38, 31
	s_lshl_b64 s[30:31], s[12:13], 7
	s_lshl_b64 s[34:35], s[20:21], 7
	v_cmp_gt_i64_e32 vcc, 1, v[0:1]
	v_cmp_gt_i64_e64 s[0:1], 17, v[0:1]
	v_subb_co_u32_e64 v25, s[6:7], 0, 0, s[6:7]
	v_mad_u64_u32 v[0:1], s[6:7], s20, v12, 0
	s_add_u32 s40, s38, -16
	v_mov_b32_e32 v2, v1
	s_addc_u32 s41, s27, -1
	s_waitcnt lgkmcnt(0)
	s_lshl_b32 s44, s2, 5
	v_mad_u64_u32 v[2:3], s[6:7], s21, v12, v[2:3]
	s_add_u32 s6, s8, s10
	s_addc_u32 s7, s9, s11
	s_add_u32 s6, s6, s14
	v_lshlrev_b32_e32 v4, 2, v14
	v_mov_b32_e32 v1, v2
	s_addc_u32 s7, s7, s15
	v_lshl_add_u64 v[28:29], v[0:1], 2, 64
	v_add_u32_e32 v2, 64, v4
	v_mov_b64_e32 v[0:1], s[6:7]
	v_mad_u64_u32 v[30:31], s[6:7], s12, v2, v[0:1]
	v_mov_b32_e32 v0, v31
	v_mad_u64_u32 v[0:1], s[6:7], s13, v2, v[0:1]
	v_lshl_add_u32 v1, v12, 2, 64
	v_mad_u64_u32 v[32:33], s[6:7], s20, v1, 0
	v_mov_b32_e32 v31, v0
	v_mov_b32_e32 v0, v33
	;; [unrolled: 1-line block ×3, first 2 shown]
	v_lshlrev_b32_e32 v56, 7, v12
	v_or_b32_e32 v58, 0x1000, v4
	v_add_u32_e32 v22, 16, v16
	v_mad_u64_u32 v[0:1], s[6:7], s21, v1, v[0:1]
	v_mov_b32_e32 v13, v15
	v_lshl_add_u64 v[20:21], v[16:17], 2, s[16:17]
	s_mov_b32 s26, s38
	v_add_u32_e32 v57, v56, v4
	v_add_u32_e32 v59, v58, v56
	v_cmp_gt_i32_e64 s[16:17], s37, v16
	v_cmp_gt_i32_e64 s[4:5], s37, v22
	v_ashrrev_i32_e32 v23, 31, v22
	v_lshl_add_u32 v26, s3, 5, v12
	v_mov_b32_e32 v33, v0
	v_mov_b32_e32 v60, 1.0
	s_branch .LBB17_4
.LBB17_3:                               ;   in Loop: Header=BB17_4 Depth=1
	s_or_b64 exec, exec, s[6:7]
	s_add_i32 s3, s2, s3
	s_cmp_le_i32 s3, s33
	v_add_u32_e32 v26, s44, v26
	s_cbranch_scc0 .LBB17_51
.LBB17_4:                               ; =>This Loop Header: Depth=1
                                        ;     Child Loop BB17_7 Depth 2
	s_lshl_b32 s45, s3, 5
	v_add_u32_e32 v34, s45, v12
	v_ashrrev_i32_e32 v35, 31, v34
	s_cmp_lt_i32 s3, 0
	v_mov_b32_e32 v55, 0
	v_mov_b32_e32 v54, 0
	;; [unrolled: 1-line block ×4, first 2 shown]
	s_cbranch_scc1 .LBB17_43
; %bb.5:                                ;   in Loop: Header=BB17_4 Depth=1
	v_ashrrev_i32_e32 v27, 31, v26
	v_lshl_add_u64 v[36:37], v[24:25], 0, v[26:27]
	v_lshl_add_u64 v[40:41], v[34:35], 0, 16
	v_mov_b32_e32 v52, 0
	v_lshlrev_b64 v[38:39], 2, v[26:27]
	v_cmp_le_i32_e64 s[6:7], s38, v34
	v_cmp_le_i64_e64 s[8:9], s[26:27], v[40:41]
	v_lshl_add_u64 v[42:43], v[36:37], 0, 16
	v_lshl_add_u64 v[44:45], v[36:37], 0, -16
	s_mov_b64 s[20:21], 0
	v_mov_b64_e32 v[46:47], v[18:19]
	v_mov_b64_e32 v[48:49], v[30:31]
	;; [unrolled: 1-line block ×3, first 2 shown]
	v_mov_b32_e32 v53, v52
	v_mov_b32_e32 v54, v52
	;; [unrolled: 1-line block ×3, first 2 shown]
	s_branch .LBB17_7
.LBB17_6:                               ;   in Loop: Header=BB17_7 Depth=2
	s_or_b64 exec, exec, s[10:11]
	s_waitcnt lgkmcnt(0)
	s_barrier
	ds_read_b128 v[62:65], v56
	ds_read_b128 v[66:69], v56 offset:16
	ds_read_b128 v[4:7], v56 offset:32
	;; [unrolled: 1-line block ×3, first 2 shown]
	ds_read2_b32 v[78:79], v58 offset1:16
	ds_read2_b32 v[80:81], v58 offset0:32 offset1:48
	ds_read2_b32 v[82:83], v58 offset0:64 offset1:80
	;; [unrolled: 1-line block ×4, first 2 shown]
	ds_read_b128 v[70:73], v56 offset:2048
	ds_read_b128 v[74:77], v56 offset:2064
	ds_read2_b32 v[88:89], v58 offset0:160 offset1:176
	ds_read2_b32 v[90:91], v58 offset0:192 offset1:208
	;; [unrolled: 1-line block ×3, first 2 shown]
	s_waitcnt lgkmcnt(9)
	v_pk_fma_f32 v[54:55], v[78:79], v[62:63], v[54:55] op_sel_hi:[1,0,1]
	v_add_u32_e32 v27, 0x400, v58
	s_waitcnt lgkmcnt(8)
	v_pk_fma_f32 v[54:55], v[80:81], v[62:63], v[54:55] op_sel:[0,1,0]
	v_mov_b32_e32 v62, v65
	s_waitcnt lgkmcnt(7)
	v_pk_fma_f32 v[54:55], v[82:83], v[64:65], v[54:55] op_sel_hi:[1,0,1]
	ds_read2_b32 v[94:95], v27 offset1:16
	ds_read_b128 v[8:11], v56 offset:2080
	s_waitcnt lgkmcnt(8)
	v_pk_fma_f32 v[54:55], v[84:85], v[62:63], v[54:55] op_sel_hi:[1,0,1]
	ds_read2_b32 v[64:65], v27 offset0:32 offset1:48
	s_waitcnt lgkmcnt(8)
	v_pk_fma_f32 v[54:55], v[86:87], v[66:67], v[54:55] op_sel_hi:[1,0,1]
	v_mov_b32_e32 v62, v69
	s_waitcnt lgkmcnt(5)
	v_pk_fma_f32 v[54:55], v[88:89], v[66:67], v[54:55] op_sel:[0,1,0]
	v_pk_fma_f32 v[52:53], v[78:79], v[70:71], v[52:53] op_sel_hi:[1,0,1]
	s_waitcnt lgkmcnt(4)
	v_pk_fma_f32 v[54:55], v[90:91], v[68:69], v[54:55] op_sel_hi:[1,0,1]
	v_pk_fma_f32 v[52:53], v[80:81], v[70:71], v[52:53] op_sel:[0,1,0]
	s_waitcnt lgkmcnt(3)
	v_pk_fma_f32 v[54:55], v[92:93], v[62:63], v[54:55] op_sel_hi:[1,0,1]
	v_pk_fma_f32 v[52:53], v[82:83], v[72:73], v[52:53] op_sel_hi:[1,0,1]
	s_waitcnt lgkmcnt(2)
	v_pk_fma_f32 v[54:55], v[94:95], v[4:5], v[54:55] op_sel_hi:[1,0,1]
	s_add_u32 s20, s20, 32
	s_waitcnt lgkmcnt(0)
	v_pk_fma_f32 v[4:5], v[64:65], v[4:5], v[54:55] op_sel:[0,1,0]
	v_mov_b32_e32 v54, v73
	v_pk_fma_f32 v[52:53], v[84:85], v[54:55], v[52:53] op_sel_hi:[1,0,1]
	v_mov_b32_e32 v54, v77
	v_pk_fma_f32 v[52:53], v[86:87], v[74:75], v[52:53] op_sel_hi:[1,0,1]
	s_addc_u32 s21, s21, 0
	v_pk_fma_f32 v[52:53], v[88:89], v[74:75], v[52:53] op_sel:[0,1,0]
	s_sub_i32 s10, s20, 32
	v_pk_fma_f32 v[52:53], v[90:91], v[76:77], v[52:53] op_sel_hi:[1,0,1]
	v_lshl_add_u64 v[50:51], v[50:51], 0, s[34:35]
	v_pk_fma_f32 v[62:63], v[92:93], v[54:55], v[52:53] op_sel_hi:[1,0,1]
	ds_read_b128 v[52:55], v56 offset:2096
	ds_read2_b32 v[70:71], v27 offset0:64 offset1:80
	ds_read2_b32 v[72:73], v27 offset0:96 offset1:112
	;; [unrolled: 1-line block ×6, first 2 shown]
	s_waitcnt lgkmcnt(5)
	v_pk_fma_f32 v[4:5], v[70:71], v[6:7], v[4:5] op_sel_hi:[1,0,1]
	v_mov_b32_e32 v6, v7
	s_waitcnt lgkmcnt(4)
	v_pk_fma_f32 v[4:5], v[72:73], v[6:7], v[4:5] op_sel_hi:[1,0,1]
	v_pk_fma_f32 v[62:63], v[94:95], v[8:9], v[62:63] op_sel_hi:[1,0,1]
	v_add_u32_e32 v27, 0x800, v58
	s_waitcnt lgkmcnt(3)
	v_pk_fma_f32 v[4:5], v[74:75], v[0:1], v[4:5] op_sel_hi:[1,0,1]
	v_pk_fma_f32 v[8:9], v[64:65], v[8:9], v[62:63] op_sel:[0,1,0]
	ds_read2_b32 v[82:83], v27 offset1:16
	ds_read2_b32 v[84:85], v27 offset0:32 offset1:48
	ds_read2_b32 v[86:87], v27 offset0:64 offset1:80
	;; [unrolled: 1-line block ×3, first 2 shown]
	ds_read_b128 v[62:65], v56 offset:64
	ds_read_b128 v[66:69], v56 offset:80
	ds_read2_b32 v[90:91], v27 offset0:128 offset1:144
	s_waitcnt lgkmcnt(9)
	v_pk_fma_f32 v[0:1], v[76:77], v[0:1], v[4:5] op_sel:[0,1,0]
	v_pk_fma_f32 v[8:9], v[70:71], v[10:11], v[8:9] op_sel_hi:[1,0,1]
	s_waitcnt lgkmcnt(8)
	v_pk_fma_f32 v[0:1], v[78:79], v[2:3], v[0:1] op_sel_hi:[1,0,1]
	v_mov_b32_e32 v2, v3
	s_waitcnt lgkmcnt(7)
	v_pk_fma_f32 v[0:1], v[80:81], v[2:3], v[0:1] op_sel_hi:[1,0,1]
	s_waitcnt lgkmcnt(2)
	v_mov_b32_e32 v2, v65
	v_pk_fma_f32 v[0:1], v[82:83], v[62:63], v[0:1] op_sel_hi:[1,0,1]
	v_mov_b32_e32 v10, v11
	v_pk_fma_f32 v[0:1], v[84:85], v[62:63], v[0:1] op_sel:[0,1,0]
	v_pk_fma_f32 v[8:9], v[72:73], v[10:11], v[8:9] op_sel_hi:[1,0,1]
	v_pk_fma_f32 v[0:1], v[86:87], v[64:65], v[0:1] op_sel_hi:[1,0,1]
	;; [unrolled: 1-line block ×4, first 2 shown]
	v_pk_fma_f32 v[8:9], v[76:77], v[52:53], v[8:9] op_sel:[0,1,0]
	s_waitcnt lgkmcnt(0)
	v_pk_fma_f32 v[92:93], v[90:91], v[66:67], v[0:1] op_sel_hi:[1,0,1]
	ds_read_b128 v[0:3], v56 offset:2112
	ds_read_b128 v[4:7], v56 offset:2128
	v_pk_fma_f32 v[8:9], v[78:79], v[54:55], v[8:9] op_sel_hi:[1,0,1]
	v_mov_b32_e32 v10, v55
	ds_read2_b32 v[74:75], v27 offset0:160 offset1:176
	ds_read2_b32 v[76:77], v27 offset0:192 offset1:208
	;; [unrolled: 1-line block ×3, first 2 shown]
	v_pk_fma_f32 v[8:9], v[80:81], v[10:11], v[8:9] op_sel_hi:[1,0,1]
	v_add_u32_e32 v27, 0xc00, v58
	s_waitcnt lgkmcnt(4)
	v_pk_fma_f32 v[8:9], v[82:83], v[0:1], v[8:9] op_sel_hi:[1,0,1]
	s_waitcnt lgkmcnt(2)
	v_pk_fma_f32 v[54:55], v[74:75], v[66:67], v[92:93] op_sel:[0,1,0]
	v_pk_fma_f32 v[0:1], v[84:85], v[0:1], v[8:9] op_sel:[0,1,0]
	s_waitcnt lgkmcnt(1)
	v_pk_fma_f32 v[54:55], v[76:77], v[68:69], v[54:55] op_sel_hi:[1,0,1]
	v_pk_fma_f32 v[0:1], v[86:87], v[2:3], v[0:1] op_sel_hi:[1,0,1]
	v_mov_b32_e32 v2, v3
	v_mov_b32_e32 v66, v69
	v_pk_fma_f32 v[0:1], v[88:89], v[2:3], v[0:1] op_sel_hi:[1,0,1]
	s_waitcnt lgkmcnt(0)
	v_pk_fma_f32 v[54:55], v[78:79], v[66:67], v[54:55] op_sel_hi:[1,0,1]
	v_pk_fma_f32 v[52:53], v[90:91], v[4:5], v[0:1] op_sel_hi:[1,0,1]
	ds_read2_b32 v[80:81], v27 offset1:16
	ds_read2_b32 v[82:83], v27 offset0:32 offset1:48
	ds_read2_b32 v[84:85], v27 offset0:64 offset1:80
	;; [unrolled: 1-line block ×3, first 2 shown]
	ds_read_b128 v[0:3], v56 offset:96
	ds_read_b128 v[8:11], v56 offset:112
	ds_read2_b32 v[88:89], v27 offset0:128 offset1:144
	ds_read_b128 v[62:65], v56 offset:2144
	ds_read_b128 v[70:73], v56 offset:2160
	ds_read2_b32 v[90:91], v27 offset0:160 offset1:176
	ds_read2_b32 v[94:95], v27 offset0:192 offset1:208
	;; [unrolled: 1-line block ×3, first 2 shown]
	s_waitcnt lgkmcnt(7)
	v_pk_fma_f32 v[54:55], v[80:81], v[0:1], v[54:55] op_sel_hi:[1,0,1]
	v_lshl_add_u64 v[48:49], v[48:49], 0, s[30:31]
	v_pk_fma_f32 v[0:1], v[82:83], v[0:1], v[54:55] op_sel:[0,1,0]
	s_cmp_ge_i32 s10, s45
	v_pk_fma_f32 v[0:1], v[84:85], v[2:3], v[0:1] op_sel_hi:[1,0,1]
	v_mov_b32_e32 v2, v3
	v_pk_fma_f32 v[0:1], v[86:87], v[2:3], v[0:1] op_sel_hi:[1,0,1]
	s_waitcnt lgkmcnt(6)
	v_mov_b32_e32 v2, v11
	s_waitcnt lgkmcnt(5)
	v_pk_fma_f32 v[0:1], v[88:89], v[8:9], v[0:1] op_sel_hi:[1,0,1]
	v_lshl_add_u64 v[46:47], v[46:47], 0, s[30:31]
	s_waitcnt lgkmcnt(2)
	v_pk_fma_f32 v[0:1], v[90:91], v[8:9], v[0:1] op_sel:[0,1,0]
	s_waitcnt lgkmcnt(0)
	v_pk_fma_f32 v[0:1], v[94:95], v[10:11], v[0:1] op_sel_hi:[1,0,1]
	s_barrier
	v_pk_fma_f32 v[54:55], v[96:97], v[2:3], v[0:1] op_sel_hi:[1,0,1]
	v_pk_fma_f32 v[0:1], v[74:75], v[4:5], v[52:53] op_sel:[0,1,0]
	v_mov_b32_e32 v2, v7
	v_pk_fma_f32 v[0:1], v[76:77], v[6:7], v[0:1] op_sel_hi:[1,0,1]
	s_nop 0
	v_pk_fma_f32 v[0:1], v[78:79], v[2:3], v[0:1] op_sel_hi:[1,0,1]
	v_mov_b32_e32 v2, v65
	v_pk_fma_f32 v[0:1], v[80:81], v[62:63], v[0:1] op_sel_hi:[1,0,1]
	s_nop 0
	v_pk_fma_f32 v[0:1], v[82:83], v[62:63], v[0:1] op_sel:[0,1,0]
	s_nop 0
	v_pk_fma_f32 v[0:1], v[84:85], v[64:65], v[0:1] op_sel_hi:[1,0,1]
	s_nop 0
	v_pk_fma_f32 v[0:1], v[86:87], v[2:3], v[0:1] op_sel_hi:[1,0,1]
	v_mov_b32_e32 v2, v73
	v_pk_fma_f32 v[0:1], v[88:89], v[70:71], v[0:1] op_sel_hi:[1,0,1]
	s_nop 0
	v_pk_fma_f32 v[0:1], v[90:91], v[70:71], v[0:1] op_sel:[0,1,0]
	s_nop 0
	v_pk_fma_f32 v[0:1], v[94:95], v[72:73], v[0:1] op_sel_hi:[1,0,1]
	s_nop 0
	v_pk_fma_f32 v[52:53], v[96:97], v[2:3], v[0:1] op_sel_hi:[1,0,1]
	s_cbranch_scc1 .LBB17_43
.LBB17_7:                               ;   Parent Loop BB17_4 Depth=1
                                        ; =>  This Inner Loop Header: Depth=2
	v_lshl_add_u64 v[2:3], v[14:15], 0, s[20:21]
	v_cmp_eq_u64_e64 s[10:11], s[20:21], v[36:37]
	s_and_b64 s[36:37], s[24:25], s[10:11]
	v_cmp_gt_i64_e64 s[10:11], v[2:3], v[34:35]
	s_or_b64 s[14:15], s[6:7], s[10:11]
	v_cmp_le_i64_e64 s[12:13], s[26:27], v[2:3]
	s_or_b64 s[14:15], s[14:15], s[36:37]
	v_lshl_add_u64 v[0:1], v[46:47], 0, v[38:39]
	s_nor_b64 s[14:15], s[12:13], s[14:15]
                                        ; implicit-def: $vgpr4
	s_and_saveexec_b64 s[18:19], s[14:15]
	s_xor_b64 s[14:15], exec, s[18:19]
	s_cbranch_execz .LBB17_9
; %bb.8:                                ;   in Loop: Header=BB17_7 Depth=2
	global_load_dword v4, v[0:1], off
.LBB17_9:                               ;   in Loop: Header=BB17_7 Depth=2
	s_andn2_saveexec_b64 s[14:15], s[14:15]
	s_cbranch_execz .LBB17_11
; %bb.10:                               ;   in Loop: Header=BB17_7 Depth=2
	s_waitcnt vmcnt(0)
	v_cndmask_b32_e64 v4, 0, 1.0, s[36:37]
.LBB17_11:                              ;   in Loop: Header=BB17_7 Depth=2
	s_or_b64 exec, exec, s[14:15]
	s_waitcnt vmcnt(0)
	ds_write_b32 v57, v4
	v_lshl_add_u64 v[4:5], v[2:3], 0, 16
	v_cmp_eq_u64_e64 s[14:15], s[20:21], v[44:45]
	v_cmp_gt_i64_e64 s[18:19], v[4:5], v[34:35]
	s_and_b64 s[42:43], s[24:25], s[14:15]
	s_or_b64 s[18:19], s[6:7], s[18:19]
	v_cmp_le_i64_e64 s[14:15], s[26:27], v[4:5]
	s_or_b64 s[18:19], s[18:19], s[42:43]
	s_nor_b64 s[18:19], s[14:15], s[18:19]
	v_lshl_add_u64 v[4:5], v[48:49], 0, v[38:39]
	s_and_saveexec_b64 s[46:47], s[18:19]
	s_xor_b64 s[18:19], exec, s[46:47]
	s_cbranch_execz .LBB17_13
; %bb.12:                               ;   in Loop: Header=BB17_7 Depth=2
	global_load_dword v6, v[4:5], off
	s_waitcnt vmcnt(0)
	ds_write_b32 v57, v6 offset:64
.LBB17_13:                              ;   in Loop: Header=BB17_7 Depth=2
	s_andn2_saveexec_b64 s[18:19], s[18:19]
	s_cbranch_execz .LBB17_19
; %bb.14:                               ;   in Loop: Header=BB17_7 Depth=2
	s_xor_b64 s[42:43], s[42:43], -1
	s_and_saveexec_b64 s[46:47], s[42:43]
	s_xor_b64 s[42:43], exec, s[46:47]
; %bb.15:                               ;   in Loop: Header=BB17_7 Depth=2
	ds_write_b32 v57, v15 offset:64
; %bb.16:                               ;   in Loop: Header=BB17_7 Depth=2
	s_andn2_saveexec_b64 s[42:43], s[42:43]
; %bb.17:                               ;   in Loop: Header=BB17_7 Depth=2
	ds_write_b32 v57, v60 offset:64
; %bb.18:                               ;   in Loop: Header=BB17_7 Depth=2
	s_or_b64 exec, exec, s[42:43]
.LBB17_19:                              ;   in Loop: Header=BB17_7 Depth=2
	s_or_b64 exec, exec, s[18:19]
	v_cmp_eq_u64_e64 s[18:19], s[20:21], v[42:43]
	s_and_b64 s[42:43], s[24:25], s[18:19]
	v_cmp_gt_i64_e64 s[18:19], v[2:3], v[40:41]
	s_or_b64 s[18:19], s[8:9], s[18:19]
	s_or_b64 s[18:19], s[18:19], s[42:43]
	s_nor_b64 s[12:13], s[12:13], s[18:19]
                                        ; implicit-def: $vgpr2
	s_and_saveexec_b64 s[18:19], s[12:13]
	s_xor_b64 s[12:13], exec, s[18:19]
	s_cbranch_execz .LBB17_21
; %bb.20:                               ;   in Loop: Header=BB17_7 Depth=2
	global_load_dword v2, v[0:1], off offset:64
.LBB17_21:                              ;   in Loop: Header=BB17_7 Depth=2
	s_andn2_saveexec_b64 s[12:13], s[12:13]
	s_cbranch_execz .LBB17_23
; %bb.22:                               ;   in Loop: Header=BB17_7 Depth=2
	s_waitcnt vmcnt(0)
	v_cndmask_b32_e64 v2, 0, 1.0, s[42:43]
.LBB17_23:                              ;   in Loop: Header=BB17_7 Depth=2
	s_or_b64 exec, exec, s[12:13]
	s_or_b64 s[10:11], s[8:9], s[10:11]
	s_or_b64 s[10:11], s[10:11], s[36:37]
	s_nor_b64 s[10:11], s[14:15], s[10:11]
	s_waitcnt vmcnt(0)
	ds_write_b32 v57, v2 offset:2048
	s_and_saveexec_b64 s[12:13], s[10:11]
	s_xor_b64 s[10:11], exec, s[12:13]
	s_cbranch_execz .LBB17_25
; %bb.24:                               ;   in Loop: Header=BB17_7 Depth=2
	global_load_dword v0, v[4:5], off offset:64
	s_waitcnt vmcnt(0)
	ds_write_b32 v57, v0 offset:2112
.LBB17_25:                              ;   in Loop: Header=BB17_7 Depth=2
	s_andn2_saveexec_b64 s[10:11], s[10:11]
	s_cbranch_execz .LBB17_31
; %bb.26:                               ;   in Loop: Header=BB17_7 Depth=2
	s_xor_b64 s[12:13], s[36:37], -1
	s_and_saveexec_b64 s[14:15], s[12:13]
	s_xor_b64 s[12:13], exec, s[14:15]
; %bb.27:                               ;   in Loop: Header=BB17_7 Depth=2
	ds_write_b32 v57, v15 offset:2112
; %bb.28:                               ;   in Loop: Header=BB17_7 Depth=2
	s_andn2_saveexec_b64 s[12:13], s[12:13]
; %bb.29:                               ;   in Loop: Header=BB17_7 Depth=2
	ds_write_b32 v57, v60 offset:2112
; %bb.30:                               ;   in Loop: Header=BB17_7 Depth=2
	s_or_b64 exec, exec, s[12:13]
.LBB17_31:                              ;   in Loop: Header=BB17_7 Depth=2
	s_or_b64 exec, exec, s[10:11]
	v_lshl_add_u64 v[0:1], v[12:13], 0, s[20:21]
	v_cmp_le_i64_e64 s[10:11], s[26:27], v[0:1]
	v_lshl_add_u64 v[2:3], v[50:51], 0, v[28:29]
	s_nor_b64 s[14:15], s[10:11], vcc
	v_mov_b32_e32 v4, 0
	s_and_saveexec_b64 s[12:13], s[14:15]
	s_cbranch_execz .LBB17_33
; %bb.32:                               ;   in Loop: Header=BB17_7 Depth=2
	global_load_dword v4, v[2:3], off offset:-64
.LBB17_33:                              ;   in Loop: Header=BB17_7 Depth=2
	s_or_b64 exec, exec, s[12:13]
	s_nor_b64 s[10:11], s[10:11], s[0:1]
	s_waitcnt vmcnt(0)
	ds_write_b32 v59, v4
	s_and_saveexec_b64 s[12:13], s[10:11]
	s_xor_b64 s[10:11], exec, s[12:13]
	s_cbranch_execz .LBB17_35
; %bb.34:                               ;   in Loop: Header=BB17_7 Depth=2
	global_load_dword v2, v[2:3], off
	s_waitcnt vmcnt(0)
	ds_write_b32 v59, v2 offset:64
.LBB17_35:                              ;   in Loop: Header=BB17_7 Depth=2
	s_andn2_saveexec_b64 s[10:11], s[10:11]
; %bb.36:                               ;   in Loop: Header=BB17_7 Depth=2
	ds_write_b32 v59, v15 offset:64
; %bb.37:                               ;   in Loop: Header=BB17_7 Depth=2
	s_or_b64 exec, exec, s[10:11]
	v_cmp_le_i64_e64 s[10:11], s[40:41], v[0:1]
	v_lshl_add_u64 v[0:1], v[50:51], 0, v[32:33]
	s_nor_b64 s[14:15], s[10:11], vcc
	v_mov_b32_e32 v2, 0
	s_and_saveexec_b64 s[12:13], s[14:15]
	s_cbranch_execz .LBB17_39
; %bb.38:                               ;   in Loop: Header=BB17_7 Depth=2
	global_load_dword v2, v[0:1], off
.LBB17_39:                              ;   in Loop: Header=BB17_7 Depth=2
	s_or_b64 exec, exec, s[12:13]
	s_nor_b64 s[10:11], s[10:11], s[0:1]
	s_waitcnt vmcnt(0)
	ds_write_b32 v59, v2 offset:2048
	s_and_saveexec_b64 s[12:13], s[10:11]
	s_xor_b64 s[10:11], exec, s[12:13]
	s_cbranch_execz .LBB17_41
; %bb.40:                               ;   in Loop: Header=BB17_7 Depth=2
	global_load_dword v0, v[0:1], off offset:64
	s_waitcnt vmcnt(0)
	ds_write_b32 v59, v0 offset:2112
.LBB17_41:                              ;   in Loop: Header=BB17_7 Depth=2
	s_andn2_saveexec_b64 s[10:11], s[10:11]
	s_cbranch_execz .LBB17_6
; %bb.42:                               ;   in Loop: Header=BB17_7 Depth=2
	ds_write_b32 v59, v15 offset:2112
	s_branch .LBB17_6
.LBB17_43:                              ;   in Loop: Header=BB17_4 Depth=1
	v_mul_lo_u32 v2, s29, v34
	v_mul_lo_u32 v3, s28, v35
	v_mad_u64_u32 v[0:1], s[8:9], s28, v34, 0
	v_cmp_gt_i32_e64 s[6:7], s38, v34
	v_add3_u32 v1, v1, v3, v2
	v_lshl_add_u64 v[0:1], v[0:1], 2, s[22:23]
	s_and_b64 s[10:11], s[16:17], s[6:7]
	s_and_saveexec_b64 s[8:9], s[10:11]
	s_cbranch_execz .LBB17_45
; %bb.44:                               ;   in Loop: Header=BB17_4 Depth=1
	v_lshl_add_u64 v[2:3], v[16:17], 2, v[0:1]
	global_load_dword v4, v[2:3], off
	s_waitcnt vmcnt(0)
	v_fmac_f32_e32 v4, s39, v54
	global_store_dword v[2:3], v4, off
.LBB17_45:                              ;   in Loop: Header=BB17_4 Depth=1
	s_or_b64 exec, exec, s[8:9]
	s_and_b64 s[8:9], s[4:5], s[6:7]
	s_and_saveexec_b64 s[6:7], s[8:9]
	s_cbranch_execz .LBB17_47
; %bb.46:                               ;   in Loop: Header=BB17_4 Depth=1
	v_lshl_add_u64 v[0:1], v[22:23], 2, v[0:1]
	global_load_dword v2, v[0:1], off
	s_waitcnt vmcnt(0)
	v_fmac_f32_e32 v2, s39, v55
	global_store_dword v[0:1], v2, off
.LBB17_47:                              ;   in Loop: Header=BB17_4 Depth=1
	s_or_b64 exec, exec, s[6:7]
	v_add_u32_e32 v0, 16, v34
	v_ashrrev_i32_e32 v1, 31, v0
	v_cmp_gt_i32_e64 s[6:7], s38, v0
	v_mul_lo_u32 v2, s28, v1
	v_mul_lo_u32 v3, s29, v0
	v_mad_u64_u32 v[0:1], s[8:9], s28, v0, 0
	v_add3_u32 v1, v1, v2, v3
	v_lshl_add_u64 v[0:1], v[0:1], 2, s[22:23]
	s_and_b64 s[10:11], s[16:17], s[6:7]
	s_and_saveexec_b64 s[8:9], s[10:11]
	s_cbranch_execz .LBB17_49
; %bb.48:                               ;   in Loop: Header=BB17_4 Depth=1
	v_lshl_add_u64 v[2:3], v[16:17], 2, v[0:1]
	global_load_dword v4, v[2:3], off
	s_waitcnt vmcnt(0)
	v_fmac_f32_e32 v4, s39, v52
	global_store_dword v[2:3], v4, off
.LBB17_49:                              ;   in Loop: Header=BB17_4 Depth=1
	s_or_b64 exec, exec, s[8:9]
	s_and_b64 s[8:9], s[4:5], s[6:7]
	s_and_saveexec_b64 s[6:7], s[8:9]
	s_cbranch_execz .LBB17_3
; %bb.50:                               ;   in Loop: Header=BB17_4 Depth=1
	v_lshl_add_u64 v[0:1], v[22:23], 2, v[0:1]
	global_load_dword v2, v[0:1], off
	s_waitcnt vmcnt(0)
	v_fmac_f32_e32 v2, s39, v53
	global_store_dword v[0:1], v2, off
	s_branch .LBB17_3
.LBB17_51:
	s_endpgm
	.section	.rodata,"a",@progbits
	.p2align	6, 0x0
	.amdhsa_kernel _ZL30rocblas_trmm_outofplace_kernelIfLi32ELi2ELb0ELb0ELb1ELb0EfKffEv17rocblas_diagonal_iiT6_lPT7_lllS4_lllPT8_llli
		.amdhsa_group_segment_fixed_size 8192
		.amdhsa_private_segment_fixed_size 0
		.amdhsa_kernarg_size 384
		.amdhsa_user_sgpr_count 2
		.amdhsa_user_sgpr_dispatch_ptr 0
		.amdhsa_user_sgpr_queue_ptr 0
		.amdhsa_user_sgpr_kernarg_segment_ptr 1
		.amdhsa_user_sgpr_dispatch_id 0
		.amdhsa_user_sgpr_kernarg_preload_length 0
		.amdhsa_user_sgpr_kernarg_preload_offset 0
		.amdhsa_user_sgpr_private_segment_size 0
		.amdhsa_uses_dynamic_stack 0
		.amdhsa_enable_private_segment 0
		.amdhsa_system_sgpr_workgroup_id_x 1
		.amdhsa_system_sgpr_workgroup_id_y 1
		.amdhsa_system_sgpr_workgroup_id_z 1
		.amdhsa_system_sgpr_workgroup_info 0
		.amdhsa_system_vgpr_workitem_id 1
		.amdhsa_next_free_vgpr 98
		.amdhsa_next_free_sgpr 48
		.amdhsa_accum_offset 100
		.amdhsa_reserve_vcc 1
		.amdhsa_float_round_mode_32 0
		.amdhsa_float_round_mode_16_64 0
		.amdhsa_float_denorm_mode_32 3
		.amdhsa_float_denorm_mode_16_64 3
		.amdhsa_dx10_clamp 1
		.amdhsa_ieee_mode 1
		.amdhsa_fp16_overflow 0
		.amdhsa_tg_split 0
		.amdhsa_exception_fp_ieee_invalid_op 0
		.amdhsa_exception_fp_denorm_src 0
		.amdhsa_exception_fp_ieee_div_zero 0
		.amdhsa_exception_fp_ieee_overflow 0
		.amdhsa_exception_fp_ieee_underflow 0
		.amdhsa_exception_fp_ieee_inexact 0
		.amdhsa_exception_int_div_zero 0
	.end_amdhsa_kernel
	.section	.text._ZL30rocblas_trmm_outofplace_kernelIfLi32ELi2ELb0ELb0ELb1ELb0EfKffEv17rocblas_diagonal_iiT6_lPT7_lllS4_lllPT8_llli,"axG",@progbits,_ZL30rocblas_trmm_outofplace_kernelIfLi32ELi2ELb0ELb0ELb1ELb0EfKffEv17rocblas_diagonal_iiT6_lPT7_lllS4_lllPT8_llli,comdat
.Lfunc_end17:
	.size	_ZL30rocblas_trmm_outofplace_kernelIfLi32ELi2ELb0ELb0ELb1ELb0EfKffEv17rocblas_diagonal_iiT6_lPT7_lllS4_lllPT8_llli, .Lfunc_end17-_ZL30rocblas_trmm_outofplace_kernelIfLi32ELi2ELb0ELb0ELb1ELb0EfKffEv17rocblas_diagonal_iiT6_lPT7_lllS4_lllPT8_llli
                                        ; -- End function
	.set _ZL30rocblas_trmm_outofplace_kernelIfLi32ELi2ELb0ELb0ELb1ELb0EfKffEv17rocblas_diagonal_iiT6_lPT7_lllS4_lllPT8_llli.num_vgpr, 98
	.set _ZL30rocblas_trmm_outofplace_kernelIfLi32ELi2ELb0ELb0ELb1ELb0EfKffEv17rocblas_diagonal_iiT6_lPT7_lllS4_lllPT8_llli.num_agpr, 0
	.set _ZL30rocblas_trmm_outofplace_kernelIfLi32ELi2ELb0ELb0ELb1ELb0EfKffEv17rocblas_diagonal_iiT6_lPT7_lllS4_lllPT8_llli.numbered_sgpr, 48
	.set _ZL30rocblas_trmm_outofplace_kernelIfLi32ELi2ELb0ELb0ELb1ELb0EfKffEv17rocblas_diagonal_iiT6_lPT7_lllS4_lllPT8_llli.num_named_barrier, 0
	.set _ZL30rocblas_trmm_outofplace_kernelIfLi32ELi2ELb0ELb0ELb1ELb0EfKffEv17rocblas_diagonal_iiT6_lPT7_lllS4_lllPT8_llli.private_seg_size, 0
	.set _ZL30rocblas_trmm_outofplace_kernelIfLi32ELi2ELb0ELb0ELb1ELb0EfKffEv17rocblas_diagonal_iiT6_lPT7_lllS4_lllPT8_llli.uses_vcc, 1
	.set _ZL30rocblas_trmm_outofplace_kernelIfLi32ELi2ELb0ELb0ELb1ELb0EfKffEv17rocblas_diagonal_iiT6_lPT7_lllS4_lllPT8_llli.uses_flat_scratch, 0
	.set _ZL30rocblas_trmm_outofplace_kernelIfLi32ELi2ELb0ELb0ELb1ELb0EfKffEv17rocblas_diagonal_iiT6_lPT7_lllS4_lllPT8_llli.has_dyn_sized_stack, 0
	.set _ZL30rocblas_trmm_outofplace_kernelIfLi32ELi2ELb0ELb0ELb1ELb0EfKffEv17rocblas_diagonal_iiT6_lPT7_lllS4_lllPT8_llli.has_recursion, 0
	.set _ZL30rocblas_trmm_outofplace_kernelIfLi32ELi2ELb0ELb0ELb1ELb0EfKffEv17rocblas_diagonal_iiT6_lPT7_lllS4_lllPT8_llli.has_indirect_call, 0
	.section	.AMDGPU.csdata,"",@progbits
; Kernel info:
; codeLenInByte = 2832
; TotalNumSgprs: 54
; NumVgprs: 98
; NumAgprs: 0
; TotalNumVgprs: 98
; ScratchSize: 0
; MemoryBound: 0
; FloatMode: 240
; IeeeMode: 1
; LDSByteSize: 8192 bytes/workgroup (compile time only)
; SGPRBlocks: 6
; VGPRBlocks: 12
; NumSGPRsForWavesPerEU: 54
; NumVGPRsForWavesPerEU: 98
; AccumOffset: 100
; Occupancy: 4
; WaveLimiterHint : 0
; COMPUTE_PGM_RSRC2:SCRATCH_EN: 0
; COMPUTE_PGM_RSRC2:USER_SGPR: 2
; COMPUTE_PGM_RSRC2:TRAP_HANDLER: 0
; COMPUTE_PGM_RSRC2:TGID_X_EN: 1
; COMPUTE_PGM_RSRC2:TGID_Y_EN: 1
; COMPUTE_PGM_RSRC2:TGID_Z_EN: 1
; COMPUTE_PGM_RSRC2:TIDIG_COMP_CNT: 1
; COMPUTE_PGM_RSRC3_GFX90A:ACCUM_OFFSET: 24
; COMPUTE_PGM_RSRC3_GFX90A:TG_SPLIT: 0
	.section	.text._ZL30rocblas_trmm_outofplace_kernelIfLi32ELi2ELb0ELb1ELb1ELb0EPKfS0_fEv17rocblas_diagonal_iiT6_lPT7_lllS5_lllPT8_llli,"axG",@progbits,_ZL30rocblas_trmm_outofplace_kernelIfLi32ELi2ELb0ELb1ELb1ELb0EPKfS0_fEv17rocblas_diagonal_iiT6_lPT7_lllS5_lllPT8_llli,comdat
	.globl	_ZL30rocblas_trmm_outofplace_kernelIfLi32ELi2ELb0ELb1ELb1ELb0EPKfS0_fEv17rocblas_diagonal_iiT6_lPT7_lllS5_lllPT8_llli ; -- Begin function _ZL30rocblas_trmm_outofplace_kernelIfLi32ELi2ELb0ELb1ELb1ELb0EPKfS0_fEv17rocblas_diagonal_iiT6_lPT7_lllS5_lllPT8_llli
	.p2align	8
	.type	_ZL30rocblas_trmm_outofplace_kernelIfLi32ELi2ELb0ELb1ELb1ELb0EPKfS0_fEv17rocblas_diagonal_iiT6_lPT7_lllS5_lllPT8_llli,@function
_ZL30rocblas_trmm_outofplace_kernelIfLi32ELi2ELb0ELb1ELb1ELb0EPKfS0_fEv17rocblas_diagonal_iiT6_lPT7_lllS5_lllPT8_llli: ; @_ZL30rocblas_trmm_outofplace_kernelIfLi32ELi2ELb0ELb1ELb1ELb0EPKfS0_fEv17rocblas_diagonal_iiT6_lPT7_lllS5_lllPT8_llli
; %bb.0:
	s_load_dwordx16 s[16:31], s[0:1], 0x10
	s_waitcnt lgkmcnt(0)
	s_mul_i32 s5, s19, s4
	s_mul_hi_u32 s6, s18, s4
	s_add_i32 s7, s6, s5
	s_mul_i32 s6, s18, s4
	s_lshl_b64 s[6:7], s[6:7], 2
	s_add_u32 s6, s16, s6
	s_addc_u32 s7, s17, s7
	s_load_dword s33, s[6:7], 0x0
	s_waitcnt lgkmcnt(0)
	v_cmp_eq_f32_e64 s[6:7], s33, 0
	s_and_b64 vcc, exec, s[6:7]
	s_cbranch_vccnz .LBB18_51
; %bb.1:
	s_load_dwordx4 s[44:47], s[0:1], 0x0
	s_waitcnt lgkmcnt(0)
	s_add_i32 s5, s46, -1
	s_ashr_i32 s6, s5, 31
	s_lshr_b32 s6, s6, 27
	s_add_i32 s5, s5, s6
	s_ashr_i32 s56, s5, 5
	s_cmp_gt_i32 s3, s56
	s_cbranch_scc1 .LBB18_51
; %bb.2:
	s_load_dwordx4 s[48:51], s[0:1], 0x70
	s_load_dwordx8 s[36:43], s[0:1], 0x50
	s_load_dword s57, s[0:1], 0x8c
	v_and_b32_e32 v2, 0x3ff, v0
	v_bfe_u32 v48, v0, 10, 10
	v_lshl_add_u32 v12, s2, 5, v2
	s_waitcnt lgkmcnt(0)
	s_mul_i32 s0, s51, s4
	s_mul_hi_u32 s1, s50, s4
	s_add_i32 s1, s1, s0
	s_mul_i32 s0, s50, s4
	s_lshl_b64 s[0:1], s[0:1], 2
	s_add_u32 s5, s40, s0
	s_addc_u32 s6, s41, s1
	s_lshl_b64 s[0:1], s[42:43], 2
	s_add_u32 s34, s5, s0
	s_addc_u32 s35, s6, s1
	s_cmpk_eq_i32 s44, 0x84
	s_cselect_b64 s[40:41], -1, 0
	s_ashr_i32 s47, s46, 31
	s_ashr_i32 s0, s45, 31
	s_lshl_b64 s[42:43], s[24:25], 7
	s_lshl_b64 s[50:51], s[36:37], 7
	s_add_u32 s52, s46, -16
	s_addc_u32 s53, s47, -1
	s_lshl_b32 s5, s3, 5
	s_lshl_b32 s2, s57, 5
	v_add_u32_e32 v14, 16, v12
	v_add_u32_e32 v16, s5, v2
	;; [unrolled: 1-line block ×3, first 2 shown]
	s_add_u32 s44, s28, 64
	s_mul_i32 s5, s39, s4
	s_mul_hi_u32 s6, s38, s4
	v_sub_co_u32_e32 v0, vcc, s45, v12
	v_cmp_gt_i32_e64 s[16:17], s45, v12
	v_cmp_gt_i32_e64 s[18:19], s45, v14
	s_addc_u32 s45, s29, 0
	s_add_i32 s7, s6, s5
	s_mul_i32 s6, s38, s4
	s_lshl_b64 s[54:55], s[36:37], 2
	s_lshl_b64 s[6:7], s[6:7], 2
	;; [unrolled: 1-line block ×3, first 2 shown]
	s_add_u32 s6, s6, s8
	v_ashrrev_i32_e32 v13, 31, v12
	s_addc_u32 s7, s7, s9
	v_lshl_add_u64 v[20:21], v[12:13], 2, s[6:7]
	s_mul_i32 s5, s27, s4
	s_mul_hi_u32 s6, s26, s4
	s_add_i32 s5, s6, s5
	s_mul_i32 s4, s26, s4
	s_lshl_b64 s[4:5], s[4:5], 2
	s_lshl_b64 s[6:7], s[22:23], 2
	s_add_u32 s4, s4, s6
	v_lshlrev_b32_e32 v3, 2, v2
	v_mov_b32_e32 v1, s0
	s_addc_u32 s5, s5, s7
	v_lshlrev_b32_e32 v49, 7, v48
	v_subb_co_u32_e32 v1, vcc, v1, v13, vcc
	v_or_b32_e32 v51, 0x1000, v3
	s_add_u32 s20, s20, s4
	v_add_u32_e32 v50, v49, v3
	v_add_u32_e32 v52, v51, v49
	v_cmp_gt_i64_e32 vcc, 1, v[0:1]
	v_cmp_gt_i64_e64 s[0:1], 17, v[0:1]
	v_ashrrev_i32_e32 v15, 31, v14
	s_addc_u32 s21, s21, s5
	s_lshl_b64 s[22:23], s[24:25], 2
	v_mov_b32_e32 v53, 0
	v_mov_b32_e32 v54, 1.0
	s_branch .LBB18_4
.LBB18_3:                               ;   in Loop: Header=BB18_4 Depth=1
	s_or_b64 exec, exec, s[4:5]
	s_add_i32 s3, s57, s3
	v_add_u32_e32 v16, s2, v16
	s_cmp_le_i32 s3, s56
	v_add_u32_e32 v18, s2, v18
	s_cbranch_scc0 .LBB18_51
.LBB18_4:                               ; =>This Loop Header: Depth=1
                                        ;     Child Loop BB18_7 Depth 2
	s_lshl_b32 s4, s3, 5
	v_add_u32_e32 v22, s4, v48
	s_sub_i32 s58, s46, s4
	v_ashrrev_i32_e32 v17, 31, v16
	v_ashrrev_i32_e32 v19, 31, v18
	v_ashrrev_i32_e32 v23, 31, v22
	s_cmp_lt_i32 s58, 1
	v_mov_b32_e32 v47, 0
	v_mov_b32_e32 v46, 0
	;; [unrolled: 1-line block ×4, first 2 shown]
	s_cbranch_scc1 .LBB18_43
; %bb.5:                                ;   in Loop: Header=BB18_4 Depth=1
	v_sub_co_u32_e64 v24, s[4:5], v18, v16
	v_mov_b64_e32 v[0:1], s[44:45]
	s_nop 0
	v_subb_co_u32_e64 v25, s[4:5], v19, v17, s[4:5]
	v_mad_u64_u32 v[26:27], s[4:5], s54, v18, v[0:1]
	v_mul_lo_u32 v0, s54, v19
	v_mul_lo_u32 v1, s55, v18
	v_add3_u32 v27, v1, v27, v0
	v_lshl_add_u64 v[0:1], v[16:17], 2, 64
	v_mov_b64_e32 v[2:3], s[20:21]
	v_mul_lo_u32 v1, s24, v1
	v_mul_lo_u32 v4, s25, v0
	v_mad_u64_u32 v[30:31], s[4:5], s24, v0, v[2:3]
	v_lshlrev_b64 v[28:29], 2, v[18:19]
	v_add3_u32 v31, v4, v31, v1
	v_mad_u64_u32 v[32:33], s[4:5], s22, v16, v[2:3]
	v_mul_lo_u32 v0, s22, v17
	v_mul_lo_u32 v1, s23, v16
	v_add3_u32 v33, v1, v33, v0
	v_lshl_add_u64 v[0:1], v[28:29], 0, 64
	v_mov_b64_e32 v[2:3], s[28:29]
	v_mul_lo_u32 v1, s36, v1
	v_mul_lo_u32 v4, s37, v0
	v_mad_u64_u32 v[34:35], s[4:5], s36, v0, v[2:3]
	v_lshl_add_u64 v[36:37], v[22:23], 0, 16
	v_mov_b32_e32 v44, 0
	v_add3_u32 v35, v4, v35, v1
	v_cmp_le_i32_e64 s[6:7], s46, v22
	v_cmp_le_i64_e64 s[8:9], s[46:47], v[36:37]
	v_lshl_add_u64 v[38:39], v[24:25], 0, 16
	v_lshl_add_u64 v[40:41], v[24:25], 0, -16
	s_mov_b64 s[26:27], 0
	v_mov_b64_e32 v[42:43], v[20:21]
	v_mov_b32_e32 v45, v44
	v_mov_b32_e32 v46, v44
	;; [unrolled: 1-line block ×3, first 2 shown]
	s_branch .LBB18_7
.LBB18_6:                               ;   in Loop: Header=BB18_7 Depth=2
	s_or_b64 exec, exec, s[4:5]
	s_waitcnt lgkmcnt(0)
	s_barrier
	ds_read_b128 v[56:59], v49
	ds_read_b128 v[60:63], v49 offset:16
	ds_read_b128 v[4:7], v49 offset:32
	;; [unrolled: 1-line block ×3, first 2 shown]
	ds_read2_b32 v[72:73], v51 offset1:16
	ds_read2_b32 v[74:75], v51 offset0:32 offset1:48
	ds_read2_b32 v[76:77], v51 offset0:64 offset1:80
	;; [unrolled: 1-line block ×4, first 2 shown]
	ds_read_b128 v[64:67], v49 offset:2048
	ds_read_b128 v[68:71], v49 offset:2064
	ds_read2_b32 v[82:83], v51 offset0:160 offset1:176
	ds_read2_b32 v[84:85], v51 offset0:192 offset1:208
	;; [unrolled: 1-line block ×3, first 2 shown]
	s_waitcnt lgkmcnt(9)
	v_pk_fma_f32 v[46:47], v[72:73], v[56:57], v[46:47] op_sel_hi:[1,0,1]
	v_add_u32_e32 v55, 0x400, v51
	s_waitcnt lgkmcnt(8)
	v_pk_fma_f32 v[46:47], v[74:75], v[56:57], v[46:47] op_sel:[0,1,0]
	v_mov_b32_e32 v56, v59
	s_waitcnt lgkmcnt(7)
	v_pk_fma_f32 v[46:47], v[76:77], v[58:59], v[46:47] op_sel_hi:[1,0,1]
	ds_read2_b32 v[88:89], v55 offset1:16
	ds_read_b128 v[8:11], v49 offset:2080
	s_waitcnt lgkmcnt(8)
	v_pk_fma_f32 v[46:47], v[78:79], v[56:57], v[46:47] op_sel_hi:[1,0,1]
	ds_read2_b32 v[58:59], v55 offset0:32 offset1:48
	s_waitcnt lgkmcnt(8)
	v_pk_fma_f32 v[46:47], v[80:81], v[60:61], v[46:47] op_sel_hi:[1,0,1]
	v_mov_b32_e32 v56, v63
	s_waitcnt lgkmcnt(5)
	v_pk_fma_f32 v[46:47], v[82:83], v[60:61], v[46:47] op_sel:[0,1,0]
	v_pk_fma_f32 v[44:45], v[72:73], v[64:65], v[44:45] op_sel_hi:[1,0,1]
	s_waitcnt lgkmcnt(4)
	v_pk_fma_f32 v[46:47], v[84:85], v[62:63], v[46:47] op_sel_hi:[1,0,1]
	v_pk_fma_f32 v[44:45], v[74:75], v[64:65], v[44:45] op_sel:[0,1,0]
	s_waitcnt lgkmcnt(3)
	v_pk_fma_f32 v[46:47], v[86:87], v[56:57], v[46:47] op_sel_hi:[1,0,1]
	v_pk_fma_f32 v[44:45], v[76:77], v[66:67], v[44:45] op_sel_hi:[1,0,1]
	s_waitcnt lgkmcnt(2)
	v_pk_fma_f32 v[46:47], v[88:89], v[4:5], v[46:47] op_sel_hi:[1,0,1]
	s_add_u32 s26, s26, 32
	s_waitcnt lgkmcnt(0)
	v_pk_fma_f32 v[4:5], v[58:59], v[4:5], v[46:47] op_sel:[0,1,0]
	v_mov_b32_e32 v46, v67
	v_pk_fma_f32 v[44:45], v[78:79], v[46:47], v[44:45] op_sel_hi:[1,0,1]
	v_mov_b32_e32 v46, v71
	v_pk_fma_f32 v[44:45], v[80:81], v[68:69], v[44:45] op_sel_hi:[1,0,1]
	s_addc_u32 s27, s27, 0
	v_pk_fma_f32 v[44:45], v[82:83], v[68:69], v[44:45] op_sel:[0,1,0]
	v_lshl_add_u64 v[42:43], v[42:43], 0, s[50:51]
	v_pk_fma_f32 v[44:45], v[84:85], v[70:71], v[44:45] op_sel_hi:[1,0,1]
	v_lshl_add_u64 v[30:31], v[30:31], 0, s[42:43]
	v_pk_fma_f32 v[56:57], v[86:87], v[46:47], v[44:45] op_sel_hi:[1,0,1]
	ds_read_b128 v[44:47], v49 offset:2096
	ds_read2_b32 v[64:65], v55 offset0:64 offset1:80
	ds_read2_b32 v[66:67], v55 offset0:96 offset1:112
	;; [unrolled: 1-line block ×6, first 2 shown]
	s_waitcnt lgkmcnt(5)
	v_pk_fma_f32 v[4:5], v[64:65], v[6:7], v[4:5] op_sel_hi:[1,0,1]
	v_mov_b32_e32 v6, v7
	s_waitcnt lgkmcnt(4)
	v_pk_fma_f32 v[4:5], v[66:67], v[6:7], v[4:5] op_sel_hi:[1,0,1]
	v_pk_fma_f32 v[56:57], v[88:89], v[8:9], v[56:57] op_sel_hi:[1,0,1]
	v_add_u32_e32 v55, 0x800, v51
	s_waitcnt lgkmcnt(3)
	v_pk_fma_f32 v[4:5], v[68:69], v[0:1], v[4:5] op_sel_hi:[1,0,1]
	v_pk_fma_f32 v[8:9], v[58:59], v[8:9], v[56:57] op_sel:[0,1,0]
	ds_read2_b32 v[76:77], v55 offset1:16
	ds_read2_b32 v[78:79], v55 offset0:32 offset1:48
	ds_read2_b32 v[80:81], v55 offset0:64 offset1:80
	;; [unrolled: 1-line block ×3, first 2 shown]
	ds_read_b128 v[56:59], v49 offset:64
	ds_read_b128 v[60:63], v49 offset:80
	ds_read2_b32 v[84:85], v55 offset0:128 offset1:144
	s_waitcnt lgkmcnt(9)
	v_pk_fma_f32 v[0:1], v[70:71], v[0:1], v[4:5] op_sel:[0,1,0]
	v_pk_fma_f32 v[8:9], v[64:65], v[10:11], v[8:9] op_sel_hi:[1,0,1]
	s_waitcnt lgkmcnt(8)
	v_pk_fma_f32 v[0:1], v[72:73], v[2:3], v[0:1] op_sel_hi:[1,0,1]
	v_mov_b32_e32 v2, v3
	s_waitcnt lgkmcnt(7)
	v_pk_fma_f32 v[0:1], v[74:75], v[2:3], v[0:1] op_sel_hi:[1,0,1]
	s_waitcnt lgkmcnt(2)
	v_mov_b32_e32 v2, v59
	v_pk_fma_f32 v[0:1], v[76:77], v[56:57], v[0:1] op_sel_hi:[1,0,1]
	v_mov_b32_e32 v10, v11
	v_pk_fma_f32 v[0:1], v[78:79], v[56:57], v[0:1] op_sel:[0,1,0]
	v_pk_fma_f32 v[8:9], v[66:67], v[10:11], v[8:9] op_sel_hi:[1,0,1]
	v_pk_fma_f32 v[0:1], v[80:81], v[58:59], v[0:1] op_sel_hi:[1,0,1]
	;; [unrolled: 1-line block ×4, first 2 shown]
	v_pk_fma_f32 v[8:9], v[70:71], v[44:45], v[8:9] op_sel:[0,1,0]
	s_waitcnt lgkmcnt(0)
	v_pk_fma_f32 v[86:87], v[84:85], v[60:61], v[0:1] op_sel_hi:[1,0,1]
	ds_read_b128 v[0:3], v49 offset:2112
	ds_read_b128 v[4:7], v49 offset:2128
	v_pk_fma_f32 v[8:9], v[72:73], v[46:47], v[8:9] op_sel_hi:[1,0,1]
	v_mov_b32_e32 v10, v47
	v_pk_fma_f32 v[8:9], v[74:75], v[10:11], v[8:9] op_sel_hi:[1,0,1]
	ds_read2_b32 v[68:69], v55 offset0:160 offset1:176
	ds_read2_b32 v[70:71], v55 offset0:192 offset1:208
	;; [unrolled: 1-line block ×3, first 2 shown]
	s_waitcnt lgkmcnt(4)
	v_pk_fma_f32 v[8:9], v[76:77], v[0:1], v[8:9] op_sel_hi:[1,0,1]
	v_add_u32_e32 v46, 0xc00, v51
	v_pk_fma_f32 v[0:1], v[78:79], v[0:1], v[8:9] op_sel:[0,1,0]
	s_cmp_ge_i32 s26, s58
	v_pk_fma_f32 v[0:1], v[80:81], v[2:3], v[0:1] op_sel_hi:[1,0,1]
	v_mov_b32_e32 v2, v3
	v_pk_fma_f32 v[0:1], v[82:83], v[2:3], v[0:1] op_sel_hi:[1,0,1]
	v_lshl_add_u64 v[32:33], v[32:33], 0, s[42:43]
	s_waitcnt lgkmcnt(3)
	v_pk_fma_f32 v[44:45], v[84:85], v[4:5], v[0:1] op_sel_hi:[1,0,1]
	ds_read2_b32 v[74:75], v46 offset1:16
	ds_read2_b32 v[76:77], v46 offset0:32 offset1:48
	ds_read2_b32 v[78:79], v46 offset0:64 offset1:80
	ds_read2_b32 v[80:81], v46 offset0:96 offset1:112
	ds_read_b128 v[0:3], v49 offset:96
	ds_read_b128 v[8:11], v49 offset:112
	ds_read2_b32 v[82:83], v46 offset0:128 offset1:144
	ds_read_b128 v[56:59], v49 offset:2144
	ds_read_b128 v[64:67], v49 offset:2160
	ds_read2_b32 v[84:85], v46 offset0:160 offset1:176
	ds_read2_b32 v[88:89], v46 offset0:192 offset1:208
	;; [unrolled: 1-line block ×3, first 2 shown]
	s_waitcnt lgkmcnt(14)
	v_pk_fma_f32 v[46:47], v[68:69], v[60:61], v[86:87] op_sel:[0,1,0]
	v_mov_b32_e32 v60, v63
	s_waitcnt lgkmcnt(13)
	v_pk_fma_f32 v[46:47], v[70:71], v[62:63], v[46:47] op_sel_hi:[1,0,1]
	s_waitcnt lgkmcnt(0)
	v_pk_fma_f32 v[46:47], v[72:73], v[60:61], v[46:47] op_sel_hi:[1,0,1]
	s_barrier
	v_pk_fma_f32 v[46:47], v[74:75], v[0:1], v[46:47] op_sel_hi:[1,0,1]
	s_nop 0
	v_pk_fma_f32 v[0:1], v[76:77], v[0:1], v[46:47] op_sel:[0,1,0]
	s_nop 0
	v_pk_fma_f32 v[0:1], v[78:79], v[2:3], v[0:1] op_sel_hi:[1,0,1]
	v_mov_b32_e32 v2, v3
	v_pk_fma_f32 v[0:1], v[80:81], v[2:3], v[0:1] op_sel_hi:[1,0,1]
	v_mov_b32_e32 v2, v11
	v_pk_fma_f32 v[0:1], v[82:83], v[8:9], v[0:1] op_sel_hi:[1,0,1]
	s_nop 0
	v_pk_fma_f32 v[0:1], v[84:85], v[8:9], v[0:1] op_sel:[0,1,0]
	s_nop 0
	v_pk_fma_f32 v[0:1], v[88:89], v[10:11], v[0:1] op_sel_hi:[1,0,1]
	s_nop 0
	v_pk_fma_f32 v[46:47], v[90:91], v[2:3], v[0:1] op_sel_hi:[1,0,1]
	v_pk_fma_f32 v[0:1], v[68:69], v[4:5], v[44:45] op_sel:[0,1,0]
	v_mov_b32_e32 v2, v7
	v_pk_fma_f32 v[0:1], v[70:71], v[6:7], v[0:1] op_sel_hi:[1,0,1]
	s_nop 0
	v_pk_fma_f32 v[0:1], v[72:73], v[2:3], v[0:1] op_sel_hi:[1,0,1]
	v_mov_b32_e32 v2, v59
	v_pk_fma_f32 v[0:1], v[74:75], v[56:57], v[0:1] op_sel_hi:[1,0,1]
	s_nop 0
	v_pk_fma_f32 v[0:1], v[76:77], v[56:57], v[0:1] op_sel:[0,1,0]
	s_nop 0
	v_pk_fma_f32 v[0:1], v[78:79], v[58:59], v[0:1] op_sel_hi:[1,0,1]
	s_nop 0
	v_pk_fma_f32 v[0:1], v[80:81], v[2:3], v[0:1] op_sel_hi:[1,0,1]
	v_mov_b32_e32 v2, v67
	v_pk_fma_f32 v[0:1], v[82:83], v[64:65], v[0:1] op_sel_hi:[1,0,1]
	s_nop 0
	v_pk_fma_f32 v[0:1], v[84:85], v[64:65], v[0:1] op_sel:[0,1,0]
	s_nop 0
	v_pk_fma_f32 v[0:1], v[88:89], v[66:67], v[0:1] op_sel_hi:[1,0,1]
	s_nop 0
	v_pk_fma_f32 v[44:45], v[90:91], v[2:3], v[0:1] op_sel_hi:[1,0,1]
	s_cbranch_scc1 .LBB18_43
.LBB18_7:                               ;   Parent Loop BB18_4 Depth=1
                                        ; =>  This Inner Loop Header: Depth=2
	v_lshl_add_u64 v[2:3], v[16:17], 0, s[26:27]
	v_cmp_eq_u64_e64 s[4:5], s[26:27], v[24:25]
	v_cmp_lt_i64_e64 s[10:11], v[2:3], v[22:23]
	s_and_b64 s[30:31], s[40:41], s[4:5]
	v_cmp_le_i64_e64 s[12:13], s[46:47], v[2:3]
	s_or_b64 s[4:5], s[6:7], s[10:11]
	s_or_b64 s[4:5], s[12:13], s[4:5]
	v_lshl_add_u64 v[0:1], v[32:33], 0, v[28:29]
	s_nor_b64 s[4:5], s[4:5], s[30:31]
                                        ; implicit-def: $vgpr4
	s_and_saveexec_b64 s[14:15], s[4:5]
	s_xor_b64 s[4:5], exec, s[14:15]
	s_cbranch_execz .LBB18_9
; %bb.8:                                ;   in Loop: Header=BB18_7 Depth=2
	global_load_dword v4, v[0:1], off
.LBB18_9:                               ;   in Loop: Header=BB18_7 Depth=2
	s_andn2_saveexec_b64 s[4:5], s[4:5]
	s_cbranch_execz .LBB18_11
; %bb.10:                               ;   in Loop: Header=BB18_7 Depth=2
	s_waitcnt vmcnt(0)
	v_cndmask_b32_e64 v4, 0, 1.0, s[30:31]
.LBB18_11:                              ;   in Loop: Header=BB18_7 Depth=2
	s_or_b64 exec, exec, s[4:5]
	s_waitcnt vmcnt(0)
	ds_write_b32 v50, v4
	v_lshl_add_u64 v[4:5], v[2:3], 0, 16
	v_cmp_eq_u64_e64 s[4:5], s[26:27], v[40:41]
	s_and_b64 s[38:39], s[40:41], s[4:5]
	v_cmp_lt_i64_e64 s[4:5], v[4:5], v[22:23]
	v_cmp_le_i64_e64 s[14:15], s[46:47], v[4:5]
	s_or_b64 s[4:5], s[6:7], s[4:5]
	s_or_b64 s[4:5], s[14:15], s[4:5]
	s_nor_b64 s[4:5], s[4:5], s[38:39]
	v_lshl_add_u64 v[4:5], v[30:31], 0, v[28:29]
	s_and_saveexec_b64 s[60:61], s[4:5]
	s_xor_b64 s[4:5], exec, s[60:61]
	s_cbranch_execz .LBB18_13
; %bb.12:                               ;   in Loop: Header=BB18_7 Depth=2
	global_load_dword v6, v[4:5], off
	s_waitcnt vmcnt(0)
	ds_write_b32 v50, v6 offset:64
.LBB18_13:                              ;   in Loop: Header=BB18_7 Depth=2
	s_andn2_saveexec_b64 s[4:5], s[4:5]
	s_cbranch_execz .LBB18_19
; %bb.14:                               ;   in Loop: Header=BB18_7 Depth=2
	s_xor_b64 s[38:39], s[38:39], -1
	s_and_saveexec_b64 s[60:61], s[38:39]
	s_xor_b64 s[38:39], exec, s[60:61]
; %bb.15:                               ;   in Loop: Header=BB18_7 Depth=2
	ds_write_b32 v50, v53 offset:64
; %bb.16:                               ;   in Loop: Header=BB18_7 Depth=2
	s_andn2_saveexec_b64 s[38:39], s[38:39]
; %bb.17:                               ;   in Loop: Header=BB18_7 Depth=2
	ds_write_b32 v50, v54 offset:64
; %bb.18:                               ;   in Loop: Header=BB18_7 Depth=2
	s_or_b64 exec, exec, s[38:39]
.LBB18_19:                              ;   in Loop: Header=BB18_7 Depth=2
	s_or_b64 exec, exec, s[4:5]
	v_cmp_eq_u64_e64 s[4:5], s[26:27], v[38:39]
	s_and_b64 s[38:39], s[40:41], s[4:5]
	v_cmp_lt_i64_e64 s[4:5], v[2:3], v[36:37]
	s_or_b64 s[4:5], s[8:9], s[4:5]
	s_or_b64 s[4:5], s[4:5], s[38:39]
	s_nor_b64 s[4:5], s[12:13], s[4:5]
                                        ; implicit-def: $vgpr2
	s_and_saveexec_b64 s[12:13], s[4:5]
	s_xor_b64 s[4:5], exec, s[12:13]
	s_cbranch_execz .LBB18_21
; %bb.20:                               ;   in Loop: Header=BB18_7 Depth=2
	global_load_dword v2, v[0:1], off offset:64
.LBB18_21:                              ;   in Loop: Header=BB18_7 Depth=2
	s_andn2_saveexec_b64 s[4:5], s[4:5]
	s_cbranch_execz .LBB18_23
; %bb.22:                               ;   in Loop: Header=BB18_7 Depth=2
	s_waitcnt vmcnt(0)
	v_cndmask_b32_e64 v2, 0, 1.0, s[38:39]
.LBB18_23:                              ;   in Loop: Header=BB18_7 Depth=2
	s_or_b64 exec, exec, s[4:5]
	s_or_b64 s[4:5], s[8:9], s[10:11]
	s_or_b64 s[4:5], s[14:15], s[4:5]
	s_nor_b64 s[4:5], s[4:5], s[30:31]
	s_waitcnt vmcnt(0)
	ds_write_b32 v50, v2 offset:2048
	s_and_saveexec_b64 s[10:11], s[4:5]
	s_xor_b64 s[4:5], exec, s[10:11]
	s_cbranch_execz .LBB18_25
; %bb.24:                               ;   in Loop: Header=BB18_7 Depth=2
	global_load_dword v0, v[4:5], off offset:64
	s_waitcnt vmcnt(0)
	ds_write_b32 v50, v0 offset:2112
.LBB18_25:                              ;   in Loop: Header=BB18_7 Depth=2
	s_andn2_saveexec_b64 s[4:5], s[4:5]
	s_cbranch_execz .LBB18_31
; %bb.26:                               ;   in Loop: Header=BB18_7 Depth=2
	s_xor_b64 s[10:11], s[30:31], -1
	s_and_saveexec_b64 s[12:13], s[10:11]
	s_xor_b64 s[10:11], exec, s[12:13]
; %bb.27:                               ;   in Loop: Header=BB18_7 Depth=2
	ds_write_b32 v50, v53 offset:2112
; %bb.28:                               ;   in Loop: Header=BB18_7 Depth=2
	s_andn2_saveexec_b64 s[10:11], s[10:11]
; %bb.29:                               ;   in Loop: Header=BB18_7 Depth=2
	ds_write_b32 v50, v54 offset:2112
; %bb.30:                               ;   in Loop: Header=BB18_7 Depth=2
	s_or_b64 exec, exec, s[10:11]
.LBB18_31:                              ;   in Loop: Header=BB18_7 Depth=2
	s_or_b64 exec, exec, s[4:5]
	v_lshl_add_u64 v[0:1], v[18:19], 0, s[26:27]
	v_cmp_le_i64_e64 s[10:11], s[46:47], v[0:1]
	v_lshl_add_u64 v[2:3], v[26:27], 0, v[42:43]
	s_nor_b64 s[12:13], s[10:11], vcc
	v_mov_b32_e32 v4, 0
	s_and_saveexec_b64 s[4:5], s[12:13]
	s_cbranch_execz .LBB18_33
; %bb.32:                               ;   in Loop: Header=BB18_7 Depth=2
	global_load_dword v4, v[2:3], off offset:-64
.LBB18_33:                              ;   in Loop: Header=BB18_7 Depth=2
	s_or_b64 exec, exec, s[4:5]
	s_nor_b64 s[4:5], s[10:11], s[0:1]
	s_waitcnt vmcnt(0)
	ds_write_b32 v52, v4
	s_and_saveexec_b64 s[10:11], s[4:5]
	s_xor_b64 s[4:5], exec, s[10:11]
	s_cbranch_execz .LBB18_35
; %bb.34:                               ;   in Loop: Header=BB18_7 Depth=2
	global_load_dword v2, v[2:3], off
	s_waitcnt vmcnt(0)
	ds_write_b32 v52, v2 offset:64
.LBB18_35:                              ;   in Loop: Header=BB18_7 Depth=2
	s_andn2_saveexec_b64 s[4:5], s[4:5]
; %bb.36:                               ;   in Loop: Header=BB18_7 Depth=2
	ds_write_b32 v52, v53 offset:64
; %bb.37:                               ;   in Loop: Header=BB18_7 Depth=2
	s_or_b64 exec, exec, s[4:5]
	v_cmp_le_i64_e64 s[10:11], s[52:53], v[0:1]
	v_lshl_add_u64 v[0:1], v[34:35], 0, v[42:43]
	s_nor_b64 s[12:13], s[10:11], vcc
	v_mov_b32_e32 v2, 0
	s_and_saveexec_b64 s[4:5], s[12:13]
	s_cbranch_execz .LBB18_39
; %bb.38:                               ;   in Loop: Header=BB18_7 Depth=2
	global_load_dword v2, v[0:1], off
.LBB18_39:                              ;   in Loop: Header=BB18_7 Depth=2
	s_or_b64 exec, exec, s[4:5]
	s_nor_b64 s[4:5], s[10:11], s[0:1]
	s_waitcnt vmcnt(0)
	ds_write_b32 v52, v2 offset:2048
	s_and_saveexec_b64 s[10:11], s[4:5]
	s_xor_b64 s[4:5], exec, s[10:11]
	s_cbranch_execz .LBB18_41
; %bb.40:                               ;   in Loop: Header=BB18_7 Depth=2
	global_load_dword v0, v[0:1], off offset:64
	s_waitcnt vmcnt(0)
	ds_write_b32 v52, v0 offset:2112
.LBB18_41:                              ;   in Loop: Header=BB18_7 Depth=2
	s_andn2_saveexec_b64 s[4:5], s[4:5]
	s_cbranch_execz .LBB18_6
; %bb.42:                               ;   in Loop: Header=BB18_7 Depth=2
	ds_write_b32 v52, v53 offset:2112
	s_branch .LBB18_6
.LBB18_43:                              ;   in Loop: Header=BB18_4 Depth=1
	v_mul_lo_u32 v2, s49, v22
	v_mul_lo_u32 v3, s48, v23
	v_mad_u64_u32 v[0:1], s[4:5], s48, v22, 0
	v_cmp_gt_i32_e64 s[6:7], s46, v22
	v_add3_u32 v1, v1, v3, v2
	v_lshl_add_u64 v[0:1], v[0:1], 2, s[34:35]
	s_and_b64 s[8:9], s[16:17], s[6:7]
	s_and_saveexec_b64 s[4:5], s[8:9]
	s_cbranch_execz .LBB18_45
; %bb.44:                               ;   in Loop: Header=BB18_4 Depth=1
	v_lshl_add_u64 v[2:3], v[12:13], 2, v[0:1]
	global_load_dword v4, v[2:3], off
	s_waitcnt vmcnt(0)
	v_fmac_f32_e32 v4, s33, v46
	global_store_dword v[2:3], v4, off
.LBB18_45:                              ;   in Loop: Header=BB18_4 Depth=1
	s_or_b64 exec, exec, s[4:5]
	s_and_b64 s[6:7], s[18:19], s[6:7]
	s_and_saveexec_b64 s[4:5], s[6:7]
	s_cbranch_execz .LBB18_47
; %bb.46:                               ;   in Loop: Header=BB18_4 Depth=1
	v_lshl_add_u64 v[0:1], v[14:15], 2, v[0:1]
	global_load_dword v2, v[0:1], off
	s_waitcnt vmcnt(0)
	v_fmac_f32_e32 v2, s33, v47
	global_store_dword v[0:1], v2, off
.LBB18_47:                              ;   in Loop: Header=BB18_4 Depth=1
	s_or_b64 exec, exec, s[4:5]
	v_add_u32_e32 v0, 16, v22
	v_ashrrev_i32_e32 v1, 31, v0
	v_cmp_gt_i32_e64 s[6:7], s46, v0
	v_mul_lo_u32 v2, s48, v1
	v_mul_lo_u32 v3, s49, v0
	v_mad_u64_u32 v[0:1], s[4:5], s48, v0, 0
	v_add3_u32 v1, v1, v2, v3
	v_lshl_add_u64 v[0:1], v[0:1], 2, s[34:35]
	s_and_b64 s[8:9], s[16:17], s[6:7]
	s_and_saveexec_b64 s[4:5], s[8:9]
	s_cbranch_execz .LBB18_49
; %bb.48:                               ;   in Loop: Header=BB18_4 Depth=1
	v_lshl_add_u64 v[2:3], v[12:13], 2, v[0:1]
	global_load_dword v4, v[2:3], off
	s_waitcnt vmcnt(0)
	v_fmac_f32_e32 v4, s33, v44
	global_store_dword v[2:3], v4, off
.LBB18_49:                              ;   in Loop: Header=BB18_4 Depth=1
	s_or_b64 exec, exec, s[4:5]
	s_and_b64 s[6:7], s[18:19], s[6:7]
	s_and_saveexec_b64 s[4:5], s[6:7]
	s_cbranch_execz .LBB18_3
; %bb.50:                               ;   in Loop: Header=BB18_4 Depth=1
	v_lshl_add_u64 v[0:1], v[14:15], 2, v[0:1]
	global_load_dword v2, v[0:1], off
	s_waitcnt vmcnt(0)
	v_fmac_f32_e32 v2, s33, v45
	global_store_dword v[0:1], v2, off
	s_branch .LBB18_3
.LBB18_51:
	s_endpgm
	.section	.rodata,"a",@progbits
	.p2align	6, 0x0
	.amdhsa_kernel _ZL30rocblas_trmm_outofplace_kernelIfLi32ELi2ELb0ELb1ELb1ELb0EPKfS0_fEv17rocblas_diagonal_iiT6_lPT7_lllS5_lllPT8_llli
		.amdhsa_group_segment_fixed_size 8192
		.amdhsa_private_segment_fixed_size 0
		.amdhsa_kernarg_size 392
		.amdhsa_user_sgpr_count 2
		.amdhsa_user_sgpr_dispatch_ptr 0
		.amdhsa_user_sgpr_queue_ptr 0
		.amdhsa_user_sgpr_kernarg_segment_ptr 1
		.amdhsa_user_sgpr_dispatch_id 0
		.amdhsa_user_sgpr_kernarg_preload_length 0
		.amdhsa_user_sgpr_kernarg_preload_offset 0
		.amdhsa_user_sgpr_private_segment_size 0
		.amdhsa_uses_dynamic_stack 0
		.amdhsa_enable_private_segment 0
		.amdhsa_system_sgpr_workgroup_id_x 1
		.amdhsa_system_sgpr_workgroup_id_y 1
		.amdhsa_system_sgpr_workgroup_id_z 1
		.amdhsa_system_sgpr_workgroup_info 0
		.amdhsa_system_vgpr_workitem_id 1
		.amdhsa_next_free_vgpr 92
		.amdhsa_next_free_sgpr 62
		.amdhsa_accum_offset 92
		.amdhsa_reserve_vcc 1
		.amdhsa_float_round_mode_32 0
		.amdhsa_float_round_mode_16_64 0
		.amdhsa_float_denorm_mode_32 3
		.amdhsa_float_denorm_mode_16_64 3
		.amdhsa_dx10_clamp 1
		.amdhsa_ieee_mode 1
		.amdhsa_fp16_overflow 0
		.amdhsa_tg_split 0
		.amdhsa_exception_fp_ieee_invalid_op 0
		.amdhsa_exception_fp_denorm_src 0
		.amdhsa_exception_fp_ieee_div_zero 0
		.amdhsa_exception_fp_ieee_overflow 0
		.amdhsa_exception_fp_ieee_underflow 0
		.amdhsa_exception_fp_ieee_inexact 0
		.amdhsa_exception_int_div_zero 0
	.end_amdhsa_kernel
	.section	.text._ZL30rocblas_trmm_outofplace_kernelIfLi32ELi2ELb0ELb1ELb1ELb0EPKfS0_fEv17rocblas_diagonal_iiT6_lPT7_lllS5_lllPT8_llli,"axG",@progbits,_ZL30rocblas_trmm_outofplace_kernelIfLi32ELi2ELb0ELb1ELb1ELb0EPKfS0_fEv17rocblas_diagonal_iiT6_lPT7_lllS5_lllPT8_llli,comdat
.Lfunc_end18:
	.size	_ZL30rocblas_trmm_outofplace_kernelIfLi32ELi2ELb0ELb1ELb1ELb0EPKfS0_fEv17rocblas_diagonal_iiT6_lPT7_lllS5_lllPT8_llli, .Lfunc_end18-_ZL30rocblas_trmm_outofplace_kernelIfLi32ELi2ELb0ELb1ELb1ELb0EPKfS0_fEv17rocblas_diagonal_iiT6_lPT7_lllS5_lllPT8_llli
                                        ; -- End function
	.set _ZL30rocblas_trmm_outofplace_kernelIfLi32ELi2ELb0ELb1ELb1ELb0EPKfS0_fEv17rocblas_diagonal_iiT6_lPT7_lllS5_lllPT8_llli.num_vgpr, 92
	.set _ZL30rocblas_trmm_outofplace_kernelIfLi32ELi2ELb0ELb1ELb1ELb0EPKfS0_fEv17rocblas_diagonal_iiT6_lPT7_lllS5_lllPT8_llli.num_agpr, 0
	.set _ZL30rocblas_trmm_outofplace_kernelIfLi32ELi2ELb0ELb1ELb1ELb0EPKfS0_fEv17rocblas_diagonal_iiT6_lPT7_lllS5_lllPT8_llli.numbered_sgpr, 62
	.set _ZL30rocblas_trmm_outofplace_kernelIfLi32ELi2ELb0ELb1ELb1ELb0EPKfS0_fEv17rocblas_diagonal_iiT6_lPT7_lllS5_lllPT8_llli.num_named_barrier, 0
	.set _ZL30rocblas_trmm_outofplace_kernelIfLi32ELi2ELb0ELb1ELb1ELb0EPKfS0_fEv17rocblas_diagonal_iiT6_lPT7_lllS5_lllPT8_llli.private_seg_size, 0
	.set _ZL30rocblas_trmm_outofplace_kernelIfLi32ELi2ELb0ELb1ELb1ELb0EPKfS0_fEv17rocblas_diagonal_iiT6_lPT7_lllS5_lllPT8_llli.uses_vcc, 1
	.set _ZL30rocblas_trmm_outofplace_kernelIfLi32ELi2ELb0ELb1ELb1ELb0EPKfS0_fEv17rocblas_diagonal_iiT6_lPT7_lllS5_lllPT8_llli.uses_flat_scratch, 0
	.set _ZL30rocblas_trmm_outofplace_kernelIfLi32ELi2ELb0ELb1ELb1ELb0EPKfS0_fEv17rocblas_diagonal_iiT6_lPT7_lllS5_lllPT8_llli.has_dyn_sized_stack, 0
	.set _ZL30rocblas_trmm_outofplace_kernelIfLi32ELi2ELb0ELb1ELb1ELb0EPKfS0_fEv17rocblas_diagonal_iiT6_lPT7_lllS5_lllPT8_llli.has_recursion, 0
	.set _ZL30rocblas_trmm_outofplace_kernelIfLi32ELi2ELb0ELb1ELb1ELb0EPKfS0_fEv17rocblas_diagonal_iiT6_lPT7_lllS5_lllPT8_llli.has_indirect_call, 0
	.section	.AMDGPU.csdata,"",@progbits
; Kernel info:
; codeLenInByte = 2892
; TotalNumSgprs: 68
; NumVgprs: 92
; NumAgprs: 0
; TotalNumVgprs: 92
; ScratchSize: 0
; MemoryBound: 0
; FloatMode: 240
; IeeeMode: 1
; LDSByteSize: 8192 bytes/workgroup (compile time only)
; SGPRBlocks: 8
; VGPRBlocks: 11
; NumSGPRsForWavesPerEU: 68
; NumVGPRsForWavesPerEU: 92
; AccumOffset: 92
; Occupancy: 5
; WaveLimiterHint : 0
; COMPUTE_PGM_RSRC2:SCRATCH_EN: 0
; COMPUTE_PGM_RSRC2:USER_SGPR: 2
; COMPUTE_PGM_RSRC2:TRAP_HANDLER: 0
; COMPUTE_PGM_RSRC2:TGID_X_EN: 1
; COMPUTE_PGM_RSRC2:TGID_Y_EN: 1
; COMPUTE_PGM_RSRC2:TGID_Z_EN: 1
; COMPUTE_PGM_RSRC2:TIDIG_COMP_CNT: 1
; COMPUTE_PGM_RSRC3_GFX90A:ACCUM_OFFSET: 22
; COMPUTE_PGM_RSRC3_GFX90A:TG_SPLIT: 0
	.section	.text._ZL30rocblas_trmm_outofplace_kernelIfLi32ELi2ELb0ELb1ELb1ELb0EfKffEv17rocblas_diagonal_iiT6_lPT7_lllS4_lllPT8_llli,"axG",@progbits,_ZL30rocblas_trmm_outofplace_kernelIfLi32ELi2ELb0ELb1ELb1ELb0EfKffEv17rocblas_diagonal_iiT6_lPT7_lllS4_lllPT8_llli,comdat
	.globl	_ZL30rocblas_trmm_outofplace_kernelIfLi32ELi2ELb0ELb1ELb1ELb0EfKffEv17rocblas_diagonal_iiT6_lPT7_lllS4_lllPT8_llli ; -- Begin function _ZL30rocblas_trmm_outofplace_kernelIfLi32ELi2ELb0ELb1ELb1ELb0EfKffEv17rocblas_diagonal_iiT6_lPT7_lllS4_lllPT8_llli
	.p2align	8
	.type	_ZL30rocblas_trmm_outofplace_kernelIfLi32ELi2ELb0ELb1ELb1ELb0EfKffEv17rocblas_diagonal_iiT6_lPT7_lllS4_lllPT8_llli,@function
_ZL30rocblas_trmm_outofplace_kernelIfLi32ELi2ELb0ELb1ELb1ELb0EfKffEv17rocblas_diagonal_iiT6_lPT7_lllS4_lllPT8_llli: ; @_ZL30rocblas_trmm_outofplace_kernelIfLi32ELi2ELb0ELb1ELb1ELb0EfKffEv17rocblas_diagonal_iiT6_lPT7_lllS4_lllPT8_llli
; %bb.0:
	s_load_dwordx4 s[24:27], s[0:1], 0x0
	s_waitcnt lgkmcnt(0)
	v_cmp_eq_f32_e64 s[6:7], s27, 0
	s_and_b64 vcc, exec, s[6:7]
	s_cbranch_vccnz .LBB19_51
; %bb.1:
	s_add_i32 s5, s26, -1
	s_ashr_i32 s6, s5, 31
	s_lshr_b32 s6, s6, 27
	s_add_i32 s5, s5, s6
	s_ashr_i32 s33, s5, 5
	s_cmp_gt_i32 s3, s33
	s_cbranch_scc1 .LBB19_51
; %bb.2:
	s_load_dwordx8 s[16:23], s[0:1], 0x58
	s_load_dwordx16 s[36:51], s[0:1], 0x18
	v_and_b32_e32 v2, 0x3ff, v0
	v_lshl_add_u32 v12, s2, 5, v2
	v_bfe_u32 v48, v0, 10, 10
	s_waitcnt lgkmcnt(0)
	s_mul_i32 s5, s23, s4
	s_mul_hi_u32 s7, s22, s4
	s_mul_i32 s6, s22, s4
	s_add_i32 s7, s7, s5
	s_lshl_b64 s[6:7], s[6:7], 2
	s_add_u32 s5, s16, s6
	s_addc_u32 s8, s17, s7
	s_lshl_b64 s[6:7], s[18:19], 2
	s_add_u32 s22, s5, s6
	s_addc_u32 s23, s8, s7
	s_cmpk_eq_i32 s24, 0x84
	s_cselect_b64 s[28:29], -1, 0
	s_ashr_i32 s2, s25, 31
	v_mov_b32_e32 v1, s2
	s_load_dword s2, s[0:1], 0x84
	s_ashr_i32 s31, s26, 31
	s_lshl_b64 s[34:35], s[40:41], 7
	s_lshl_b64 s[52:53], s[48:49], 7
	s_add_u32 s54, s26, -16
	s_addc_u32 s55, s31, -1
	s_lshl_b32 s5, s3, 5
	s_waitcnt lgkmcnt(0)
	s_lshl_b32 s58, s2, 5
	v_add_u32_e32 v14, 16, v12
	v_add_u32_e32 v16, s5, v2
	v_add_u32_e32 v18, s5, v48
	s_add_u32 s24, s44, 64
	s_mul_i32 s5, s51, s4
	s_mul_hi_u32 s6, s50, s4
	v_sub_co_u32_e32 v0, vcc, s25, v12
	v_cmp_gt_i32_e64 s[16:17], s25, v12
	v_cmp_gt_i32_e64 s[18:19], s25, v14
	s_addc_u32 s25, s45, 0
	s_add_i32 s7, s6, s5
	s_mul_i32 s6, s50, s4
	s_lshl_b64 s[56:57], s[48:49], 2
	s_lshl_b64 s[6:7], s[6:7], 2
	;; [unrolled: 1-line block ×3, first 2 shown]
	s_add_u32 s6, s6, s8
	v_ashrrev_i32_e32 v13, 31, v12
	s_addc_u32 s7, s7, s9
	v_lshl_add_u64 v[20:21], v[12:13], 2, s[6:7]
	s_mul_i32 s5, s43, s4
	s_mul_hi_u32 s6, s42, s4
	s_add_i32 s5, s6, s5
	s_mul_i32 s4, s42, s4
	s_lshl_b64 s[4:5], s[4:5], 2
	s_lshl_b64 s[6:7], s[38:39], 2
	s_add_u32 s4, s4, s6
	v_lshlrev_b32_e32 v3, 2, v2
	s_addc_u32 s5, s5, s7
	v_lshlrev_b32_e32 v49, 7, v48
	v_subb_co_u32_e32 v1, vcc, v1, v13, vcc
	v_or_b32_e32 v51, 0x1000, v3
	s_add_u32 s36, s36, s4
	s_mov_b32 s30, s26
	v_add_u32_e32 v50, v49, v3
	v_add_u32_e32 v52, v51, v49
	v_cmp_gt_i64_e32 vcc, 1, v[0:1]
	v_cmp_gt_i64_e64 s[0:1], 17, v[0:1]
	v_ashrrev_i32_e32 v15, 31, v14
	s_addc_u32 s37, s37, s5
	s_lshl_b64 s[38:39], s[40:41], 2
	v_mov_b32_e32 v53, 0
	v_mov_b32_e32 v54, 1.0
	s_branch .LBB19_4
.LBB19_3:                               ;   in Loop: Header=BB19_4 Depth=1
	s_or_b64 exec, exec, s[4:5]
	s_add_i32 s3, s2, s3
	v_add_u32_e32 v16, s58, v16
	s_cmp_le_i32 s3, s33
	v_add_u32_e32 v18, s58, v18
	s_cbranch_scc0 .LBB19_51
.LBB19_4:                               ; =>This Loop Header: Depth=1
                                        ;     Child Loop BB19_7 Depth 2
	s_lshl_b32 s4, s3, 5
	v_add_u32_e32 v22, s4, v48
	s_sub_i32 s59, s26, s4
	v_ashrrev_i32_e32 v17, 31, v16
	v_ashrrev_i32_e32 v19, 31, v18
	;; [unrolled: 1-line block ×3, first 2 shown]
	s_cmp_lt_i32 s59, 1
	v_mov_b32_e32 v47, 0
	v_mov_b32_e32 v46, 0
	;; [unrolled: 1-line block ×4, first 2 shown]
	s_cbranch_scc1 .LBB19_43
; %bb.5:                                ;   in Loop: Header=BB19_4 Depth=1
	v_sub_co_u32_e64 v24, s[4:5], v18, v16
	v_mov_b64_e32 v[0:1], s[24:25]
	s_nop 0
	v_subb_co_u32_e64 v25, s[4:5], v19, v17, s[4:5]
	v_mad_u64_u32 v[26:27], s[4:5], s56, v18, v[0:1]
	v_mul_lo_u32 v0, s56, v19
	v_mul_lo_u32 v1, s57, v18
	v_add3_u32 v27, v1, v27, v0
	v_lshl_add_u64 v[0:1], v[16:17], 2, 64
	v_mov_b64_e32 v[2:3], s[36:37]
	v_mul_lo_u32 v1, s40, v1
	v_mul_lo_u32 v4, s41, v0
	v_mad_u64_u32 v[30:31], s[4:5], s40, v0, v[2:3]
	v_lshlrev_b64 v[28:29], 2, v[18:19]
	v_add3_u32 v31, v4, v31, v1
	v_mad_u64_u32 v[32:33], s[4:5], s38, v16, v[2:3]
	v_mul_lo_u32 v0, s38, v17
	v_mul_lo_u32 v1, s39, v16
	v_add3_u32 v33, v1, v33, v0
	v_lshl_add_u64 v[0:1], v[28:29], 0, 64
	v_mov_b64_e32 v[2:3], s[44:45]
	v_mul_lo_u32 v1, s48, v1
	v_mul_lo_u32 v4, s49, v0
	v_mad_u64_u32 v[34:35], s[4:5], s48, v0, v[2:3]
	v_lshl_add_u64 v[36:37], v[22:23], 0, 16
	v_mov_b32_e32 v44, 0
	v_add3_u32 v35, v4, v35, v1
	v_cmp_le_i32_e64 s[6:7], s26, v22
	v_cmp_le_i64_e64 s[8:9], s[30:31], v[36:37]
	v_lshl_add_u64 v[38:39], v[24:25], 0, 16
	v_lshl_add_u64 v[40:41], v[24:25], 0, -16
	s_mov_b64 s[42:43], 0
	v_mov_b64_e32 v[42:43], v[20:21]
	v_mov_b32_e32 v45, v44
	v_mov_b32_e32 v46, v44
	;; [unrolled: 1-line block ×3, first 2 shown]
	s_branch .LBB19_7
.LBB19_6:                               ;   in Loop: Header=BB19_7 Depth=2
	s_or_b64 exec, exec, s[4:5]
	s_waitcnt lgkmcnt(0)
	s_barrier
	ds_read_b128 v[56:59], v49
	ds_read_b128 v[60:63], v49 offset:16
	ds_read_b128 v[4:7], v49 offset:32
	ds_read_b128 v[0:3], v49 offset:48
	ds_read2_b32 v[72:73], v51 offset1:16
	ds_read2_b32 v[74:75], v51 offset0:32 offset1:48
	ds_read2_b32 v[76:77], v51 offset0:64 offset1:80
	;; [unrolled: 1-line block ×4, first 2 shown]
	ds_read_b128 v[64:67], v49 offset:2048
	ds_read_b128 v[68:71], v49 offset:2064
	ds_read2_b32 v[82:83], v51 offset0:160 offset1:176
	ds_read2_b32 v[84:85], v51 offset0:192 offset1:208
	;; [unrolled: 1-line block ×3, first 2 shown]
	s_waitcnt lgkmcnt(9)
	v_pk_fma_f32 v[46:47], v[72:73], v[56:57], v[46:47] op_sel_hi:[1,0,1]
	v_add_u32_e32 v55, 0x400, v51
	s_waitcnt lgkmcnt(8)
	v_pk_fma_f32 v[46:47], v[74:75], v[56:57], v[46:47] op_sel:[0,1,0]
	v_mov_b32_e32 v56, v59
	s_waitcnt lgkmcnt(7)
	v_pk_fma_f32 v[46:47], v[76:77], v[58:59], v[46:47] op_sel_hi:[1,0,1]
	ds_read2_b32 v[88:89], v55 offset1:16
	ds_read_b128 v[8:11], v49 offset:2080
	s_waitcnt lgkmcnt(8)
	v_pk_fma_f32 v[46:47], v[78:79], v[56:57], v[46:47] op_sel_hi:[1,0,1]
	ds_read2_b32 v[58:59], v55 offset0:32 offset1:48
	s_waitcnt lgkmcnt(8)
	v_pk_fma_f32 v[46:47], v[80:81], v[60:61], v[46:47] op_sel_hi:[1,0,1]
	v_mov_b32_e32 v56, v63
	s_waitcnt lgkmcnt(5)
	v_pk_fma_f32 v[46:47], v[82:83], v[60:61], v[46:47] op_sel:[0,1,0]
	v_pk_fma_f32 v[44:45], v[72:73], v[64:65], v[44:45] op_sel_hi:[1,0,1]
	s_waitcnt lgkmcnt(4)
	v_pk_fma_f32 v[46:47], v[84:85], v[62:63], v[46:47] op_sel_hi:[1,0,1]
	v_pk_fma_f32 v[44:45], v[74:75], v[64:65], v[44:45] op_sel:[0,1,0]
	s_waitcnt lgkmcnt(3)
	v_pk_fma_f32 v[46:47], v[86:87], v[56:57], v[46:47] op_sel_hi:[1,0,1]
	v_pk_fma_f32 v[44:45], v[76:77], v[66:67], v[44:45] op_sel_hi:[1,0,1]
	s_waitcnt lgkmcnt(2)
	v_pk_fma_f32 v[46:47], v[88:89], v[4:5], v[46:47] op_sel_hi:[1,0,1]
	s_add_u32 s42, s42, 32
	s_waitcnt lgkmcnt(0)
	v_pk_fma_f32 v[4:5], v[58:59], v[4:5], v[46:47] op_sel:[0,1,0]
	v_mov_b32_e32 v46, v67
	v_pk_fma_f32 v[44:45], v[78:79], v[46:47], v[44:45] op_sel_hi:[1,0,1]
	v_mov_b32_e32 v46, v71
	v_pk_fma_f32 v[44:45], v[80:81], v[68:69], v[44:45] op_sel_hi:[1,0,1]
	s_addc_u32 s43, s43, 0
	v_pk_fma_f32 v[44:45], v[82:83], v[68:69], v[44:45] op_sel:[0,1,0]
	v_lshl_add_u64 v[42:43], v[42:43], 0, s[52:53]
	v_pk_fma_f32 v[44:45], v[84:85], v[70:71], v[44:45] op_sel_hi:[1,0,1]
	v_lshl_add_u64 v[30:31], v[30:31], 0, s[34:35]
	v_pk_fma_f32 v[56:57], v[86:87], v[46:47], v[44:45] op_sel_hi:[1,0,1]
	ds_read_b128 v[44:47], v49 offset:2096
	ds_read2_b32 v[64:65], v55 offset0:64 offset1:80
	ds_read2_b32 v[66:67], v55 offset0:96 offset1:112
	;; [unrolled: 1-line block ×6, first 2 shown]
	s_waitcnt lgkmcnt(5)
	v_pk_fma_f32 v[4:5], v[64:65], v[6:7], v[4:5] op_sel_hi:[1,0,1]
	v_mov_b32_e32 v6, v7
	s_waitcnt lgkmcnt(4)
	v_pk_fma_f32 v[4:5], v[66:67], v[6:7], v[4:5] op_sel_hi:[1,0,1]
	v_pk_fma_f32 v[56:57], v[88:89], v[8:9], v[56:57] op_sel_hi:[1,0,1]
	v_add_u32_e32 v55, 0x800, v51
	s_waitcnt lgkmcnt(3)
	v_pk_fma_f32 v[4:5], v[68:69], v[0:1], v[4:5] op_sel_hi:[1,0,1]
	v_pk_fma_f32 v[8:9], v[58:59], v[8:9], v[56:57] op_sel:[0,1,0]
	ds_read2_b32 v[76:77], v55 offset1:16
	ds_read2_b32 v[78:79], v55 offset0:32 offset1:48
	ds_read2_b32 v[80:81], v55 offset0:64 offset1:80
	ds_read2_b32 v[82:83], v55 offset0:96 offset1:112
	ds_read_b128 v[56:59], v49 offset:64
	ds_read_b128 v[60:63], v49 offset:80
	ds_read2_b32 v[84:85], v55 offset0:128 offset1:144
	s_waitcnt lgkmcnt(9)
	v_pk_fma_f32 v[0:1], v[70:71], v[0:1], v[4:5] op_sel:[0,1,0]
	v_pk_fma_f32 v[8:9], v[64:65], v[10:11], v[8:9] op_sel_hi:[1,0,1]
	s_waitcnt lgkmcnt(8)
	v_pk_fma_f32 v[0:1], v[72:73], v[2:3], v[0:1] op_sel_hi:[1,0,1]
	v_mov_b32_e32 v2, v3
	s_waitcnt lgkmcnt(7)
	v_pk_fma_f32 v[0:1], v[74:75], v[2:3], v[0:1] op_sel_hi:[1,0,1]
	s_waitcnt lgkmcnt(2)
	v_mov_b32_e32 v2, v59
	v_pk_fma_f32 v[0:1], v[76:77], v[56:57], v[0:1] op_sel_hi:[1,0,1]
	v_mov_b32_e32 v10, v11
	v_pk_fma_f32 v[0:1], v[78:79], v[56:57], v[0:1] op_sel:[0,1,0]
	v_pk_fma_f32 v[8:9], v[66:67], v[10:11], v[8:9] op_sel_hi:[1,0,1]
	v_pk_fma_f32 v[0:1], v[80:81], v[58:59], v[0:1] op_sel_hi:[1,0,1]
	;; [unrolled: 1-line block ×4, first 2 shown]
	v_pk_fma_f32 v[8:9], v[70:71], v[44:45], v[8:9] op_sel:[0,1,0]
	s_waitcnt lgkmcnt(0)
	v_pk_fma_f32 v[86:87], v[84:85], v[60:61], v[0:1] op_sel_hi:[1,0,1]
	ds_read_b128 v[0:3], v49 offset:2112
	ds_read_b128 v[4:7], v49 offset:2128
	v_pk_fma_f32 v[8:9], v[72:73], v[46:47], v[8:9] op_sel_hi:[1,0,1]
	v_mov_b32_e32 v10, v47
	v_pk_fma_f32 v[8:9], v[74:75], v[10:11], v[8:9] op_sel_hi:[1,0,1]
	ds_read2_b32 v[68:69], v55 offset0:160 offset1:176
	ds_read2_b32 v[70:71], v55 offset0:192 offset1:208
	;; [unrolled: 1-line block ×3, first 2 shown]
	s_waitcnt lgkmcnt(4)
	v_pk_fma_f32 v[8:9], v[76:77], v[0:1], v[8:9] op_sel_hi:[1,0,1]
	v_add_u32_e32 v46, 0xc00, v51
	v_pk_fma_f32 v[0:1], v[78:79], v[0:1], v[8:9] op_sel:[0,1,0]
	s_cmp_ge_i32 s42, s59
	v_pk_fma_f32 v[0:1], v[80:81], v[2:3], v[0:1] op_sel_hi:[1,0,1]
	v_mov_b32_e32 v2, v3
	v_pk_fma_f32 v[0:1], v[82:83], v[2:3], v[0:1] op_sel_hi:[1,0,1]
	v_lshl_add_u64 v[32:33], v[32:33], 0, s[34:35]
	s_waitcnt lgkmcnt(3)
	v_pk_fma_f32 v[44:45], v[84:85], v[4:5], v[0:1] op_sel_hi:[1,0,1]
	ds_read2_b32 v[74:75], v46 offset1:16
	ds_read2_b32 v[76:77], v46 offset0:32 offset1:48
	ds_read2_b32 v[78:79], v46 offset0:64 offset1:80
	;; [unrolled: 1-line block ×3, first 2 shown]
	ds_read_b128 v[0:3], v49 offset:96
	ds_read_b128 v[8:11], v49 offset:112
	ds_read2_b32 v[82:83], v46 offset0:128 offset1:144
	ds_read_b128 v[56:59], v49 offset:2144
	ds_read_b128 v[64:67], v49 offset:2160
	ds_read2_b32 v[84:85], v46 offset0:160 offset1:176
	ds_read2_b32 v[88:89], v46 offset0:192 offset1:208
	;; [unrolled: 1-line block ×3, first 2 shown]
	s_waitcnt lgkmcnt(14)
	v_pk_fma_f32 v[46:47], v[68:69], v[60:61], v[86:87] op_sel:[0,1,0]
	v_mov_b32_e32 v60, v63
	s_waitcnt lgkmcnt(13)
	v_pk_fma_f32 v[46:47], v[70:71], v[62:63], v[46:47] op_sel_hi:[1,0,1]
	s_waitcnt lgkmcnt(0)
	v_pk_fma_f32 v[46:47], v[72:73], v[60:61], v[46:47] op_sel_hi:[1,0,1]
	s_barrier
	v_pk_fma_f32 v[46:47], v[74:75], v[0:1], v[46:47] op_sel_hi:[1,0,1]
	s_nop 0
	v_pk_fma_f32 v[0:1], v[76:77], v[0:1], v[46:47] op_sel:[0,1,0]
	s_nop 0
	v_pk_fma_f32 v[0:1], v[78:79], v[2:3], v[0:1] op_sel_hi:[1,0,1]
	v_mov_b32_e32 v2, v3
	v_pk_fma_f32 v[0:1], v[80:81], v[2:3], v[0:1] op_sel_hi:[1,0,1]
	v_mov_b32_e32 v2, v11
	v_pk_fma_f32 v[0:1], v[82:83], v[8:9], v[0:1] op_sel_hi:[1,0,1]
	s_nop 0
	v_pk_fma_f32 v[0:1], v[84:85], v[8:9], v[0:1] op_sel:[0,1,0]
	s_nop 0
	v_pk_fma_f32 v[0:1], v[88:89], v[10:11], v[0:1] op_sel_hi:[1,0,1]
	s_nop 0
	v_pk_fma_f32 v[46:47], v[90:91], v[2:3], v[0:1] op_sel_hi:[1,0,1]
	v_pk_fma_f32 v[0:1], v[68:69], v[4:5], v[44:45] op_sel:[0,1,0]
	v_mov_b32_e32 v2, v7
	v_pk_fma_f32 v[0:1], v[70:71], v[6:7], v[0:1] op_sel_hi:[1,0,1]
	s_nop 0
	v_pk_fma_f32 v[0:1], v[72:73], v[2:3], v[0:1] op_sel_hi:[1,0,1]
	v_mov_b32_e32 v2, v59
	v_pk_fma_f32 v[0:1], v[74:75], v[56:57], v[0:1] op_sel_hi:[1,0,1]
	s_nop 0
	v_pk_fma_f32 v[0:1], v[76:77], v[56:57], v[0:1] op_sel:[0,1,0]
	s_nop 0
	v_pk_fma_f32 v[0:1], v[78:79], v[58:59], v[0:1] op_sel_hi:[1,0,1]
	s_nop 0
	v_pk_fma_f32 v[0:1], v[80:81], v[2:3], v[0:1] op_sel_hi:[1,0,1]
	v_mov_b32_e32 v2, v67
	v_pk_fma_f32 v[0:1], v[82:83], v[64:65], v[0:1] op_sel_hi:[1,0,1]
	s_nop 0
	v_pk_fma_f32 v[0:1], v[84:85], v[64:65], v[0:1] op_sel:[0,1,0]
	s_nop 0
	v_pk_fma_f32 v[0:1], v[88:89], v[66:67], v[0:1] op_sel_hi:[1,0,1]
	s_nop 0
	v_pk_fma_f32 v[44:45], v[90:91], v[2:3], v[0:1] op_sel_hi:[1,0,1]
	s_cbranch_scc1 .LBB19_43
.LBB19_7:                               ;   Parent Loop BB19_4 Depth=1
                                        ; =>  This Inner Loop Header: Depth=2
	v_lshl_add_u64 v[2:3], v[16:17], 0, s[42:43]
	v_cmp_eq_u64_e64 s[4:5], s[42:43], v[24:25]
	v_cmp_lt_i64_e64 s[10:11], v[2:3], v[22:23]
	s_and_b64 s[46:47], s[28:29], s[4:5]
	v_cmp_le_i64_e64 s[12:13], s[30:31], v[2:3]
	s_or_b64 s[4:5], s[6:7], s[10:11]
	s_or_b64 s[4:5], s[12:13], s[4:5]
	v_lshl_add_u64 v[0:1], v[32:33], 0, v[28:29]
	s_nor_b64 s[4:5], s[4:5], s[46:47]
                                        ; implicit-def: $vgpr4
	s_and_saveexec_b64 s[14:15], s[4:5]
	s_xor_b64 s[4:5], exec, s[14:15]
	s_cbranch_execz .LBB19_9
; %bb.8:                                ;   in Loop: Header=BB19_7 Depth=2
	global_load_dword v4, v[0:1], off
.LBB19_9:                               ;   in Loop: Header=BB19_7 Depth=2
	s_andn2_saveexec_b64 s[4:5], s[4:5]
	s_cbranch_execz .LBB19_11
; %bb.10:                               ;   in Loop: Header=BB19_7 Depth=2
	s_waitcnt vmcnt(0)
	v_cndmask_b32_e64 v4, 0, 1.0, s[46:47]
.LBB19_11:                              ;   in Loop: Header=BB19_7 Depth=2
	s_or_b64 exec, exec, s[4:5]
	s_waitcnt vmcnt(0)
	ds_write_b32 v50, v4
	v_lshl_add_u64 v[4:5], v[2:3], 0, 16
	v_cmp_eq_u64_e64 s[4:5], s[42:43], v[40:41]
	s_and_b64 s[50:51], s[28:29], s[4:5]
	v_cmp_lt_i64_e64 s[4:5], v[4:5], v[22:23]
	v_cmp_le_i64_e64 s[14:15], s[30:31], v[4:5]
	s_or_b64 s[4:5], s[6:7], s[4:5]
	s_or_b64 s[4:5], s[14:15], s[4:5]
	s_nor_b64 s[4:5], s[4:5], s[50:51]
	v_lshl_add_u64 v[4:5], v[30:31], 0, v[28:29]
	s_and_saveexec_b64 s[60:61], s[4:5]
	s_xor_b64 s[4:5], exec, s[60:61]
	s_cbranch_execz .LBB19_13
; %bb.12:                               ;   in Loop: Header=BB19_7 Depth=2
	global_load_dword v6, v[4:5], off
	s_waitcnt vmcnt(0)
	ds_write_b32 v50, v6 offset:64
.LBB19_13:                              ;   in Loop: Header=BB19_7 Depth=2
	s_andn2_saveexec_b64 s[4:5], s[4:5]
	s_cbranch_execz .LBB19_19
; %bb.14:                               ;   in Loop: Header=BB19_7 Depth=2
	s_xor_b64 s[50:51], s[50:51], -1
	s_and_saveexec_b64 s[60:61], s[50:51]
	s_xor_b64 s[50:51], exec, s[60:61]
; %bb.15:                               ;   in Loop: Header=BB19_7 Depth=2
	ds_write_b32 v50, v53 offset:64
; %bb.16:                               ;   in Loop: Header=BB19_7 Depth=2
	s_andn2_saveexec_b64 s[50:51], s[50:51]
; %bb.17:                               ;   in Loop: Header=BB19_7 Depth=2
	ds_write_b32 v50, v54 offset:64
; %bb.18:                               ;   in Loop: Header=BB19_7 Depth=2
	s_or_b64 exec, exec, s[50:51]
.LBB19_19:                              ;   in Loop: Header=BB19_7 Depth=2
	s_or_b64 exec, exec, s[4:5]
	v_cmp_eq_u64_e64 s[4:5], s[42:43], v[38:39]
	s_and_b64 s[50:51], s[28:29], s[4:5]
	v_cmp_lt_i64_e64 s[4:5], v[2:3], v[36:37]
	s_or_b64 s[4:5], s[8:9], s[4:5]
	s_or_b64 s[4:5], s[4:5], s[50:51]
	s_nor_b64 s[4:5], s[12:13], s[4:5]
                                        ; implicit-def: $vgpr2
	s_and_saveexec_b64 s[12:13], s[4:5]
	s_xor_b64 s[4:5], exec, s[12:13]
	s_cbranch_execz .LBB19_21
; %bb.20:                               ;   in Loop: Header=BB19_7 Depth=2
	global_load_dword v2, v[0:1], off offset:64
.LBB19_21:                              ;   in Loop: Header=BB19_7 Depth=2
	s_andn2_saveexec_b64 s[4:5], s[4:5]
	s_cbranch_execz .LBB19_23
; %bb.22:                               ;   in Loop: Header=BB19_7 Depth=2
	s_waitcnt vmcnt(0)
	v_cndmask_b32_e64 v2, 0, 1.0, s[50:51]
.LBB19_23:                              ;   in Loop: Header=BB19_7 Depth=2
	s_or_b64 exec, exec, s[4:5]
	s_or_b64 s[4:5], s[8:9], s[10:11]
	s_or_b64 s[4:5], s[14:15], s[4:5]
	s_nor_b64 s[4:5], s[4:5], s[46:47]
	s_waitcnt vmcnt(0)
	ds_write_b32 v50, v2 offset:2048
	s_and_saveexec_b64 s[10:11], s[4:5]
	s_xor_b64 s[4:5], exec, s[10:11]
	s_cbranch_execz .LBB19_25
; %bb.24:                               ;   in Loop: Header=BB19_7 Depth=2
	global_load_dword v0, v[4:5], off offset:64
	s_waitcnt vmcnt(0)
	ds_write_b32 v50, v0 offset:2112
.LBB19_25:                              ;   in Loop: Header=BB19_7 Depth=2
	s_andn2_saveexec_b64 s[4:5], s[4:5]
	s_cbranch_execz .LBB19_31
; %bb.26:                               ;   in Loop: Header=BB19_7 Depth=2
	s_xor_b64 s[10:11], s[46:47], -1
	s_and_saveexec_b64 s[12:13], s[10:11]
	s_xor_b64 s[10:11], exec, s[12:13]
; %bb.27:                               ;   in Loop: Header=BB19_7 Depth=2
	ds_write_b32 v50, v53 offset:2112
; %bb.28:                               ;   in Loop: Header=BB19_7 Depth=2
	s_andn2_saveexec_b64 s[10:11], s[10:11]
; %bb.29:                               ;   in Loop: Header=BB19_7 Depth=2
	ds_write_b32 v50, v54 offset:2112
; %bb.30:                               ;   in Loop: Header=BB19_7 Depth=2
	s_or_b64 exec, exec, s[10:11]
.LBB19_31:                              ;   in Loop: Header=BB19_7 Depth=2
	s_or_b64 exec, exec, s[4:5]
	v_lshl_add_u64 v[0:1], v[18:19], 0, s[42:43]
	v_cmp_le_i64_e64 s[10:11], s[30:31], v[0:1]
	v_lshl_add_u64 v[2:3], v[26:27], 0, v[42:43]
	s_nor_b64 s[12:13], s[10:11], vcc
	v_mov_b32_e32 v4, 0
	s_and_saveexec_b64 s[4:5], s[12:13]
	s_cbranch_execz .LBB19_33
; %bb.32:                               ;   in Loop: Header=BB19_7 Depth=2
	global_load_dword v4, v[2:3], off offset:-64
.LBB19_33:                              ;   in Loop: Header=BB19_7 Depth=2
	s_or_b64 exec, exec, s[4:5]
	s_nor_b64 s[4:5], s[10:11], s[0:1]
	s_waitcnt vmcnt(0)
	ds_write_b32 v52, v4
	s_and_saveexec_b64 s[10:11], s[4:5]
	s_xor_b64 s[4:5], exec, s[10:11]
	s_cbranch_execz .LBB19_35
; %bb.34:                               ;   in Loop: Header=BB19_7 Depth=2
	global_load_dword v2, v[2:3], off
	s_waitcnt vmcnt(0)
	ds_write_b32 v52, v2 offset:64
.LBB19_35:                              ;   in Loop: Header=BB19_7 Depth=2
	s_andn2_saveexec_b64 s[4:5], s[4:5]
; %bb.36:                               ;   in Loop: Header=BB19_7 Depth=2
	ds_write_b32 v52, v53 offset:64
; %bb.37:                               ;   in Loop: Header=BB19_7 Depth=2
	s_or_b64 exec, exec, s[4:5]
	v_cmp_le_i64_e64 s[10:11], s[54:55], v[0:1]
	v_lshl_add_u64 v[0:1], v[34:35], 0, v[42:43]
	s_nor_b64 s[12:13], s[10:11], vcc
	v_mov_b32_e32 v2, 0
	s_and_saveexec_b64 s[4:5], s[12:13]
	s_cbranch_execz .LBB19_39
; %bb.38:                               ;   in Loop: Header=BB19_7 Depth=2
	global_load_dword v2, v[0:1], off
.LBB19_39:                              ;   in Loop: Header=BB19_7 Depth=2
	s_or_b64 exec, exec, s[4:5]
	s_nor_b64 s[4:5], s[10:11], s[0:1]
	s_waitcnt vmcnt(0)
	ds_write_b32 v52, v2 offset:2048
	s_and_saveexec_b64 s[10:11], s[4:5]
	s_xor_b64 s[4:5], exec, s[10:11]
	s_cbranch_execz .LBB19_41
; %bb.40:                               ;   in Loop: Header=BB19_7 Depth=2
	global_load_dword v0, v[0:1], off offset:64
	s_waitcnt vmcnt(0)
	ds_write_b32 v52, v0 offset:2112
.LBB19_41:                              ;   in Loop: Header=BB19_7 Depth=2
	s_andn2_saveexec_b64 s[4:5], s[4:5]
	s_cbranch_execz .LBB19_6
; %bb.42:                               ;   in Loop: Header=BB19_7 Depth=2
	ds_write_b32 v52, v53 offset:2112
	s_branch .LBB19_6
.LBB19_43:                              ;   in Loop: Header=BB19_4 Depth=1
	v_mul_lo_u32 v2, s21, v22
	v_mul_lo_u32 v3, s20, v23
	v_mad_u64_u32 v[0:1], s[4:5], s20, v22, 0
	v_cmp_gt_i32_e64 s[6:7], s26, v22
	v_add3_u32 v1, v1, v3, v2
	v_lshl_add_u64 v[0:1], v[0:1], 2, s[22:23]
	s_and_b64 s[8:9], s[16:17], s[6:7]
	s_and_saveexec_b64 s[4:5], s[8:9]
	s_cbranch_execz .LBB19_45
; %bb.44:                               ;   in Loop: Header=BB19_4 Depth=1
	v_lshl_add_u64 v[2:3], v[12:13], 2, v[0:1]
	global_load_dword v4, v[2:3], off
	s_waitcnt vmcnt(0)
	v_fmac_f32_e32 v4, s27, v46
	global_store_dword v[2:3], v4, off
.LBB19_45:                              ;   in Loop: Header=BB19_4 Depth=1
	s_or_b64 exec, exec, s[4:5]
	s_and_b64 s[6:7], s[18:19], s[6:7]
	s_and_saveexec_b64 s[4:5], s[6:7]
	s_cbranch_execz .LBB19_47
; %bb.46:                               ;   in Loop: Header=BB19_4 Depth=1
	v_lshl_add_u64 v[0:1], v[14:15], 2, v[0:1]
	global_load_dword v2, v[0:1], off
	s_waitcnt vmcnt(0)
	v_fmac_f32_e32 v2, s27, v47
	global_store_dword v[0:1], v2, off
.LBB19_47:                              ;   in Loop: Header=BB19_4 Depth=1
	s_or_b64 exec, exec, s[4:5]
	v_add_u32_e32 v0, 16, v22
	v_ashrrev_i32_e32 v1, 31, v0
	v_cmp_gt_i32_e64 s[6:7], s26, v0
	v_mul_lo_u32 v2, s20, v1
	v_mul_lo_u32 v3, s21, v0
	v_mad_u64_u32 v[0:1], s[4:5], s20, v0, 0
	v_add3_u32 v1, v1, v2, v3
	v_lshl_add_u64 v[0:1], v[0:1], 2, s[22:23]
	s_and_b64 s[8:9], s[16:17], s[6:7]
	s_and_saveexec_b64 s[4:5], s[8:9]
	s_cbranch_execz .LBB19_49
; %bb.48:                               ;   in Loop: Header=BB19_4 Depth=1
	v_lshl_add_u64 v[2:3], v[12:13], 2, v[0:1]
	global_load_dword v4, v[2:3], off
	s_waitcnt vmcnt(0)
	v_fmac_f32_e32 v4, s27, v44
	global_store_dword v[2:3], v4, off
.LBB19_49:                              ;   in Loop: Header=BB19_4 Depth=1
	s_or_b64 exec, exec, s[4:5]
	s_and_b64 s[6:7], s[18:19], s[6:7]
	s_and_saveexec_b64 s[4:5], s[6:7]
	s_cbranch_execz .LBB19_3
; %bb.50:                               ;   in Loop: Header=BB19_4 Depth=1
	v_lshl_add_u64 v[0:1], v[14:15], 2, v[0:1]
	global_load_dword v2, v[0:1], off
	s_waitcnt vmcnt(0)
	v_fmac_f32_e32 v2, s27, v45
	global_store_dword v[0:1], v2, off
	s_branch .LBB19_3
.LBB19_51:
	s_endpgm
	.section	.rodata,"a",@progbits
	.p2align	6, 0x0
	.amdhsa_kernel _ZL30rocblas_trmm_outofplace_kernelIfLi32ELi2ELb0ELb1ELb1ELb0EfKffEv17rocblas_diagonal_iiT6_lPT7_lllS4_lllPT8_llli
		.amdhsa_group_segment_fixed_size 8192
		.amdhsa_private_segment_fixed_size 0
		.amdhsa_kernarg_size 384
		.amdhsa_user_sgpr_count 2
		.amdhsa_user_sgpr_dispatch_ptr 0
		.amdhsa_user_sgpr_queue_ptr 0
		.amdhsa_user_sgpr_kernarg_segment_ptr 1
		.amdhsa_user_sgpr_dispatch_id 0
		.amdhsa_user_sgpr_kernarg_preload_length 0
		.amdhsa_user_sgpr_kernarg_preload_offset 0
		.amdhsa_user_sgpr_private_segment_size 0
		.amdhsa_uses_dynamic_stack 0
		.amdhsa_enable_private_segment 0
		.amdhsa_system_sgpr_workgroup_id_x 1
		.amdhsa_system_sgpr_workgroup_id_y 1
		.amdhsa_system_sgpr_workgroup_id_z 1
		.amdhsa_system_sgpr_workgroup_info 0
		.amdhsa_system_vgpr_workitem_id 1
		.amdhsa_next_free_vgpr 92
		.amdhsa_next_free_sgpr 62
		.amdhsa_accum_offset 92
		.amdhsa_reserve_vcc 1
		.amdhsa_float_round_mode_32 0
		.amdhsa_float_round_mode_16_64 0
		.amdhsa_float_denorm_mode_32 3
		.amdhsa_float_denorm_mode_16_64 3
		.amdhsa_dx10_clamp 1
		.amdhsa_ieee_mode 1
		.amdhsa_fp16_overflow 0
		.amdhsa_tg_split 0
		.amdhsa_exception_fp_ieee_invalid_op 0
		.amdhsa_exception_fp_denorm_src 0
		.amdhsa_exception_fp_ieee_div_zero 0
		.amdhsa_exception_fp_ieee_overflow 0
		.amdhsa_exception_fp_ieee_underflow 0
		.amdhsa_exception_fp_ieee_inexact 0
		.amdhsa_exception_int_div_zero 0
	.end_amdhsa_kernel
	.section	.text._ZL30rocblas_trmm_outofplace_kernelIfLi32ELi2ELb0ELb1ELb1ELb0EfKffEv17rocblas_diagonal_iiT6_lPT7_lllS4_lllPT8_llli,"axG",@progbits,_ZL30rocblas_trmm_outofplace_kernelIfLi32ELi2ELb0ELb1ELb1ELb0EfKffEv17rocblas_diagonal_iiT6_lPT7_lllS4_lllPT8_llli,comdat
.Lfunc_end19:
	.size	_ZL30rocblas_trmm_outofplace_kernelIfLi32ELi2ELb0ELb1ELb1ELb0EfKffEv17rocblas_diagonal_iiT6_lPT7_lllS4_lllPT8_llli, .Lfunc_end19-_ZL30rocblas_trmm_outofplace_kernelIfLi32ELi2ELb0ELb1ELb1ELb0EfKffEv17rocblas_diagonal_iiT6_lPT7_lllS4_lllPT8_llli
                                        ; -- End function
	.set _ZL30rocblas_trmm_outofplace_kernelIfLi32ELi2ELb0ELb1ELb1ELb0EfKffEv17rocblas_diagonal_iiT6_lPT7_lllS4_lllPT8_llli.num_vgpr, 92
	.set _ZL30rocblas_trmm_outofplace_kernelIfLi32ELi2ELb0ELb1ELb1ELb0EfKffEv17rocblas_diagonal_iiT6_lPT7_lllS4_lllPT8_llli.num_agpr, 0
	.set _ZL30rocblas_trmm_outofplace_kernelIfLi32ELi2ELb0ELb1ELb1ELb0EfKffEv17rocblas_diagonal_iiT6_lPT7_lllS4_lllPT8_llli.numbered_sgpr, 62
	.set _ZL30rocblas_trmm_outofplace_kernelIfLi32ELi2ELb0ELb1ELb1ELb0EfKffEv17rocblas_diagonal_iiT6_lPT7_lllS4_lllPT8_llli.num_named_barrier, 0
	.set _ZL30rocblas_trmm_outofplace_kernelIfLi32ELi2ELb0ELb1ELb1ELb0EfKffEv17rocblas_diagonal_iiT6_lPT7_lllS4_lllPT8_llli.private_seg_size, 0
	.set _ZL30rocblas_trmm_outofplace_kernelIfLi32ELi2ELb0ELb1ELb1ELb0EfKffEv17rocblas_diagonal_iiT6_lPT7_lllS4_lllPT8_llli.uses_vcc, 1
	.set _ZL30rocblas_trmm_outofplace_kernelIfLi32ELi2ELb0ELb1ELb1ELb0EfKffEv17rocblas_diagonal_iiT6_lPT7_lllS4_lllPT8_llli.uses_flat_scratch, 0
	.set _ZL30rocblas_trmm_outofplace_kernelIfLi32ELi2ELb0ELb1ELb1ELb0EfKffEv17rocblas_diagonal_iiT6_lPT7_lllS4_lllPT8_llli.has_dyn_sized_stack, 0
	.set _ZL30rocblas_trmm_outofplace_kernelIfLi32ELi2ELb0ELb1ELb1ELb0EfKffEv17rocblas_diagonal_iiT6_lPT7_lllS4_lllPT8_llli.has_recursion, 0
	.set _ZL30rocblas_trmm_outofplace_kernelIfLi32ELi2ELb0ELb1ELb1ELb0EfKffEv17rocblas_diagonal_iiT6_lPT7_lllS4_lllPT8_llli.has_indirect_call, 0
	.section	.AMDGPU.csdata,"",@progbits
; Kernel info:
; codeLenInByte = 2848
; TotalNumSgprs: 68
; NumVgprs: 92
; NumAgprs: 0
; TotalNumVgprs: 92
; ScratchSize: 0
; MemoryBound: 0
; FloatMode: 240
; IeeeMode: 1
; LDSByteSize: 8192 bytes/workgroup (compile time only)
; SGPRBlocks: 8
; VGPRBlocks: 11
; NumSGPRsForWavesPerEU: 68
; NumVGPRsForWavesPerEU: 92
; AccumOffset: 92
; Occupancy: 5
; WaveLimiterHint : 0
; COMPUTE_PGM_RSRC2:SCRATCH_EN: 0
; COMPUTE_PGM_RSRC2:USER_SGPR: 2
; COMPUTE_PGM_RSRC2:TRAP_HANDLER: 0
; COMPUTE_PGM_RSRC2:TGID_X_EN: 1
; COMPUTE_PGM_RSRC2:TGID_Y_EN: 1
; COMPUTE_PGM_RSRC2:TGID_Z_EN: 1
; COMPUTE_PGM_RSRC2:TIDIG_COMP_CNT: 1
; COMPUTE_PGM_RSRC3_GFX90A:ACCUM_OFFSET: 22
; COMPUTE_PGM_RSRC3_GFX90A:TG_SPLIT: 0
	.section	.text._ZL30rocblas_trmm_outofplace_kernelIfLi32ELi2ELb0ELb0ELb1ELb1EPKfS0_fEv17rocblas_diagonal_iiT6_lPT7_lllS5_lllPT8_llli,"axG",@progbits,_ZL30rocblas_trmm_outofplace_kernelIfLi32ELi2ELb0ELb0ELb1ELb1EPKfS0_fEv17rocblas_diagonal_iiT6_lPT7_lllS5_lllPT8_llli,comdat
	.globl	_ZL30rocblas_trmm_outofplace_kernelIfLi32ELi2ELb0ELb0ELb1ELb1EPKfS0_fEv17rocblas_diagonal_iiT6_lPT7_lllS5_lllPT8_llli ; -- Begin function _ZL30rocblas_trmm_outofplace_kernelIfLi32ELi2ELb0ELb0ELb1ELb1EPKfS0_fEv17rocblas_diagonal_iiT6_lPT7_lllS5_lllPT8_llli
	.p2align	8
	.type	_ZL30rocblas_trmm_outofplace_kernelIfLi32ELi2ELb0ELb0ELb1ELb1EPKfS0_fEv17rocblas_diagonal_iiT6_lPT7_lllS5_lllPT8_llli,@function
_ZL30rocblas_trmm_outofplace_kernelIfLi32ELi2ELb0ELb0ELb1ELb1EPKfS0_fEv17rocblas_diagonal_iiT6_lPT7_lllS5_lllPT8_llli: ; @_ZL30rocblas_trmm_outofplace_kernelIfLi32ELi2ELb0ELb0ELb1ELb1EPKfS0_fEv17rocblas_diagonal_iiT6_lPT7_lllS5_lllPT8_llli
; %bb.0:
	s_load_dwordx16 s[16:31], s[0:1], 0x10
	s_waitcnt lgkmcnt(0)
	s_mul_i32 s5, s19, s4
	s_mul_hi_u32 s6, s18, s4
	s_add_i32 s7, s6, s5
	s_mul_i32 s6, s18, s4
	s_lshl_b64 s[6:7], s[6:7], 2
	s_add_u32 s6, s16, s6
	s_addc_u32 s7, s17, s7
	s_load_dword s33, s[6:7], 0x0
	s_waitcnt lgkmcnt(0)
	v_cmp_eq_f32_e64 s[6:7], s33, 0
	s_and_b64 vcc, exec, s[6:7]
	s_cbranch_vccnz .LBB20_51
; %bb.1:
	s_load_dwordx4 s[36:39], s[0:1], 0x0
	s_waitcnt lgkmcnt(0)
	s_add_i32 s5, s38, -1
	s_ashr_i32 s6, s5, 31
	s_lshr_b32 s6, s6, 27
	s_add_i32 s5, s5, s6
	s_ashr_i32 s46, s5, 5
	s_cmp_gt_i32 s3, s46
	s_cbranch_scc1 .LBB20_51
; %bb.2:
	s_mul_i32 s5, s27, s4
	s_mul_hi_u32 s6, s26, s4
	s_load_dwordx8 s[8:15], s[0:1], 0x50
	s_load_dwordx4 s[40:43], s[0:1], 0x70
	s_add_i32 s7, s6, s5
	s_mul_i32 s6, s26, s4
	s_lshl_b64 s[18:19], s[6:7], 2
	s_add_u32 s5, s20, s18
	s_addc_u32 s7, s21, s19
	s_lshl_b64 s[44:45], s[22:23], 2
	s_add_u32 s6, s5, s44
	s_waitcnt lgkmcnt(0)
	s_mul_i32 s5, s11, s4
	s_mul_hi_u32 s11, s10, s4
	s_addc_u32 s7, s7, s45
	s_add_i32 s11, s11, s5
	s_mul_i32 s10, s10, s4
	s_lshl_b64 s[10:11], s[10:11], 2
	s_add_u32 s5, s28, s10
	s_addc_u32 s16, s29, s11
	s_lshl_b64 s[10:11], s[30:31], 2
	s_add_u32 s10, s5, s10
	s_load_dword s47, s[0:1], 0x8c
	s_mul_i32 s0, s43, s4
	s_mul_hi_u32 s1, s42, s4
	s_addc_u32 s11, s16, s11
	s_add_i32 s1, s1, s0
	s_mul_i32 s0, s42, s4
	s_lshl_b64 s[0:1], s[0:1], 2
	s_add_u32 s4, s12, s0
	s_addc_u32 s5, s13, s1
	s_lshl_b64 s[0:1], s[14:15], 2
	s_add_u32 s22, s4, s0
	v_and_b32_e32 v14, 0x3ff, v0
	v_bfe_u32 v12, v0, 10, 10
	s_addc_u32 s23, s5, s1
	v_mad_u64_u32 v[0:1], s[0:1], s24, v14, 0
	v_mov_b32_e32 v2, v1
	v_mad_u64_u32 v[2:3], s[0:1], s25, v14, v[2:3]
	s_cmpk_eq_i32 s36, 0x84
	v_lshl_add_u32 v16, s2, 5, v14
	v_mov_b32_e32 v1, v2
	s_cselect_b64 s[26:27], -1, 0
	s_ashr_i32 s0, s37, 31
	v_ashrrev_i32_e32 v17, 31, v16
	v_lshl_add_u64 v[18:19], v[0:1], 2, s[6:7]
	v_mov_b32_e32 v1, s0
	v_sub_co_u32_e32 v0, vcc, s37, v16
	v_sub_co_u32_e64 v24, s[6:7], 0, v14
	s_nop 0
	v_subb_co_u32_e32 v1, vcc, v1, v17, vcc
	s_ashr_i32 s39, s38, 31
	s_lshl_b64 s[28:29], s[24:25], 7
	s_lshl_b64 s[30:31], s[8:9], 7
	v_cmp_gt_i64_e32 vcc, 1, v[0:1]
	v_cmp_gt_i64_e64 s[0:1], 17, v[0:1]
	v_subb_co_u32_e64 v25, s[6:7], 0, 0, s[6:7]
	v_mad_u64_u32 v[0:1], s[6:7], s8, v12, 0
	s_add_u32 s34, s38, -16
	v_mov_b32_e32 v2, v1
	s_addc_u32 s35, s39, -1
	s_waitcnt lgkmcnt(0)
	s_lshl_b32 s2, s47, 5
	v_mad_u64_u32 v[2:3], s[6:7], s9, v12, v[2:3]
	s_add_u32 s6, s20, s44
	s_addc_u32 s7, s21, s45
	s_add_u32 s6, s6, s18
	v_lshlrev_b32_e32 v4, 2, v14
	v_mov_b32_e32 v1, v2
	s_addc_u32 s7, s7, s19
	v_lshl_add_u64 v[28:29], v[0:1], 2, 64
	v_add_u32_e32 v2, 64, v4
	v_mov_b64_e32 v[0:1], s[6:7]
	v_mad_u64_u32 v[30:31], s[6:7], s24, v2, v[0:1]
	v_mov_b32_e32 v0, v31
	v_mad_u64_u32 v[0:1], s[6:7], s25, v2, v[0:1]
	v_lshl_add_u32 v1, v12, 2, 64
	v_mad_u64_u32 v[32:33], s[6:7], s8, v1, 0
	v_mov_b32_e32 v31, v0
	v_mov_b32_e32 v0, v33
	;; [unrolled: 1-line block ×3, first 2 shown]
	v_lshlrev_b32_e32 v56, 7, v12
	v_or_b32_e32 v58, 0x1000, v4
	v_add_u32_e32 v22, 16, v16
	v_mad_u64_u32 v[0:1], s[6:7], s9, v1, v[0:1]
	v_mov_b32_e32 v13, v15
	v_lshl_add_u64 v[20:21], v[16:17], 2, s[10:11]
	v_add_u32_e32 v57, v56, v4
	v_add_u32_e32 v59, v58, v56
	v_cmp_gt_i32_e64 s[16:17], s37, v16
	v_cmp_gt_i32_e64 s[4:5], s37, v22
	v_ashrrev_i32_e32 v23, 31, v22
	v_lshl_add_u32 v26, s3, 5, v12
	v_mov_b32_e32 v33, v0
	v_mov_b32_e32 v60, 1.0
	s_branch .LBB20_4
.LBB20_3:                               ;   in Loop: Header=BB20_4 Depth=1
	s_or_b64 exec, exec, s[6:7]
	s_add_i32 s3, s47, s3
	s_cmp_le_i32 s3, s46
	v_add_u32_e32 v26, s2, v26
	s_cbranch_scc0 .LBB20_51
.LBB20_4:                               ; =>This Loop Header: Depth=1
                                        ;     Child Loop BB20_7 Depth 2
	s_lshl_b32 s42, s3, 5
	v_add_u32_e32 v34, s42, v12
	v_ashrrev_i32_e32 v35, 31, v34
	s_cmp_lt_i32 s3, 0
	v_mov_b32_e32 v55, 0
	v_mov_b32_e32 v54, 0
	v_mov_b32_e32 v53, 0
	v_mov_b32_e32 v52, 0
	s_cbranch_scc1 .LBB20_43
; %bb.5:                                ;   in Loop: Header=BB20_4 Depth=1
	v_ashrrev_i32_e32 v27, 31, v26
	v_lshl_add_u64 v[36:37], v[24:25], 0, v[26:27]
	v_lshl_add_u64 v[40:41], v[34:35], 0, 16
	v_mov_b32_e32 v52, 0
	v_lshlrev_b64 v[38:39], 2, v[26:27]
	v_cmp_le_i32_e64 s[6:7], s38, v34
	v_cmp_le_i64_e64 s[8:9], s[38:39], v[40:41]
	v_lshl_add_u64 v[42:43], v[36:37], 0, 16
	v_lshl_add_u64 v[44:45], v[36:37], 0, -16
	s_mov_b64 s[20:21], 0
	v_mov_b64_e32 v[46:47], v[18:19]
	v_mov_b64_e32 v[48:49], v[30:31]
	;; [unrolled: 1-line block ×3, first 2 shown]
	v_mov_b32_e32 v53, v52
	v_mov_b32_e32 v54, v52
	;; [unrolled: 1-line block ×3, first 2 shown]
	s_branch .LBB20_7
.LBB20_6:                               ;   in Loop: Header=BB20_7 Depth=2
	s_or_b64 exec, exec, s[10:11]
	s_waitcnt lgkmcnt(0)
	s_barrier
	ds_read_b128 v[62:65], v56
	ds_read_b128 v[66:69], v56 offset:16
	ds_read_b128 v[4:7], v56 offset:32
	;; [unrolled: 1-line block ×3, first 2 shown]
	ds_read2_b32 v[78:79], v58 offset1:16
	ds_read2_b32 v[80:81], v58 offset0:32 offset1:48
	ds_read2_b32 v[82:83], v58 offset0:64 offset1:80
	ds_read2_b32 v[84:85], v58 offset0:96 offset1:112
	ds_read2_b32 v[86:87], v58 offset0:128 offset1:144
	ds_read_b128 v[70:73], v56 offset:2048
	ds_read_b128 v[74:77], v56 offset:2064
	ds_read2_b32 v[88:89], v58 offset0:160 offset1:176
	ds_read2_b32 v[90:91], v58 offset0:192 offset1:208
	;; [unrolled: 1-line block ×3, first 2 shown]
	s_waitcnt lgkmcnt(9)
	v_pk_fma_f32 v[54:55], v[78:79], v[62:63], v[54:55] op_sel_hi:[1,0,1]
	v_add_u32_e32 v27, 0x400, v58
	s_waitcnt lgkmcnt(8)
	v_pk_fma_f32 v[54:55], v[80:81], v[62:63], v[54:55] op_sel:[0,1,0]
	v_mov_b32_e32 v62, v65
	s_waitcnt lgkmcnt(7)
	v_pk_fma_f32 v[54:55], v[82:83], v[64:65], v[54:55] op_sel_hi:[1,0,1]
	ds_read2_b32 v[94:95], v27 offset1:16
	ds_read_b128 v[8:11], v56 offset:2080
	s_waitcnt lgkmcnt(8)
	v_pk_fma_f32 v[54:55], v[84:85], v[62:63], v[54:55] op_sel_hi:[1,0,1]
	ds_read2_b32 v[64:65], v27 offset0:32 offset1:48
	s_waitcnt lgkmcnt(8)
	v_pk_fma_f32 v[54:55], v[86:87], v[66:67], v[54:55] op_sel_hi:[1,0,1]
	v_mov_b32_e32 v62, v69
	s_waitcnt lgkmcnt(5)
	v_pk_fma_f32 v[54:55], v[88:89], v[66:67], v[54:55] op_sel:[0,1,0]
	v_pk_fma_f32 v[52:53], v[78:79], v[70:71], v[52:53] op_sel_hi:[1,0,1]
	s_waitcnt lgkmcnt(4)
	v_pk_fma_f32 v[54:55], v[90:91], v[68:69], v[54:55] op_sel_hi:[1,0,1]
	v_pk_fma_f32 v[52:53], v[80:81], v[70:71], v[52:53] op_sel:[0,1,0]
	s_waitcnt lgkmcnt(3)
	v_pk_fma_f32 v[54:55], v[92:93], v[62:63], v[54:55] op_sel_hi:[1,0,1]
	v_pk_fma_f32 v[52:53], v[82:83], v[72:73], v[52:53] op_sel_hi:[1,0,1]
	s_waitcnt lgkmcnt(2)
	v_pk_fma_f32 v[54:55], v[94:95], v[4:5], v[54:55] op_sel_hi:[1,0,1]
	s_add_u32 s20, s20, 32
	s_waitcnt lgkmcnt(0)
	v_pk_fma_f32 v[4:5], v[64:65], v[4:5], v[54:55] op_sel:[0,1,0]
	v_mov_b32_e32 v54, v73
	v_pk_fma_f32 v[52:53], v[84:85], v[54:55], v[52:53] op_sel_hi:[1,0,1]
	v_mov_b32_e32 v54, v77
	v_pk_fma_f32 v[52:53], v[86:87], v[74:75], v[52:53] op_sel_hi:[1,0,1]
	s_addc_u32 s21, s21, 0
	v_pk_fma_f32 v[52:53], v[88:89], v[74:75], v[52:53] op_sel:[0,1,0]
	s_sub_i32 s10, s20, 32
	v_pk_fma_f32 v[52:53], v[90:91], v[76:77], v[52:53] op_sel_hi:[1,0,1]
	v_lshl_add_u64 v[50:51], v[50:51], 0, s[30:31]
	v_pk_fma_f32 v[62:63], v[92:93], v[54:55], v[52:53] op_sel_hi:[1,0,1]
	ds_read_b128 v[52:55], v56 offset:2096
	ds_read2_b32 v[70:71], v27 offset0:64 offset1:80
	ds_read2_b32 v[72:73], v27 offset0:96 offset1:112
	;; [unrolled: 1-line block ×6, first 2 shown]
	s_waitcnt lgkmcnt(5)
	v_pk_fma_f32 v[4:5], v[70:71], v[6:7], v[4:5] op_sel_hi:[1,0,1]
	v_mov_b32_e32 v6, v7
	s_waitcnt lgkmcnt(4)
	v_pk_fma_f32 v[4:5], v[72:73], v[6:7], v[4:5] op_sel_hi:[1,0,1]
	v_pk_fma_f32 v[62:63], v[94:95], v[8:9], v[62:63] op_sel_hi:[1,0,1]
	v_add_u32_e32 v27, 0x800, v58
	s_waitcnt lgkmcnt(3)
	v_pk_fma_f32 v[4:5], v[74:75], v[0:1], v[4:5] op_sel_hi:[1,0,1]
	v_pk_fma_f32 v[8:9], v[64:65], v[8:9], v[62:63] op_sel:[0,1,0]
	ds_read2_b32 v[82:83], v27 offset1:16
	ds_read2_b32 v[84:85], v27 offset0:32 offset1:48
	ds_read2_b32 v[86:87], v27 offset0:64 offset1:80
	;; [unrolled: 1-line block ×3, first 2 shown]
	ds_read_b128 v[62:65], v56 offset:64
	ds_read_b128 v[66:69], v56 offset:80
	ds_read2_b32 v[90:91], v27 offset0:128 offset1:144
	s_waitcnt lgkmcnt(9)
	v_pk_fma_f32 v[0:1], v[76:77], v[0:1], v[4:5] op_sel:[0,1,0]
	v_pk_fma_f32 v[8:9], v[70:71], v[10:11], v[8:9] op_sel_hi:[1,0,1]
	s_waitcnt lgkmcnt(8)
	v_pk_fma_f32 v[0:1], v[78:79], v[2:3], v[0:1] op_sel_hi:[1,0,1]
	v_mov_b32_e32 v2, v3
	s_waitcnt lgkmcnt(7)
	v_pk_fma_f32 v[0:1], v[80:81], v[2:3], v[0:1] op_sel_hi:[1,0,1]
	s_waitcnt lgkmcnt(2)
	v_mov_b32_e32 v2, v65
	v_pk_fma_f32 v[0:1], v[82:83], v[62:63], v[0:1] op_sel_hi:[1,0,1]
	v_mov_b32_e32 v10, v11
	v_pk_fma_f32 v[0:1], v[84:85], v[62:63], v[0:1] op_sel:[0,1,0]
	v_pk_fma_f32 v[8:9], v[72:73], v[10:11], v[8:9] op_sel_hi:[1,0,1]
	v_pk_fma_f32 v[0:1], v[86:87], v[64:65], v[0:1] op_sel_hi:[1,0,1]
	;; [unrolled: 1-line block ×4, first 2 shown]
	v_pk_fma_f32 v[8:9], v[76:77], v[52:53], v[8:9] op_sel:[0,1,0]
	s_waitcnt lgkmcnt(0)
	v_pk_fma_f32 v[92:93], v[90:91], v[66:67], v[0:1] op_sel_hi:[1,0,1]
	ds_read_b128 v[0:3], v56 offset:2112
	ds_read_b128 v[4:7], v56 offset:2128
	v_pk_fma_f32 v[8:9], v[78:79], v[54:55], v[8:9] op_sel_hi:[1,0,1]
	v_mov_b32_e32 v10, v55
	ds_read2_b32 v[74:75], v27 offset0:160 offset1:176
	ds_read2_b32 v[76:77], v27 offset0:192 offset1:208
	;; [unrolled: 1-line block ×3, first 2 shown]
	v_pk_fma_f32 v[8:9], v[80:81], v[10:11], v[8:9] op_sel_hi:[1,0,1]
	v_add_u32_e32 v27, 0xc00, v58
	s_waitcnt lgkmcnt(4)
	v_pk_fma_f32 v[8:9], v[82:83], v[0:1], v[8:9] op_sel_hi:[1,0,1]
	s_waitcnt lgkmcnt(2)
	v_pk_fma_f32 v[54:55], v[74:75], v[66:67], v[92:93] op_sel:[0,1,0]
	v_pk_fma_f32 v[0:1], v[84:85], v[0:1], v[8:9] op_sel:[0,1,0]
	s_waitcnt lgkmcnt(1)
	v_pk_fma_f32 v[54:55], v[76:77], v[68:69], v[54:55] op_sel_hi:[1,0,1]
	v_pk_fma_f32 v[0:1], v[86:87], v[2:3], v[0:1] op_sel_hi:[1,0,1]
	v_mov_b32_e32 v2, v3
	v_mov_b32_e32 v66, v69
	v_pk_fma_f32 v[0:1], v[88:89], v[2:3], v[0:1] op_sel_hi:[1,0,1]
	s_waitcnt lgkmcnt(0)
	v_pk_fma_f32 v[54:55], v[78:79], v[66:67], v[54:55] op_sel_hi:[1,0,1]
	v_pk_fma_f32 v[52:53], v[90:91], v[4:5], v[0:1] op_sel_hi:[1,0,1]
	ds_read2_b32 v[80:81], v27 offset1:16
	ds_read2_b32 v[82:83], v27 offset0:32 offset1:48
	ds_read2_b32 v[84:85], v27 offset0:64 offset1:80
	;; [unrolled: 1-line block ×3, first 2 shown]
	ds_read_b128 v[0:3], v56 offset:96
	ds_read_b128 v[8:11], v56 offset:112
	ds_read2_b32 v[88:89], v27 offset0:128 offset1:144
	ds_read_b128 v[62:65], v56 offset:2144
	ds_read_b128 v[70:73], v56 offset:2160
	ds_read2_b32 v[90:91], v27 offset0:160 offset1:176
	ds_read2_b32 v[94:95], v27 offset0:192 offset1:208
	ds_read2_b32 v[96:97], v27 offset0:224 offset1:240
	s_waitcnt lgkmcnt(7)
	v_pk_fma_f32 v[54:55], v[80:81], v[0:1], v[54:55] op_sel_hi:[1,0,1]
	v_lshl_add_u64 v[48:49], v[48:49], 0, s[28:29]
	v_pk_fma_f32 v[0:1], v[82:83], v[0:1], v[54:55] op_sel:[0,1,0]
	s_cmp_ge_i32 s10, s42
	v_pk_fma_f32 v[0:1], v[84:85], v[2:3], v[0:1] op_sel_hi:[1,0,1]
	v_mov_b32_e32 v2, v3
	v_pk_fma_f32 v[0:1], v[86:87], v[2:3], v[0:1] op_sel_hi:[1,0,1]
	s_waitcnt lgkmcnt(6)
	v_mov_b32_e32 v2, v11
	s_waitcnt lgkmcnt(5)
	v_pk_fma_f32 v[0:1], v[88:89], v[8:9], v[0:1] op_sel_hi:[1,0,1]
	v_lshl_add_u64 v[46:47], v[46:47], 0, s[28:29]
	s_waitcnt lgkmcnt(2)
	v_pk_fma_f32 v[0:1], v[90:91], v[8:9], v[0:1] op_sel:[0,1,0]
	s_waitcnt lgkmcnt(0)
	v_pk_fma_f32 v[0:1], v[94:95], v[10:11], v[0:1] op_sel_hi:[1,0,1]
	s_barrier
	v_pk_fma_f32 v[54:55], v[96:97], v[2:3], v[0:1] op_sel_hi:[1,0,1]
	v_pk_fma_f32 v[0:1], v[74:75], v[4:5], v[52:53] op_sel:[0,1,0]
	v_mov_b32_e32 v2, v7
	v_pk_fma_f32 v[0:1], v[76:77], v[6:7], v[0:1] op_sel_hi:[1,0,1]
	s_nop 0
	v_pk_fma_f32 v[0:1], v[78:79], v[2:3], v[0:1] op_sel_hi:[1,0,1]
	v_mov_b32_e32 v2, v65
	v_pk_fma_f32 v[0:1], v[80:81], v[62:63], v[0:1] op_sel_hi:[1,0,1]
	s_nop 0
	v_pk_fma_f32 v[0:1], v[82:83], v[62:63], v[0:1] op_sel:[0,1,0]
	s_nop 0
	v_pk_fma_f32 v[0:1], v[84:85], v[64:65], v[0:1] op_sel_hi:[1,0,1]
	s_nop 0
	v_pk_fma_f32 v[0:1], v[86:87], v[2:3], v[0:1] op_sel_hi:[1,0,1]
	v_mov_b32_e32 v2, v73
	v_pk_fma_f32 v[0:1], v[88:89], v[70:71], v[0:1] op_sel_hi:[1,0,1]
	s_nop 0
	v_pk_fma_f32 v[0:1], v[90:91], v[70:71], v[0:1] op_sel:[0,1,0]
	s_nop 0
	v_pk_fma_f32 v[0:1], v[94:95], v[72:73], v[0:1] op_sel_hi:[1,0,1]
	s_nop 0
	v_pk_fma_f32 v[52:53], v[96:97], v[2:3], v[0:1] op_sel_hi:[1,0,1]
	s_cbranch_scc1 .LBB20_43
.LBB20_7:                               ;   Parent Loop BB20_4 Depth=1
                                        ; =>  This Inner Loop Header: Depth=2
	v_lshl_add_u64 v[2:3], v[14:15], 0, s[20:21]
	v_cmp_eq_u64_e64 s[10:11], s[20:21], v[36:37]
	s_and_b64 s[24:25], s[26:27], s[10:11]
	v_cmp_gt_i64_e64 s[10:11], v[2:3], v[34:35]
	s_or_b64 s[14:15], s[6:7], s[10:11]
	v_cmp_le_i64_e64 s[12:13], s[38:39], v[2:3]
	s_or_b64 s[14:15], s[14:15], s[24:25]
	v_lshl_add_u64 v[0:1], v[46:47], 0, v[38:39]
	s_nor_b64 s[14:15], s[12:13], s[14:15]
                                        ; implicit-def: $vgpr4
	s_and_saveexec_b64 s[18:19], s[14:15]
	s_xor_b64 s[14:15], exec, s[18:19]
	s_cbranch_execz .LBB20_9
; %bb.8:                                ;   in Loop: Header=BB20_7 Depth=2
	global_load_dword v4, v[0:1], off
.LBB20_9:                               ;   in Loop: Header=BB20_7 Depth=2
	s_andn2_saveexec_b64 s[14:15], s[14:15]
	s_cbranch_execz .LBB20_11
; %bb.10:                               ;   in Loop: Header=BB20_7 Depth=2
	s_waitcnt vmcnt(0)
	v_cndmask_b32_e64 v4, 0, 1.0, s[24:25]
.LBB20_11:                              ;   in Loop: Header=BB20_7 Depth=2
	s_or_b64 exec, exec, s[14:15]
	s_waitcnt vmcnt(0)
	ds_write_b32 v57, v4
	v_lshl_add_u64 v[4:5], v[2:3], 0, 16
	v_cmp_eq_u64_e64 s[14:15], s[20:21], v[44:45]
	v_cmp_gt_i64_e64 s[18:19], v[4:5], v[34:35]
	s_and_b64 s[36:37], s[26:27], s[14:15]
	s_or_b64 s[18:19], s[6:7], s[18:19]
	v_cmp_le_i64_e64 s[14:15], s[38:39], v[4:5]
	s_or_b64 s[18:19], s[18:19], s[36:37]
	s_nor_b64 s[18:19], s[14:15], s[18:19]
	v_lshl_add_u64 v[4:5], v[48:49], 0, v[38:39]
	s_and_saveexec_b64 s[44:45], s[18:19]
	s_xor_b64 s[18:19], exec, s[44:45]
	s_cbranch_execz .LBB20_13
; %bb.12:                               ;   in Loop: Header=BB20_7 Depth=2
	global_load_dword v6, v[4:5], off
	s_waitcnt vmcnt(0)
	ds_write_b32 v57, v6 offset:64
.LBB20_13:                              ;   in Loop: Header=BB20_7 Depth=2
	s_andn2_saveexec_b64 s[18:19], s[18:19]
	s_cbranch_execz .LBB20_19
; %bb.14:                               ;   in Loop: Header=BB20_7 Depth=2
	s_xor_b64 s[36:37], s[36:37], -1
	s_and_saveexec_b64 s[44:45], s[36:37]
	s_xor_b64 s[36:37], exec, s[44:45]
; %bb.15:                               ;   in Loop: Header=BB20_7 Depth=2
	ds_write_b32 v57, v15 offset:64
; %bb.16:                               ;   in Loop: Header=BB20_7 Depth=2
	s_andn2_saveexec_b64 s[36:37], s[36:37]
; %bb.17:                               ;   in Loop: Header=BB20_7 Depth=2
	ds_write_b32 v57, v60 offset:64
; %bb.18:                               ;   in Loop: Header=BB20_7 Depth=2
	s_or_b64 exec, exec, s[36:37]
.LBB20_19:                              ;   in Loop: Header=BB20_7 Depth=2
	s_or_b64 exec, exec, s[18:19]
	v_cmp_eq_u64_e64 s[18:19], s[20:21], v[42:43]
	s_and_b64 s[36:37], s[26:27], s[18:19]
	v_cmp_gt_i64_e64 s[18:19], v[2:3], v[40:41]
	s_or_b64 s[18:19], s[8:9], s[18:19]
	s_or_b64 s[18:19], s[18:19], s[36:37]
	s_nor_b64 s[12:13], s[12:13], s[18:19]
                                        ; implicit-def: $vgpr2
	s_and_saveexec_b64 s[18:19], s[12:13]
	s_xor_b64 s[12:13], exec, s[18:19]
	s_cbranch_execz .LBB20_21
; %bb.20:                               ;   in Loop: Header=BB20_7 Depth=2
	global_load_dword v2, v[0:1], off offset:64
.LBB20_21:                              ;   in Loop: Header=BB20_7 Depth=2
	s_andn2_saveexec_b64 s[12:13], s[12:13]
	s_cbranch_execz .LBB20_23
; %bb.22:                               ;   in Loop: Header=BB20_7 Depth=2
	s_waitcnt vmcnt(0)
	v_cndmask_b32_e64 v2, 0, 1.0, s[36:37]
.LBB20_23:                              ;   in Loop: Header=BB20_7 Depth=2
	s_or_b64 exec, exec, s[12:13]
	s_or_b64 s[10:11], s[8:9], s[10:11]
	s_or_b64 s[10:11], s[10:11], s[24:25]
	s_nor_b64 s[10:11], s[14:15], s[10:11]
	s_waitcnt vmcnt(0)
	ds_write_b32 v57, v2 offset:2048
	s_and_saveexec_b64 s[12:13], s[10:11]
	s_xor_b64 s[10:11], exec, s[12:13]
	s_cbranch_execz .LBB20_25
; %bb.24:                               ;   in Loop: Header=BB20_7 Depth=2
	global_load_dword v0, v[4:5], off offset:64
	s_waitcnt vmcnt(0)
	ds_write_b32 v57, v0 offset:2112
.LBB20_25:                              ;   in Loop: Header=BB20_7 Depth=2
	s_andn2_saveexec_b64 s[10:11], s[10:11]
	s_cbranch_execz .LBB20_31
; %bb.26:                               ;   in Loop: Header=BB20_7 Depth=2
	s_xor_b64 s[12:13], s[24:25], -1
	s_and_saveexec_b64 s[14:15], s[12:13]
	s_xor_b64 s[12:13], exec, s[14:15]
; %bb.27:                               ;   in Loop: Header=BB20_7 Depth=2
	ds_write_b32 v57, v15 offset:2112
; %bb.28:                               ;   in Loop: Header=BB20_7 Depth=2
	s_andn2_saveexec_b64 s[12:13], s[12:13]
; %bb.29:                               ;   in Loop: Header=BB20_7 Depth=2
	ds_write_b32 v57, v60 offset:2112
; %bb.30:                               ;   in Loop: Header=BB20_7 Depth=2
	s_or_b64 exec, exec, s[12:13]
.LBB20_31:                              ;   in Loop: Header=BB20_7 Depth=2
	s_or_b64 exec, exec, s[10:11]
	v_lshl_add_u64 v[0:1], v[12:13], 0, s[20:21]
	v_cmp_le_i64_e64 s[10:11], s[38:39], v[0:1]
	v_lshl_add_u64 v[2:3], v[50:51], 0, v[28:29]
	s_nor_b64 s[14:15], s[10:11], vcc
	v_mov_b32_e32 v4, 0
	s_and_saveexec_b64 s[12:13], s[14:15]
	s_cbranch_execz .LBB20_33
; %bb.32:                               ;   in Loop: Header=BB20_7 Depth=2
	global_load_dword v4, v[2:3], off offset:-64
.LBB20_33:                              ;   in Loop: Header=BB20_7 Depth=2
	s_or_b64 exec, exec, s[12:13]
	s_nor_b64 s[10:11], s[10:11], s[0:1]
	s_waitcnt vmcnt(0)
	ds_write_b32 v59, v4
	s_and_saveexec_b64 s[12:13], s[10:11]
	s_xor_b64 s[10:11], exec, s[12:13]
	s_cbranch_execz .LBB20_35
; %bb.34:                               ;   in Loop: Header=BB20_7 Depth=2
	global_load_dword v2, v[2:3], off
	s_waitcnt vmcnt(0)
	ds_write_b32 v59, v2 offset:64
.LBB20_35:                              ;   in Loop: Header=BB20_7 Depth=2
	s_andn2_saveexec_b64 s[10:11], s[10:11]
; %bb.36:                               ;   in Loop: Header=BB20_7 Depth=2
	ds_write_b32 v59, v15 offset:64
; %bb.37:                               ;   in Loop: Header=BB20_7 Depth=2
	s_or_b64 exec, exec, s[10:11]
	v_cmp_le_i64_e64 s[10:11], s[34:35], v[0:1]
	v_lshl_add_u64 v[0:1], v[50:51], 0, v[32:33]
	s_nor_b64 s[14:15], s[10:11], vcc
	v_mov_b32_e32 v2, 0
	s_and_saveexec_b64 s[12:13], s[14:15]
	s_cbranch_execz .LBB20_39
; %bb.38:                               ;   in Loop: Header=BB20_7 Depth=2
	global_load_dword v2, v[0:1], off
.LBB20_39:                              ;   in Loop: Header=BB20_7 Depth=2
	s_or_b64 exec, exec, s[12:13]
	s_nor_b64 s[10:11], s[10:11], s[0:1]
	s_waitcnt vmcnt(0)
	ds_write_b32 v59, v2 offset:2048
	s_and_saveexec_b64 s[12:13], s[10:11]
	s_xor_b64 s[10:11], exec, s[12:13]
	s_cbranch_execz .LBB20_41
; %bb.40:                               ;   in Loop: Header=BB20_7 Depth=2
	global_load_dword v0, v[0:1], off offset:64
	s_waitcnt vmcnt(0)
	ds_write_b32 v59, v0 offset:2112
.LBB20_41:                              ;   in Loop: Header=BB20_7 Depth=2
	s_andn2_saveexec_b64 s[10:11], s[10:11]
	s_cbranch_execz .LBB20_6
; %bb.42:                               ;   in Loop: Header=BB20_7 Depth=2
	ds_write_b32 v59, v15 offset:2112
	s_branch .LBB20_6
.LBB20_43:                              ;   in Loop: Header=BB20_4 Depth=1
	v_mul_lo_u32 v2, s41, v34
	v_mul_lo_u32 v3, s40, v35
	v_mad_u64_u32 v[0:1], s[8:9], s40, v34, 0
	v_cmp_gt_i32_e64 s[6:7], s38, v34
	v_add3_u32 v1, v1, v3, v2
	v_lshl_add_u64 v[0:1], v[0:1], 2, s[22:23]
	s_and_b64 s[10:11], s[16:17], s[6:7]
	s_and_saveexec_b64 s[8:9], s[10:11]
	s_cbranch_execz .LBB20_45
; %bb.44:                               ;   in Loop: Header=BB20_4 Depth=1
	v_lshl_add_u64 v[2:3], v[16:17], 2, v[0:1]
	global_load_dword v4, v[2:3], off
	s_waitcnt vmcnt(0)
	v_fmac_f32_e32 v4, s33, v54
	global_store_dword v[2:3], v4, off
.LBB20_45:                              ;   in Loop: Header=BB20_4 Depth=1
	s_or_b64 exec, exec, s[8:9]
	s_and_b64 s[8:9], s[4:5], s[6:7]
	s_and_saveexec_b64 s[6:7], s[8:9]
	s_cbranch_execz .LBB20_47
; %bb.46:                               ;   in Loop: Header=BB20_4 Depth=1
	v_lshl_add_u64 v[0:1], v[22:23], 2, v[0:1]
	global_load_dword v2, v[0:1], off
	s_waitcnt vmcnt(0)
	v_fmac_f32_e32 v2, s33, v55
	global_store_dword v[0:1], v2, off
.LBB20_47:                              ;   in Loop: Header=BB20_4 Depth=1
	s_or_b64 exec, exec, s[6:7]
	v_add_u32_e32 v0, 16, v34
	v_ashrrev_i32_e32 v1, 31, v0
	v_cmp_gt_i32_e64 s[6:7], s38, v0
	v_mul_lo_u32 v2, s40, v1
	v_mul_lo_u32 v3, s41, v0
	v_mad_u64_u32 v[0:1], s[8:9], s40, v0, 0
	v_add3_u32 v1, v1, v2, v3
	v_lshl_add_u64 v[0:1], v[0:1], 2, s[22:23]
	s_and_b64 s[10:11], s[16:17], s[6:7]
	s_and_saveexec_b64 s[8:9], s[10:11]
	s_cbranch_execz .LBB20_49
; %bb.48:                               ;   in Loop: Header=BB20_4 Depth=1
	v_lshl_add_u64 v[2:3], v[16:17], 2, v[0:1]
	global_load_dword v4, v[2:3], off
	s_waitcnt vmcnt(0)
	v_fmac_f32_e32 v4, s33, v52
	global_store_dword v[2:3], v4, off
.LBB20_49:                              ;   in Loop: Header=BB20_4 Depth=1
	s_or_b64 exec, exec, s[8:9]
	s_and_b64 s[8:9], s[4:5], s[6:7]
	s_and_saveexec_b64 s[6:7], s[8:9]
	s_cbranch_execz .LBB20_3
; %bb.50:                               ;   in Loop: Header=BB20_4 Depth=1
	v_lshl_add_u64 v[0:1], v[22:23], 2, v[0:1]
	global_load_dword v2, v[0:1], off
	s_waitcnt vmcnt(0)
	v_fmac_f32_e32 v2, s33, v53
	global_store_dword v[0:1], v2, off
	s_branch .LBB20_3
.LBB20_51:
	s_endpgm
	.section	.rodata,"a",@progbits
	.p2align	6, 0x0
	.amdhsa_kernel _ZL30rocblas_trmm_outofplace_kernelIfLi32ELi2ELb0ELb0ELb1ELb1EPKfS0_fEv17rocblas_diagonal_iiT6_lPT7_lllS5_lllPT8_llli
		.amdhsa_group_segment_fixed_size 8192
		.amdhsa_private_segment_fixed_size 0
		.amdhsa_kernarg_size 392
		.amdhsa_user_sgpr_count 2
		.amdhsa_user_sgpr_dispatch_ptr 0
		.amdhsa_user_sgpr_queue_ptr 0
		.amdhsa_user_sgpr_kernarg_segment_ptr 1
		.amdhsa_user_sgpr_dispatch_id 0
		.amdhsa_user_sgpr_kernarg_preload_length 0
		.amdhsa_user_sgpr_kernarg_preload_offset 0
		.amdhsa_user_sgpr_private_segment_size 0
		.amdhsa_uses_dynamic_stack 0
		.amdhsa_enable_private_segment 0
		.amdhsa_system_sgpr_workgroup_id_x 1
		.amdhsa_system_sgpr_workgroup_id_y 1
		.amdhsa_system_sgpr_workgroup_id_z 1
		.amdhsa_system_sgpr_workgroup_info 0
		.amdhsa_system_vgpr_workitem_id 1
		.amdhsa_next_free_vgpr 98
		.amdhsa_next_free_sgpr 48
		.amdhsa_accum_offset 100
		.amdhsa_reserve_vcc 1
		.amdhsa_float_round_mode_32 0
		.amdhsa_float_round_mode_16_64 0
		.amdhsa_float_denorm_mode_32 3
		.amdhsa_float_denorm_mode_16_64 3
		.amdhsa_dx10_clamp 1
		.amdhsa_ieee_mode 1
		.amdhsa_fp16_overflow 0
		.amdhsa_tg_split 0
		.amdhsa_exception_fp_ieee_invalid_op 0
		.amdhsa_exception_fp_denorm_src 0
		.amdhsa_exception_fp_ieee_div_zero 0
		.amdhsa_exception_fp_ieee_overflow 0
		.amdhsa_exception_fp_ieee_underflow 0
		.amdhsa_exception_fp_ieee_inexact 0
		.amdhsa_exception_int_div_zero 0
	.end_amdhsa_kernel
	.section	.text._ZL30rocblas_trmm_outofplace_kernelIfLi32ELi2ELb0ELb0ELb1ELb1EPKfS0_fEv17rocblas_diagonal_iiT6_lPT7_lllS5_lllPT8_llli,"axG",@progbits,_ZL30rocblas_trmm_outofplace_kernelIfLi32ELi2ELb0ELb0ELb1ELb1EPKfS0_fEv17rocblas_diagonal_iiT6_lPT7_lllS5_lllPT8_llli,comdat
.Lfunc_end20:
	.size	_ZL30rocblas_trmm_outofplace_kernelIfLi32ELi2ELb0ELb0ELb1ELb1EPKfS0_fEv17rocblas_diagonal_iiT6_lPT7_lllS5_lllPT8_llli, .Lfunc_end20-_ZL30rocblas_trmm_outofplace_kernelIfLi32ELi2ELb0ELb0ELb1ELb1EPKfS0_fEv17rocblas_diagonal_iiT6_lPT7_lllS5_lllPT8_llli
                                        ; -- End function
	.set _ZL30rocblas_trmm_outofplace_kernelIfLi32ELi2ELb0ELb0ELb1ELb1EPKfS0_fEv17rocblas_diagonal_iiT6_lPT7_lllS5_lllPT8_llli.num_vgpr, 98
	.set _ZL30rocblas_trmm_outofplace_kernelIfLi32ELi2ELb0ELb0ELb1ELb1EPKfS0_fEv17rocblas_diagonal_iiT6_lPT7_lllS5_lllPT8_llli.num_agpr, 0
	.set _ZL30rocblas_trmm_outofplace_kernelIfLi32ELi2ELb0ELb0ELb1ELb1EPKfS0_fEv17rocblas_diagonal_iiT6_lPT7_lllS5_lllPT8_llli.numbered_sgpr, 48
	.set _ZL30rocblas_trmm_outofplace_kernelIfLi32ELi2ELb0ELb0ELb1ELb1EPKfS0_fEv17rocblas_diagonal_iiT6_lPT7_lllS5_lllPT8_llli.num_named_barrier, 0
	.set _ZL30rocblas_trmm_outofplace_kernelIfLi32ELi2ELb0ELb0ELb1ELb1EPKfS0_fEv17rocblas_diagonal_iiT6_lPT7_lllS5_lllPT8_llli.private_seg_size, 0
	.set _ZL30rocblas_trmm_outofplace_kernelIfLi32ELi2ELb0ELb0ELb1ELb1EPKfS0_fEv17rocblas_diagonal_iiT6_lPT7_lllS5_lllPT8_llli.uses_vcc, 1
	.set _ZL30rocblas_trmm_outofplace_kernelIfLi32ELi2ELb0ELb0ELb1ELb1EPKfS0_fEv17rocblas_diagonal_iiT6_lPT7_lllS5_lllPT8_llli.uses_flat_scratch, 0
	.set _ZL30rocblas_trmm_outofplace_kernelIfLi32ELi2ELb0ELb0ELb1ELb1EPKfS0_fEv17rocblas_diagonal_iiT6_lPT7_lllS5_lllPT8_llli.has_dyn_sized_stack, 0
	.set _ZL30rocblas_trmm_outofplace_kernelIfLi32ELi2ELb0ELb0ELb1ELb1EPKfS0_fEv17rocblas_diagonal_iiT6_lPT7_lllS5_lllPT8_llli.has_recursion, 0
	.set _ZL30rocblas_trmm_outofplace_kernelIfLi32ELi2ELb0ELb0ELb1ELb1EPKfS0_fEv17rocblas_diagonal_iiT6_lPT7_lllS5_lllPT8_llli.has_indirect_call, 0
	.section	.AMDGPU.csdata,"",@progbits
; Kernel info:
; codeLenInByte = 2880
; TotalNumSgprs: 54
; NumVgprs: 98
; NumAgprs: 0
; TotalNumVgprs: 98
; ScratchSize: 0
; MemoryBound: 0
; FloatMode: 240
; IeeeMode: 1
; LDSByteSize: 8192 bytes/workgroup (compile time only)
; SGPRBlocks: 6
; VGPRBlocks: 12
; NumSGPRsForWavesPerEU: 54
; NumVGPRsForWavesPerEU: 98
; AccumOffset: 100
; Occupancy: 4
; WaveLimiterHint : 0
; COMPUTE_PGM_RSRC2:SCRATCH_EN: 0
; COMPUTE_PGM_RSRC2:USER_SGPR: 2
; COMPUTE_PGM_RSRC2:TRAP_HANDLER: 0
; COMPUTE_PGM_RSRC2:TGID_X_EN: 1
; COMPUTE_PGM_RSRC2:TGID_Y_EN: 1
; COMPUTE_PGM_RSRC2:TGID_Z_EN: 1
; COMPUTE_PGM_RSRC2:TIDIG_COMP_CNT: 1
; COMPUTE_PGM_RSRC3_GFX90A:ACCUM_OFFSET: 24
; COMPUTE_PGM_RSRC3_GFX90A:TG_SPLIT: 0
	.section	.text._ZL30rocblas_trmm_outofplace_kernelIfLi32ELi2ELb0ELb0ELb1ELb1EfKffEv17rocblas_diagonal_iiT6_lPT7_lllS4_lllPT8_llli,"axG",@progbits,_ZL30rocblas_trmm_outofplace_kernelIfLi32ELi2ELb0ELb0ELb1ELb1EfKffEv17rocblas_diagonal_iiT6_lPT7_lllS4_lllPT8_llli,comdat
	.globl	_ZL30rocblas_trmm_outofplace_kernelIfLi32ELi2ELb0ELb0ELb1ELb1EfKffEv17rocblas_diagonal_iiT6_lPT7_lllS4_lllPT8_llli ; -- Begin function _ZL30rocblas_trmm_outofplace_kernelIfLi32ELi2ELb0ELb0ELb1ELb1EfKffEv17rocblas_diagonal_iiT6_lPT7_lllS4_lllPT8_llli
	.p2align	8
	.type	_ZL30rocblas_trmm_outofplace_kernelIfLi32ELi2ELb0ELb0ELb1ELb1EfKffEv17rocblas_diagonal_iiT6_lPT7_lllS4_lllPT8_llli,@function
_ZL30rocblas_trmm_outofplace_kernelIfLi32ELi2ELb0ELb0ELb1ELb1EfKffEv17rocblas_diagonal_iiT6_lPT7_lllS4_lllPT8_llli: ; @_ZL30rocblas_trmm_outofplace_kernelIfLi32ELi2ELb0ELb0ELb1ELb1EfKffEv17rocblas_diagonal_iiT6_lPT7_lllS4_lllPT8_llli
; %bb.0:
	s_load_dwordx4 s[36:39], s[0:1], 0x0
	s_waitcnt lgkmcnt(0)
	v_cmp_eq_f32_e64 s[6:7], s39, 0
	s_and_b64 vcc, exec, s[6:7]
	s_cbranch_vccnz .LBB21_51
; %bb.1:
	s_add_i32 s5, s38, -1
	s_ashr_i32 s6, s5, 31
	s_lshr_b32 s6, s6, 27
	s_add_i32 s5, s5, s6
	s_ashr_i32 s33, s5, 5
	s_cmp_gt_i32 s3, s33
	s_cbranch_scc1 .LBB21_51
; %bb.2:
	s_load_dwordx16 s[8:23], s[0:1], 0x18
	s_load_dwordx8 s[24:31], s[0:1], 0x58
	v_and_b32_e32 v14, 0x3ff, v0
	v_bfe_u32 v12, v0, 10, 10
	v_lshl_add_u32 v16, s2, 5, v14
	s_waitcnt lgkmcnt(0)
	s_mul_i32 s5, s15, s4
	s_mul_hi_u32 s7, s14, s4
	s_mul_i32 s6, s14, s4
	s_add_i32 s7, s7, s5
	s_lshl_b64 s[14:15], s[6:7], 2
	s_add_u32 s5, s8, s14
	s_addc_u32 s7, s9, s15
	s_lshl_b64 s[10:11], s[10:11], 2
	s_add_u32 s6, s5, s10
	s_mul_i32 s5, s23, s4
	s_mul_hi_u32 s23, s22, s4
	s_addc_u32 s7, s7, s11
	s_add_i32 s23, s23, s5
	s_mul_i32 s22, s22, s4
	s_lshl_b64 s[22:23], s[22:23], 2
	s_add_u32 s5, s16, s22
	s_addc_u32 s22, s17, s23
	s_lshl_b64 s[16:17], s[18:19], 2
	s_add_u32 s16, s5, s16
	s_mul_i32 s5, s31, s4
	s_mul_hi_u32 s18, s30, s4
	s_addc_u32 s17, s22, s17
	s_add_i32 s5, s18, s5
	s_mul_i32 s4, s30, s4
	s_lshl_b64 s[4:5], s[4:5], 2
	s_add_u32 s18, s24, s4
	s_addc_u32 s19, s25, s5
	s_lshl_b64 s[4:5], s[26:27], 2
	s_add_u32 s22, s18, s4
	s_addc_u32 s23, s19, s5
	v_mad_u64_u32 v[0:1], s[4:5], s12, v14, 0
	v_mov_b32_e32 v2, v1
	v_mad_u64_u32 v[2:3], s[4:5], s13, v14, v[2:3]
	s_cmpk_eq_i32 s36, 0x84
	v_mov_b32_e32 v1, v2
	s_cselect_b64 s[24:25], -1, 0
	s_ashr_i32 s2, s37, 31
	v_lshl_add_u64 v[18:19], v[0:1], 2, s[6:7]
	v_mov_b32_e32 v1, s2
	s_load_dword s2, s[0:1], 0x84
	v_ashrrev_i32_e32 v17, 31, v16
	v_sub_co_u32_e32 v0, vcc, s37, v16
	v_sub_co_u32_e64 v24, s[6:7], 0, v14
	s_nop 0
	v_subb_co_u32_e32 v1, vcc, v1, v17, vcc
	s_ashr_i32 s27, s38, 31
	s_lshl_b64 s[30:31], s[12:13], 7
	s_lshl_b64 s[34:35], s[20:21], 7
	v_cmp_gt_i64_e32 vcc, 1, v[0:1]
	v_cmp_gt_i64_e64 s[0:1], 17, v[0:1]
	v_subb_co_u32_e64 v25, s[6:7], 0, 0, s[6:7]
	v_mad_u64_u32 v[0:1], s[6:7], s20, v12, 0
	s_add_u32 s40, s38, -16
	v_mov_b32_e32 v2, v1
	s_addc_u32 s41, s27, -1
	s_waitcnt lgkmcnt(0)
	s_lshl_b32 s44, s2, 5
	v_mad_u64_u32 v[2:3], s[6:7], s21, v12, v[2:3]
	s_add_u32 s6, s8, s10
	s_addc_u32 s7, s9, s11
	s_add_u32 s6, s6, s14
	v_lshlrev_b32_e32 v4, 2, v14
	v_mov_b32_e32 v1, v2
	s_addc_u32 s7, s7, s15
	v_lshl_add_u64 v[28:29], v[0:1], 2, 64
	v_add_u32_e32 v2, 64, v4
	v_mov_b64_e32 v[0:1], s[6:7]
	v_mad_u64_u32 v[30:31], s[6:7], s12, v2, v[0:1]
	v_mov_b32_e32 v0, v31
	v_mad_u64_u32 v[0:1], s[6:7], s13, v2, v[0:1]
	v_lshl_add_u32 v1, v12, 2, 64
	v_mad_u64_u32 v[32:33], s[6:7], s20, v1, 0
	v_mov_b32_e32 v31, v0
	v_mov_b32_e32 v0, v33
	;; [unrolled: 1-line block ×3, first 2 shown]
	v_lshlrev_b32_e32 v56, 7, v12
	v_or_b32_e32 v58, 0x1000, v4
	v_add_u32_e32 v22, 16, v16
	v_mad_u64_u32 v[0:1], s[6:7], s21, v1, v[0:1]
	v_mov_b32_e32 v13, v15
	v_lshl_add_u64 v[20:21], v[16:17], 2, s[16:17]
	s_mov_b32 s26, s38
	v_add_u32_e32 v57, v56, v4
	v_add_u32_e32 v59, v58, v56
	v_cmp_gt_i32_e64 s[16:17], s37, v16
	v_cmp_gt_i32_e64 s[4:5], s37, v22
	v_ashrrev_i32_e32 v23, 31, v22
	v_lshl_add_u32 v26, s3, 5, v12
	v_mov_b32_e32 v33, v0
	v_mov_b32_e32 v60, 1.0
	s_branch .LBB21_4
.LBB21_3:                               ;   in Loop: Header=BB21_4 Depth=1
	s_or_b64 exec, exec, s[6:7]
	s_add_i32 s3, s2, s3
	s_cmp_le_i32 s3, s33
	v_add_u32_e32 v26, s44, v26
	s_cbranch_scc0 .LBB21_51
.LBB21_4:                               ; =>This Loop Header: Depth=1
                                        ;     Child Loop BB21_7 Depth 2
	s_lshl_b32 s45, s3, 5
	v_add_u32_e32 v34, s45, v12
	v_ashrrev_i32_e32 v35, 31, v34
	s_cmp_lt_i32 s3, 0
	v_mov_b32_e32 v55, 0
	v_mov_b32_e32 v54, 0
	v_mov_b32_e32 v53, 0
	v_mov_b32_e32 v52, 0
	s_cbranch_scc1 .LBB21_43
; %bb.5:                                ;   in Loop: Header=BB21_4 Depth=1
	v_ashrrev_i32_e32 v27, 31, v26
	v_lshl_add_u64 v[36:37], v[24:25], 0, v[26:27]
	v_lshl_add_u64 v[40:41], v[34:35], 0, 16
	v_mov_b32_e32 v52, 0
	v_lshlrev_b64 v[38:39], 2, v[26:27]
	v_cmp_le_i32_e64 s[6:7], s38, v34
	v_cmp_le_i64_e64 s[8:9], s[26:27], v[40:41]
	v_lshl_add_u64 v[42:43], v[36:37], 0, 16
	v_lshl_add_u64 v[44:45], v[36:37], 0, -16
	s_mov_b64 s[20:21], 0
	v_mov_b64_e32 v[46:47], v[18:19]
	v_mov_b64_e32 v[48:49], v[30:31]
	;; [unrolled: 1-line block ×3, first 2 shown]
	v_mov_b32_e32 v53, v52
	v_mov_b32_e32 v54, v52
	;; [unrolled: 1-line block ×3, first 2 shown]
	s_branch .LBB21_7
.LBB21_6:                               ;   in Loop: Header=BB21_7 Depth=2
	s_or_b64 exec, exec, s[10:11]
	s_waitcnt lgkmcnt(0)
	s_barrier
	ds_read_b128 v[62:65], v56
	ds_read_b128 v[66:69], v56 offset:16
	ds_read_b128 v[4:7], v56 offset:32
	;; [unrolled: 1-line block ×3, first 2 shown]
	ds_read2_b32 v[78:79], v58 offset1:16
	ds_read2_b32 v[80:81], v58 offset0:32 offset1:48
	ds_read2_b32 v[82:83], v58 offset0:64 offset1:80
	ds_read2_b32 v[84:85], v58 offset0:96 offset1:112
	ds_read2_b32 v[86:87], v58 offset0:128 offset1:144
	ds_read_b128 v[70:73], v56 offset:2048
	ds_read_b128 v[74:77], v56 offset:2064
	ds_read2_b32 v[88:89], v58 offset0:160 offset1:176
	ds_read2_b32 v[90:91], v58 offset0:192 offset1:208
	;; [unrolled: 1-line block ×3, first 2 shown]
	s_waitcnt lgkmcnt(9)
	v_pk_fma_f32 v[54:55], v[78:79], v[62:63], v[54:55] op_sel_hi:[1,0,1]
	v_add_u32_e32 v27, 0x400, v58
	s_waitcnt lgkmcnt(8)
	v_pk_fma_f32 v[54:55], v[80:81], v[62:63], v[54:55] op_sel:[0,1,0]
	v_mov_b32_e32 v62, v65
	s_waitcnt lgkmcnt(7)
	v_pk_fma_f32 v[54:55], v[82:83], v[64:65], v[54:55] op_sel_hi:[1,0,1]
	ds_read2_b32 v[94:95], v27 offset1:16
	ds_read_b128 v[8:11], v56 offset:2080
	s_waitcnt lgkmcnt(8)
	v_pk_fma_f32 v[54:55], v[84:85], v[62:63], v[54:55] op_sel_hi:[1,0,1]
	ds_read2_b32 v[64:65], v27 offset0:32 offset1:48
	s_waitcnt lgkmcnt(8)
	v_pk_fma_f32 v[54:55], v[86:87], v[66:67], v[54:55] op_sel_hi:[1,0,1]
	v_mov_b32_e32 v62, v69
	s_waitcnt lgkmcnt(5)
	v_pk_fma_f32 v[54:55], v[88:89], v[66:67], v[54:55] op_sel:[0,1,0]
	v_pk_fma_f32 v[52:53], v[78:79], v[70:71], v[52:53] op_sel_hi:[1,0,1]
	s_waitcnt lgkmcnt(4)
	v_pk_fma_f32 v[54:55], v[90:91], v[68:69], v[54:55] op_sel_hi:[1,0,1]
	v_pk_fma_f32 v[52:53], v[80:81], v[70:71], v[52:53] op_sel:[0,1,0]
	s_waitcnt lgkmcnt(3)
	v_pk_fma_f32 v[54:55], v[92:93], v[62:63], v[54:55] op_sel_hi:[1,0,1]
	v_pk_fma_f32 v[52:53], v[82:83], v[72:73], v[52:53] op_sel_hi:[1,0,1]
	s_waitcnt lgkmcnt(2)
	v_pk_fma_f32 v[54:55], v[94:95], v[4:5], v[54:55] op_sel_hi:[1,0,1]
	s_add_u32 s20, s20, 32
	s_waitcnt lgkmcnt(0)
	v_pk_fma_f32 v[4:5], v[64:65], v[4:5], v[54:55] op_sel:[0,1,0]
	v_mov_b32_e32 v54, v73
	v_pk_fma_f32 v[52:53], v[84:85], v[54:55], v[52:53] op_sel_hi:[1,0,1]
	v_mov_b32_e32 v54, v77
	v_pk_fma_f32 v[52:53], v[86:87], v[74:75], v[52:53] op_sel_hi:[1,0,1]
	s_addc_u32 s21, s21, 0
	v_pk_fma_f32 v[52:53], v[88:89], v[74:75], v[52:53] op_sel:[0,1,0]
	s_sub_i32 s10, s20, 32
	v_pk_fma_f32 v[52:53], v[90:91], v[76:77], v[52:53] op_sel_hi:[1,0,1]
	v_lshl_add_u64 v[50:51], v[50:51], 0, s[34:35]
	v_pk_fma_f32 v[62:63], v[92:93], v[54:55], v[52:53] op_sel_hi:[1,0,1]
	ds_read_b128 v[52:55], v56 offset:2096
	ds_read2_b32 v[70:71], v27 offset0:64 offset1:80
	ds_read2_b32 v[72:73], v27 offset0:96 offset1:112
	ds_read2_b32 v[74:75], v27 offset0:128 offset1:144
	ds_read2_b32 v[76:77], v27 offset0:160 offset1:176
	ds_read2_b32 v[78:79], v27 offset0:192 offset1:208
	ds_read2_b32 v[80:81], v27 offset0:224 offset1:240
	s_waitcnt lgkmcnt(5)
	v_pk_fma_f32 v[4:5], v[70:71], v[6:7], v[4:5] op_sel_hi:[1,0,1]
	v_mov_b32_e32 v6, v7
	s_waitcnt lgkmcnt(4)
	v_pk_fma_f32 v[4:5], v[72:73], v[6:7], v[4:5] op_sel_hi:[1,0,1]
	v_pk_fma_f32 v[62:63], v[94:95], v[8:9], v[62:63] op_sel_hi:[1,0,1]
	v_add_u32_e32 v27, 0x800, v58
	s_waitcnt lgkmcnt(3)
	v_pk_fma_f32 v[4:5], v[74:75], v[0:1], v[4:5] op_sel_hi:[1,0,1]
	v_pk_fma_f32 v[8:9], v[64:65], v[8:9], v[62:63] op_sel:[0,1,0]
	ds_read2_b32 v[82:83], v27 offset1:16
	ds_read2_b32 v[84:85], v27 offset0:32 offset1:48
	ds_read2_b32 v[86:87], v27 offset0:64 offset1:80
	;; [unrolled: 1-line block ×3, first 2 shown]
	ds_read_b128 v[62:65], v56 offset:64
	ds_read_b128 v[66:69], v56 offset:80
	ds_read2_b32 v[90:91], v27 offset0:128 offset1:144
	s_waitcnt lgkmcnt(9)
	v_pk_fma_f32 v[0:1], v[76:77], v[0:1], v[4:5] op_sel:[0,1,0]
	v_pk_fma_f32 v[8:9], v[70:71], v[10:11], v[8:9] op_sel_hi:[1,0,1]
	s_waitcnt lgkmcnt(8)
	v_pk_fma_f32 v[0:1], v[78:79], v[2:3], v[0:1] op_sel_hi:[1,0,1]
	v_mov_b32_e32 v2, v3
	s_waitcnt lgkmcnt(7)
	v_pk_fma_f32 v[0:1], v[80:81], v[2:3], v[0:1] op_sel_hi:[1,0,1]
	s_waitcnt lgkmcnt(2)
	v_mov_b32_e32 v2, v65
	v_pk_fma_f32 v[0:1], v[82:83], v[62:63], v[0:1] op_sel_hi:[1,0,1]
	v_mov_b32_e32 v10, v11
	v_pk_fma_f32 v[0:1], v[84:85], v[62:63], v[0:1] op_sel:[0,1,0]
	v_pk_fma_f32 v[8:9], v[72:73], v[10:11], v[8:9] op_sel_hi:[1,0,1]
	v_pk_fma_f32 v[0:1], v[86:87], v[64:65], v[0:1] op_sel_hi:[1,0,1]
	;; [unrolled: 1-line block ×4, first 2 shown]
	v_pk_fma_f32 v[8:9], v[76:77], v[52:53], v[8:9] op_sel:[0,1,0]
	s_waitcnt lgkmcnt(0)
	v_pk_fma_f32 v[92:93], v[90:91], v[66:67], v[0:1] op_sel_hi:[1,0,1]
	ds_read_b128 v[0:3], v56 offset:2112
	ds_read_b128 v[4:7], v56 offset:2128
	v_pk_fma_f32 v[8:9], v[78:79], v[54:55], v[8:9] op_sel_hi:[1,0,1]
	v_mov_b32_e32 v10, v55
	ds_read2_b32 v[74:75], v27 offset0:160 offset1:176
	ds_read2_b32 v[76:77], v27 offset0:192 offset1:208
	ds_read2_b32 v[78:79], v27 offset0:224 offset1:240
	v_pk_fma_f32 v[8:9], v[80:81], v[10:11], v[8:9] op_sel_hi:[1,0,1]
	v_add_u32_e32 v27, 0xc00, v58
	s_waitcnt lgkmcnt(4)
	v_pk_fma_f32 v[8:9], v[82:83], v[0:1], v[8:9] op_sel_hi:[1,0,1]
	s_waitcnt lgkmcnt(2)
	v_pk_fma_f32 v[54:55], v[74:75], v[66:67], v[92:93] op_sel:[0,1,0]
	v_pk_fma_f32 v[0:1], v[84:85], v[0:1], v[8:9] op_sel:[0,1,0]
	s_waitcnt lgkmcnt(1)
	v_pk_fma_f32 v[54:55], v[76:77], v[68:69], v[54:55] op_sel_hi:[1,0,1]
	v_pk_fma_f32 v[0:1], v[86:87], v[2:3], v[0:1] op_sel_hi:[1,0,1]
	v_mov_b32_e32 v2, v3
	v_mov_b32_e32 v66, v69
	v_pk_fma_f32 v[0:1], v[88:89], v[2:3], v[0:1] op_sel_hi:[1,0,1]
	s_waitcnt lgkmcnt(0)
	v_pk_fma_f32 v[54:55], v[78:79], v[66:67], v[54:55] op_sel_hi:[1,0,1]
	v_pk_fma_f32 v[52:53], v[90:91], v[4:5], v[0:1] op_sel_hi:[1,0,1]
	ds_read2_b32 v[80:81], v27 offset1:16
	ds_read2_b32 v[82:83], v27 offset0:32 offset1:48
	ds_read2_b32 v[84:85], v27 offset0:64 offset1:80
	;; [unrolled: 1-line block ×3, first 2 shown]
	ds_read_b128 v[0:3], v56 offset:96
	ds_read_b128 v[8:11], v56 offset:112
	ds_read2_b32 v[88:89], v27 offset0:128 offset1:144
	ds_read_b128 v[62:65], v56 offset:2144
	ds_read_b128 v[70:73], v56 offset:2160
	ds_read2_b32 v[90:91], v27 offset0:160 offset1:176
	ds_read2_b32 v[94:95], v27 offset0:192 offset1:208
	;; [unrolled: 1-line block ×3, first 2 shown]
	s_waitcnt lgkmcnt(7)
	v_pk_fma_f32 v[54:55], v[80:81], v[0:1], v[54:55] op_sel_hi:[1,0,1]
	v_lshl_add_u64 v[48:49], v[48:49], 0, s[30:31]
	v_pk_fma_f32 v[0:1], v[82:83], v[0:1], v[54:55] op_sel:[0,1,0]
	s_cmp_ge_i32 s10, s45
	v_pk_fma_f32 v[0:1], v[84:85], v[2:3], v[0:1] op_sel_hi:[1,0,1]
	v_mov_b32_e32 v2, v3
	v_pk_fma_f32 v[0:1], v[86:87], v[2:3], v[0:1] op_sel_hi:[1,0,1]
	s_waitcnt lgkmcnt(6)
	v_mov_b32_e32 v2, v11
	s_waitcnt lgkmcnt(5)
	v_pk_fma_f32 v[0:1], v[88:89], v[8:9], v[0:1] op_sel_hi:[1,0,1]
	v_lshl_add_u64 v[46:47], v[46:47], 0, s[30:31]
	s_waitcnt lgkmcnt(2)
	v_pk_fma_f32 v[0:1], v[90:91], v[8:9], v[0:1] op_sel:[0,1,0]
	s_waitcnt lgkmcnt(0)
	v_pk_fma_f32 v[0:1], v[94:95], v[10:11], v[0:1] op_sel_hi:[1,0,1]
	s_barrier
	v_pk_fma_f32 v[54:55], v[96:97], v[2:3], v[0:1] op_sel_hi:[1,0,1]
	v_pk_fma_f32 v[0:1], v[74:75], v[4:5], v[52:53] op_sel:[0,1,0]
	v_mov_b32_e32 v2, v7
	v_pk_fma_f32 v[0:1], v[76:77], v[6:7], v[0:1] op_sel_hi:[1,0,1]
	s_nop 0
	v_pk_fma_f32 v[0:1], v[78:79], v[2:3], v[0:1] op_sel_hi:[1,0,1]
	v_mov_b32_e32 v2, v65
	v_pk_fma_f32 v[0:1], v[80:81], v[62:63], v[0:1] op_sel_hi:[1,0,1]
	s_nop 0
	v_pk_fma_f32 v[0:1], v[82:83], v[62:63], v[0:1] op_sel:[0,1,0]
	s_nop 0
	v_pk_fma_f32 v[0:1], v[84:85], v[64:65], v[0:1] op_sel_hi:[1,0,1]
	s_nop 0
	v_pk_fma_f32 v[0:1], v[86:87], v[2:3], v[0:1] op_sel_hi:[1,0,1]
	v_mov_b32_e32 v2, v73
	v_pk_fma_f32 v[0:1], v[88:89], v[70:71], v[0:1] op_sel_hi:[1,0,1]
	s_nop 0
	v_pk_fma_f32 v[0:1], v[90:91], v[70:71], v[0:1] op_sel:[0,1,0]
	s_nop 0
	v_pk_fma_f32 v[0:1], v[94:95], v[72:73], v[0:1] op_sel_hi:[1,0,1]
	s_nop 0
	v_pk_fma_f32 v[52:53], v[96:97], v[2:3], v[0:1] op_sel_hi:[1,0,1]
	s_cbranch_scc1 .LBB21_43
.LBB21_7:                               ;   Parent Loop BB21_4 Depth=1
                                        ; =>  This Inner Loop Header: Depth=2
	v_lshl_add_u64 v[2:3], v[14:15], 0, s[20:21]
	v_cmp_eq_u64_e64 s[10:11], s[20:21], v[36:37]
	s_and_b64 s[36:37], s[24:25], s[10:11]
	v_cmp_gt_i64_e64 s[10:11], v[2:3], v[34:35]
	s_or_b64 s[14:15], s[6:7], s[10:11]
	v_cmp_le_i64_e64 s[12:13], s[26:27], v[2:3]
	s_or_b64 s[14:15], s[14:15], s[36:37]
	v_lshl_add_u64 v[0:1], v[46:47], 0, v[38:39]
	s_nor_b64 s[14:15], s[12:13], s[14:15]
                                        ; implicit-def: $vgpr4
	s_and_saveexec_b64 s[18:19], s[14:15]
	s_xor_b64 s[14:15], exec, s[18:19]
	s_cbranch_execz .LBB21_9
; %bb.8:                                ;   in Loop: Header=BB21_7 Depth=2
	global_load_dword v4, v[0:1], off
.LBB21_9:                               ;   in Loop: Header=BB21_7 Depth=2
	s_andn2_saveexec_b64 s[14:15], s[14:15]
	s_cbranch_execz .LBB21_11
; %bb.10:                               ;   in Loop: Header=BB21_7 Depth=2
	s_waitcnt vmcnt(0)
	v_cndmask_b32_e64 v4, 0, 1.0, s[36:37]
.LBB21_11:                              ;   in Loop: Header=BB21_7 Depth=2
	s_or_b64 exec, exec, s[14:15]
	s_waitcnt vmcnt(0)
	ds_write_b32 v57, v4
	v_lshl_add_u64 v[4:5], v[2:3], 0, 16
	v_cmp_eq_u64_e64 s[14:15], s[20:21], v[44:45]
	v_cmp_gt_i64_e64 s[18:19], v[4:5], v[34:35]
	s_and_b64 s[42:43], s[24:25], s[14:15]
	s_or_b64 s[18:19], s[6:7], s[18:19]
	v_cmp_le_i64_e64 s[14:15], s[26:27], v[4:5]
	s_or_b64 s[18:19], s[18:19], s[42:43]
	s_nor_b64 s[18:19], s[14:15], s[18:19]
	v_lshl_add_u64 v[4:5], v[48:49], 0, v[38:39]
	s_and_saveexec_b64 s[46:47], s[18:19]
	s_xor_b64 s[18:19], exec, s[46:47]
	s_cbranch_execz .LBB21_13
; %bb.12:                               ;   in Loop: Header=BB21_7 Depth=2
	global_load_dword v6, v[4:5], off
	s_waitcnt vmcnt(0)
	ds_write_b32 v57, v6 offset:64
.LBB21_13:                              ;   in Loop: Header=BB21_7 Depth=2
	s_andn2_saveexec_b64 s[18:19], s[18:19]
	s_cbranch_execz .LBB21_19
; %bb.14:                               ;   in Loop: Header=BB21_7 Depth=2
	s_xor_b64 s[42:43], s[42:43], -1
	s_and_saveexec_b64 s[46:47], s[42:43]
	s_xor_b64 s[42:43], exec, s[46:47]
; %bb.15:                               ;   in Loop: Header=BB21_7 Depth=2
	ds_write_b32 v57, v15 offset:64
; %bb.16:                               ;   in Loop: Header=BB21_7 Depth=2
	s_andn2_saveexec_b64 s[42:43], s[42:43]
; %bb.17:                               ;   in Loop: Header=BB21_7 Depth=2
	ds_write_b32 v57, v60 offset:64
; %bb.18:                               ;   in Loop: Header=BB21_7 Depth=2
	s_or_b64 exec, exec, s[42:43]
.LBB21_19:                              ;   in Loop: Header=BB21_7 Depth=2
	s_or_b64 exec, exec, s[18:19]
	v_cmp_eq_u64_e64 s[18:19], s[20:21], v[42:43]
	s_and_b64 s[42:43], s[24:25], s[18:19]
	v_cmp_gt_i64_e64 s[18:19], v[2:3], v[40:41]
	s_or_b64 s[18:19], s[8:9], s[18:19]
	s_or_b64 s[18:19], s[18:19], s[42:43]
	s_nor_b64 s[12:13], s[12:13], s[18:19]
                                        ; implicit-def: $vgpr2
	s_and_saveexec_b64 s[18:19], s[12:13]
	s_xor_b64 s[12:13], exec, s[18:19]
	s_cbranch_execz .LBB21_21
; %bb.20:                               ;   in Loop: Header=BB21_7 Depth=2
	global_load_dword v2, v[0:1], off offset:64
.LBB21_21:                              ;   in Loop: Header=BB21_7 Depth=2
	s_andn2_saveexec_b64 s[12:13], s[12:13]
	s_cbranch_execz .LBB21_23
; %bb.22:                               ;   in Loop: Header=BB21_7 Depth=2
	s_waitcnt vmcnt(0)
	v_cndmask_b32_e64 v2, 0, 1.0, s[42:43]
.LBB21_23:                              ;   in Loop: Header=BB21_7 Depth=2
	s_or_b64 exec, exec, s[12:13]
	s_or_b64 s[10:11], s[8:9], s[10:11]
	s_or_b64 s[10:11], s[10:11], s[36:37]
	s_nor_b64 s[10:11], s[14:15], s[10:11]
	s_waitcnt vmcnt(0)
	ds_write_b32 v57, v2 offset:2048
	s_and_saveexec_b64 s[12:13], s[10:11]
	s_xor_b64 s[10:11], exec, s[12:13]
	s_cbranch_execz .LBB21_25
; %bb.24:                               ;   in Loop: Header=BB21_7 Depth=2
	global_load_dword v0, v[4:5], off offset:64
	s_waitcnt vmcnt(0)
	ds_write_b32 v57, v0 offset:2112
.LBB21_25:                              ;   in Loop: Header=BB21_7 Depth=2
	s_andn2_saveexec_b64 s[10:11], s[10:11]
	s_cbranch_execz .LBB21_31
; %bb.26:                               ;   in Loop: Header=BB21_7 Depth=2
	s_xor_b64 s[12:13], s[36:37], -1
	s_and_saveexec_b64 s[14:15], s[12:13]
	s_xor_b64 s[12:13], exec, s[14:15]
; %bb.27:                               ;   in Loop: Header=BB21_7 Depth=2
	ds_write_b32 v57, v15 offset:2112
; %bb.28:                               ;   in Loop: Header=BB21_7 Depth=2
	s_andn2_saveexec_b64 s[12:13], s[12:13]
; %bb.29:                               ;   in Loop: Header=BB21_7 Depth=2
	ds_write_b32 v57, v60 offset:2112
; %bb.30:                               ;   in Loop: Header=BB21_7 Depth=2
	s_or_b64 exec, exec, s[12:13]
.LBB21_31:                              ;   in Loop: Header=BB21_7 Depth=2
	s_or_b64 exec, exec, s[10:11]
	v_lshl_add_u64 v[0:1], v[12:13], 0, s[20:21]
	v_cmp_le_i64_e64 s[10:11], s[26:27], v[0:1]
	v_lshl_add_u64 v[2:3], v[50:51], 0, v[28:29]
	s_nor_b64 s[14:15], s[10:11], vcc
	v_mov_b32_e32 v4, 0
	s_and_saveexec_b64 s[12:13], s[14:15]
	s_cbranch_execz .LBB21_33
; %bb.32:                               ;   in Loop: Header=BB21_7 Depth=2
	global_load_dword v4, v[2:3], off offset:-64
.LBB21_33:                              ;   in Loop: Header=BB21_7 Depth=2
	s_or_b64 exec, exec, s[12:13]
	s_nor_b64 s[10:11], s[10:11], s[0:1]
	s_waitcnt vmcnt(0)
	ds_write_b32 v59, v4
	s_and_saveexec_b64 s[12:13], s[10:11]
	s_xor_b64 s[10:11], exec, s[12:13]
	s_cbranch_execz .LBB21_35
; %bb.34:                               ;   in Loop: Header=BB21_7 Depth=2
	global_load_dword v2, v[2:3], off
	s_waitcnt vmcnt(0)
	ds_write_b32 v59, v2 offset:64
.LBB21_35:                              ;   in Loop: Header=BB21_7 Depth=2
	s_andn2_saveexec_b64 s[10:11], s[10:11]
; %bb.36:                               ;   in Loop: Header=BB21_7 Depth=2
	ds_write_b32 v59, v15 offset:64
; %bb.37:                               ;   in Loop: Header=BB21_7 Depth=2
	s_or_b64 exec, exec, s[10:11]
	v_cmp_le_i64_e64 s[10:11], s[40:41], v[0:1]
	v_lshl_add_u64 v[0:1], v[50:51], 0, v[32:33]
	s_nor_b64 s[14:15], s[10:11], vcc
	v_mov_b32_e32 v2, 0
	s_and_saveexec_b64 s[12:13], s[14:15]
	s_cbranch_execz .LBB21_39
; %bb.38:                               ;   in Loop: Header=BB21_7 Depth=2
	global_load_dword v2, v[0:1], off
.LBB21_39:                              ;   in Loop: Header=BB21_7 Depth=2
	s_or_b64 exec, exec, s[12:13]
	s_nor_b64 s[10:11], s[10:11], s[0:1]
	s_waitcnt vmcnt(0)
	ds_write_b32 v59, v2 offset:2048
	s_and_saveexec_b64 s[12:13], s[10:11]
	s_xor_b64 s[10:11], exec, s[12:13]
	s_cbranch_execz .LBB21_41
; %bb.40:                               ;   in Loop: Header=BB21_7 Depth=2
	global_load_dword v0, v[0:1], off offset:64
	s_waitcnt vmcnt(0)
	ds_write_b32 v59, v0 offset:2112
.LBB21_41:                              ;   in Loop: Header=BB21_7 Depth=2
	s_andn2_saveexec_b64 s[10:11], s[10:11]
	s_cbranch_execz .LBB21_6
; %bb.42:                               ;   in Loop: Header=BB21_7 Depth=2
	ds_write_b32 v59, v15 offset:2112
	s_branch .LBB21_6
.LBB21_43:                              ;   in Loop: Header=BB21_4 Depth=1
	v_mul_lo_u32 v2, s29, v34
	v_mul_lo_u32 v3, s28, v35
	v_mad_u64_u32 v[0:1], s[8:9], s28, v34, 0
	v_cmp_gt_i32_e64 s[6:7], s38, v34
	v_add3_u32 v1, v1, v3, v2
	v_lshl_add_u64 v[0:1], v[0:1], 2, s[22:23]
	s_and_b64 s[10:11], s[16:17], s[6:7]
	s_and_saveexec_b64 s[8:9], s[10:11]
	s_cbranch_execz .LBB21_45
; %bb.44:                               ;   in Loop: Header=BB21_4 Depth=1
	v_lshl_add_u64 v[2:3], v[16:17], 2, v[0:1]
	global_load_dword v4, v[2:3], off
	s_waitcnt vmcnt(0)
	v_fmac_f32_e32 v4, s39, v54
	global_store_dword v[2:3], v4, off
.LBB21_45:                              ;   in Loop: Header=BB21_4 Depth=1
	s_or_b64 exec, exec, s[8:9]
	s_and_b64 s[8:9], s[4:5], s[6:7]
	s_and_saveexec_b64 s[6:7], s[8:9]
	s_cbranch_execz .LBB21_47
; %bb.46:                               ;   in Loop: Header=BB21_4 Depth=1
	v_lshl_add_u64 v[0:1], v[22:23], 2, v[0:1]
	global_load_dword v2, v[0:1], off
	s_waitcnt vmcnt(0)
	v_fmac_f32_e32 v2, s39, v55
	global_store_dword v[0:1], v2, off
.LBB21_47:                              ;   in Loop: Header=BB21_4 Depth=1
	s_or_b64 exec, exec, s[6:7]
	v_add_u32_e32 v0, 16, v34
	v_ashrrev_i32_e32 v1, 31, v0
	v_cmp_gt_i32_e64 s[6:7], s38, v0
	v_mul_lo_u32 v2, s28, v1
	v_mul_lo_u32 v3, s29, v0
	v_mad_u64_u32 v[0:1], s[8:9], s28, v0, 0
	v_add3_u32 v1, v1, v2, v3
	v_lshl_add_u64 v[0:1], v[0:1], 2, s[22:23]
	s_and_b64 s[10:11], s[16:17], s[6:7]
	s_and_saveexec_b64 s[8:9], s[10:11]
	s_cbranch_execz .LBB21_49
; %bb.48:                               ;   in Loop: Header=BB21_4 Depth=1
	v_lshl_add_u64 v[2:3], v[16:17], 2, v[0:1]
	global_load_dword v4, v[2:3], off
	s_waitcnt vmcnt(0)
	v_fmac_f32_e32 v4, s39, v52
	global_store_dword v[2:3], v4, off
.LBB21_49:                              ;   in Loop: Header=BB21_4 Depth=1
	s_or_b64 exec, exec, s[8:9]
	s_and_b64 s[8:9], s[4:5], s[6:7]
	s_and_saveexec_b64 s[6:7], s[8:9]
	s_cbranch_execz .LBB21_3
; %bb.50:                               ;   in Loop: Header=BB21_4 Depth=1
	v_lshl_add_u64 v[0:1], v[22:23], 2, v[0:1]
	global_load_dword v2, v[0:1], off
	s_waitcnt vmcnt(0)
	v_fmac_f32_e32 v2, s39, v53
	global_store_dword v[0:1], v2, off
	s_branch .LBB21_3
.LBB21_51:
	s_endpgm
	.section	.rodata,"a",@progbits
	.p2align	6, 0x0
	.amdhsa_kernel _ZL30rocblas_trmm_outofplace_kernelIfLi32ELi2ELb0ELb0ELb1ELb1EfKffEv17rocblas_diagonal_iiT6_lPT7_lllS4_lllPT8_llli
		.amdhsa_group_segment_fixed_size 8192
		.amdhsa_private_segment_fixed_size 0
		.amdhsa_kernarg_size 384
		.amdhsa_user_sgpr_count 2
		.amdhsa_user_sgpr_dispatch_ptr 0
		.amdhsa_user_sgpr_queue_ptr 0
		.amdhsa_user_sgpr_kernarg_segment_ptr 1
		.amdhsa_user_sgpr_dispatch_id 0
		.amdhsa_user_sgpr_kernarg_preload_length 0
		.amdhsa_user_sgpr_kernarg_preload_offset 0
		.amdhsa_user_sgpr_private_segment_size 0
		.amdhsa_uses_dynamic_stack 0
		.amdhsa_enable_private_segment 0
		.amdhsa_system_sgpr_workgroup_id_x 1
		.amdhsa_system_sgpr_workgroup_id_y 1
		.amdhsa_system_sgpr_workgroup_id_z 1
		.amdhsa_system_sgpr_workgroup_info 0
		.amdhsa_system_vgpr_workitem_id 1
		.amdhsa_next_free_vgpr 98
		.amdhsa_next_free_sgpr 48
		.amdhsa_accum_offset 100
		.amdhsa_reserve_vcc 1
		.amdhsa_float_round_mode_32 0
		.amdhsa_float_round_mode_16_64 0
		.amdhsa_float_denorm_mode_32 3
		.amdhsa_float_denorm_mode_16_64 3
		.amdhsa_dx10_clamp 1
		.amdhsa_ieee_mode 1
		.amdhsa_fp16_overflow 0
		.amdhsa_tg_split 0
		.amdhsa_exception_fp_ieee_invalid_op 0
		.amdhsa_exception_fp_denorm_src 0
		.amdhsa_exception_fp_ieee_div_zero 0
		.amdhsa_exception_fp_ieee_overflow 0
		.amdhsa_exception_fp_ieee_underflow 0
		.amdhsa_exception_fp_ieee_inexact 0
		.amdhsa_exception_int_div_zero 0
	.end_amdhsa_kernel
	.section	.text._ZL30rocblas_trmm_outofplace_kernelIfLi32ELi2ELb0ELb0ELb1ELb1EfKffEv17rocblas_diagonal_iiT6_lPT7_lllS4_lllPT8_llli,"axG",@progbits,_ZL30rocblas_trmm_outofplace_kernelIfLi32ELi2ELb0ELb0ELb1ELb1EfKffEv17rocblas_diagonal_iiT6_lPT7_lllS4_lllPT8_llli,comdat
.Lfunc_end21:
	.size	_ZL30rocblas_trmm_outofplace_kernelIfLi32ELi2ELb0ELb0ELb1ELb1EfKffEv17rocblas_diagonal_iiT6_lPT7_lllS4_lllPT8_llli, .Lfunc_end21-_ZL30rocblas_trmm_outofplace_kernelIfLi32ELi2ELb0ELb0ELb1ELb1EfKffEv17rocblas_diagonal_iiT6_lPT7_lllS4_lllPT8_llli
                                        ; -- End function
	.set _ZL30rocblas_trmm_outofplace_kernelIfLi32ELi2ELb0ELb0ELb1ELb1EfKffEv17rocblas_diagonal_iiT6_lPT7_lllS4_lllPT8_llli.num_vgpr, 98
	.set _ZL30rocblas_trmm_outofplace_kernelIfLi32ELi2ELb0ELb0ELb1ELb1EfKffEv17rocblas_diagonal_iiT6_lPT7_lllS4_lllPT8_llli.num_agpr, 0
	.set _ZL30rocblas_trmm_outofplace_kernelIfLi32ELi2ELb0ELb0ELb1ELb1EfKffEv17rocblas_diagonal_iiT6_lPT7_lllS4_lllPT8_llli.numbered_sgpr, 48
	.set _ZL30rocblas_trmm_outofplace_kernelIfLi32ELi2ELb0ELb0ELb1ELb1EfKffEv17rocblas_diagonal_iiT6_lPT7_lllS4_lllPT8_llli.num_named_barrier, 0
	.set _ZL30rocblas_trmm_outofplace_kernelIfLi32ELi2ELb0ELb0ELb1ELb1EfKffEv17rocblas_diagonal_iiT6_lPT7_lllS4_lllPT8_llli.private_seg_size, 0
	.set _ZL30rocblas_trmm_outofplace_kernelIfLi32ELi2ELb0ELb0ELb1ELb1EfKffEv17rocblas_diagonal_iiT6_lPT7_lllS4_lllPT8_llli.uses_vcc, 1
	.set _ZL30rocblas_trmm_outofplace_kernelIfLi32ELi2ELb0ELb0ELb1ELb1EfKffEv17rocblas_diagonal_iiT6_lPT7_lllS4_lllPT8_llli.uses_flat_scratch, 0
	.set _ZL30rocblas_trmm_outofplace_kernelIfLi32ELi2ELb0ELb0ELb1ELb1EfKffEv17rocblas_diagonal_iiT6_lPT7_lllS4_lllPT8_llli.has_dyn_sized_stack, 0
	.set _ZL30rocblas_trmm_outofplace_kernelIfLi32ELi2ELb0ELb0ELb1ELb1EfKffEv17rocblas_diagonal_iiT6_lPT7_lllS4_lllPT8_llli.has_recursion, 0
	.set _ZL30rocblas_trmm_outofplace_kernelIfLi32ELi2ELb0ELb0ELb1ELb1EfKffEv17rocblas_diagonal_iiT6_lPT7_lllS4_lllPT8_llli.has_indirect_call, 0
	.section	.AMDGPU.csdata,"",@progbits
; Kernel info:
; codeLenInByte = 2832
; TotalNumSgprs: 54
; NumVgprs: 98
; NumAgprs: 0
; TotalNumVgprs: 98
; ScratchSize: 0
; MemoryBound: 0
; FloatMode: 240
; IeeeMode: 1
; LDSByteSize: 8192 bytes/workgroup (compile time only)
; SGPRBlocks: 6
; VGPRBlocks: 12
; NumSGPRsForWavesPerEU: 54
; NumVGPRsForWavesPerEU: 98
; AccumOffset: 100
; Occupancy: 4
; WaveLimiterHint : 0
; COMPUTE_PGM_RSRC2:SCRATCH_EN: 0
; COMPUTE_PGM_RSRC2:USER_SGPR: 2
; COMPUTE_PGM_RSRC2:TRAP_HANDLER: 0
; COMPUTE_PGM_RSRC2:TGID_X_EN: 1
; COMPUTE_PGM_RSRC2:TGID_Y_EN: 1
; COMPUTE_PGM_RSRC2:TGID_Z_EN: 1
; COMPUTE_PGM_RSRC2:TIDIG_COMP_CNT: 1
; COMPUTE_PGM_RSRC3_GFX90A:ACCUM_OFFSET: 24
; COMPUTE_PGM_RSRC3_GFX90A:TG_SPLIT: 0
	.section	.text._ZL30rocblas_trmm_outofplace_kernelIfLi32ELi2ELb0ELb1ELb1ELb1EPKfS0_fEv17rocblas_diagonal_iiT6_lPT7_lllS5_lllPT8_llli,"axG",@progbits,_ZL30rocblas_trmm_outofplace_kernelIfLi32ELi2ELb0ELb1ELb1ELb1EPKfS0_fEv17rocblas_diagonal_iiT6_lPT7_lllS5_lllPT8_llli,comdat
	.globl	_ZL30rocblas_trmm_outofplace_kernelIfLi32ELi2ELb0ELb1ELb1ELb1EPKfS0_fEv17rocblas_diagonal_iiT6_lPT7_lllS5_lllPT8_llli ; -- Begin function _ZL30rocblas_trmm_outofplace_kernelIfLi32ELi2ELb0ELb1ELb1ELb1EPKfS0_fEv17rocblas_diagonal_iiT6_lPT7_lllS5_lllPT8_llli
	.p2align	8
	.type	_ZL30rocblas_trmm_outofplace_kernelIfLi32ELi2ELb0ELb1ELb1ELb1EPKfS0_fEv17rocblas_diagonal_iiT6_lPT7_lllS5_lllPT8_llli,@function
_ZL30rocblas_trmm_outofplace_kernelIfLi32ELi2ELb0ELb1ELb1ELb1EPKfS0_fEv17rocblas_diagonal_iiT6_lPT7_lllS5_lllPT8_llli: ; @_ZL30rocblas_trmm_outofplace_kernelIfLi32ELi2ELb0ELb1ELb1ELb1EPKfS0_fEv17rocblas_diagonal_iiT6_lPT7_lllS5_lllPT8_llli
; %bb.0:
	s_load_dwordx16 s[16:31], s[0:1], 0x10
	s_waitcnt lgkmcnt(0)
	s_mul_i32 s5, s19, s4
	s_mul_hi_u32 s6, s18, s4
	s_add_i32 s7, s6, s5
	s_mul_i32 s6, s18, s4
	s_lshl_b64 s[6:7], s[6:7], 2
	s_add_u32 s6, s16, s6
	s_addc_u32 s7, s17, s7
	s_load_dword s33, s[6:7], 0x0
	s_waitcnt lgkmcnt(0)
	v_cmp_eq_f32_e64 s[6:7], s33, 0
	s_and_b64 vcc, exec, s[6:7]
	s_cbranch_vccnz .LBB22_51
; %bb.1:
	s_load_dwordx4 s[44:47], s[0:1], 0x0
	s_waitcnt lgkmcnt(0)
	s_add_i32 s5, s46, -1
	s_ashr_i32 s6, s5, 31
	s_lshr_b32 s6, s6, 27
	s_add_i32 s5, s5, s6
	s_ashr_i32 s56, s5, 5
	s_cmp_gt_i32 s3, s56
	s_cbranch_scc1 .LBB22_51
; %bb.2:
	s_load_dwordx4 s[48:51], s[0:1], 0x70
	s_load_dwordx8 s[36:43], s[0:1], 0x50
	s_load_dword s57, s[0:1], 0x8c
	v_and_b32_e32 v2, 0x3ff, v0
	v_bfe_u32 v48, v0, 10, 10
	v_lshl_add_u32 v12, s2, 5, v2
	s_waitcnt lgkmcnt(0)
	s_mul_i32 s0, s51, s4
	s_mul_hi_u32 s1, s50, s4
	s_add_i32 s1, s1, s0
	s_mul_i32 s0, s50, s4
	s_lshl_b64 s[0:1], s[0:1], 2
	s_add_u32 s5, s40, s0
	s_addc_u32 s6, s41, s1
	s_lshl_b64 s[0:1], s[42:43], 2
	s_add_u32 s34, s5, s0
	s_addc_u32 s35, s6, s1
	s_cmpk_eq_i32 s44, 0x84
	s_cselect_b64 s[40:41], -1, 0
	s_ashr_i32 s47, s46, 31
	s_ashr_i32 s0, s45, 31
	s_lshl_b64 s[42:43], s[24:25], 7
	s_lshl_b64 s[50:51], s[36:37], 7
	s_add_u32 s52, s46, -16
	s_addc_u32 s53, s47, -1
	s_lshl_b32 s5, s3, 5
	s_lshl_b32 s2, s57, 5
	v_add_u32_e32 v14, 16, v12
	v_add_u32_e32 v16, s5, v2
	;; [unrolled: 1-line block ×3, first 2 shown]
	s_add_u32 s44, s28, 64
	s_mul_i32 s5, s39, s4
	s_mul_hi_u32 s6, s38, s4
	v_sub_co_u32_e32 v0, vcc, s45, v12
	v_cmp_gt_i32_e64 s[16:17], s45, v12
	v_cmp_gt_i32_e64 s[18:19], s45, v14
	s_addc_u32 s45, s29, 0
	s_add_i32 s7, s6, s5
	s_mul_i32 s6, s38, s4
	s_lshl_b64 s[54:55], s[36:37], 2
	s_lshl_b64 s[6:7], s[6:7], 2
	;; [unrolled: 1-line block ×3, first 2 shown]
	s_add_u32 s6, s6, s8
	v_ashrrev_i32_e32 v13, 31, v12
	s_addc_u32 s7, s7, s9
	v_lshl_add_u64 v[20:21], v[12:13], 2, s[6:7]
	s_mul_i32 s5, s27, s4
	s_mul_hi_u32 s6, s26, s4
	s_add_i32 s5, s6, s5
	s_mul_i32 s4, s26, s4
	s_lshl_b64 s[4:5], s[4:5], 2
	s_lshl_b64 s[6:7], s[22:23], 2
	s_add_u32 s4, s4, s6
	v_lshlrev_b32_e32 v3, 2, v2
	v_mov_b32_e32 v1, s0
	s_addc_u32 s5, s5, s7
	v_lshlrev_b32_e32 v49, 7, v48
	v_subb_co_u32_e32 v1, vcc, v1, v13, vcc
	v_or_b32_e32 v51, 0x1000, v3
	s_add_u32 s20, s20, s4
	v_add_u32_e32 v50, v49, v3
	v_add_u32_e32 v52, v51, v49
	v_cmp_gt_i64_e32 vcc, 1, v[0:1]
	v_cmp_gt_i64_e64 s[0:1], 17, v[0:1]
	v_ashrrev_i32_e32 v15, 31, v14
	s_addc_u32 s21, s21, s5
	s_lshl_b64 s[22:23], s[24:25], 2
	v_mov_b32_e32 v53, 0
	v_mov_b32_e32 v54, 1.0
	s_branch .LBB22_4
.LBB22_3:                               ;   in Loop: Header=BB22_4 Depth=1
	s_or_b64 exec, exec, s[4:5]
	s_add_i32 s3, s57, s3
	v_add_u32_e32 v16, s2, v16
	s_cmp_le_i32 s3, s56
	v_add_u32_e32 v18, s2, v18
	s_cbranch_scc0 .LBB22_51
.LBB22_4:                               ; =>This Loop Header: Depth=1
                                        ;     Child Loop BB22_7 Depth 2
	s_lshl_b32 s4, s3, 5
	v_add_u32_e32 v22, s4, v48
	s_sub_i32 s58, s46, s4
	v_ashrrev_i32_e32 v17, 31, v16
	v_ashrrev_i32_e32 v19, 31, v18
	;; [unrolled: 1-line block ×3, first 2 shown]
	s_cmp_lt_i32 s58, 1
	v_mov_b32_e32 v47, 0
	v_mov_b32_e32 v46, 0
	;; [unrolled: 1-line block ×4, first 2 shown]
	s_cbranch_scc1 .LBB22_43
; %bb.5:                                ;   in Loop: Header=BB22_4 Depth=1
	v_sub_co_u32_e64 v24, s[4:5], v18, v16
	v_mov_b64_e32 v[0:1], s[44:45]
	s_nop 0
	v_subb_co_u32_e64 v25, s[4:5], v19, v17, s[4:5]
	v_mad_u64_u32 v[26:27], s[4:5], s54, v18, v[0:1]
	v_mul_lo_u32 v0, s54, v19
	v_mul_lo_u32 v1, s55, v18
	v_add3_u32 v27, v1, v27, v0
	v_lshl_add_u64 v[0:1], v[16:17], 2, 64
	v_mov_b64_e32 v[2:3], s[20:21]
	v_mul_lo_u32 v1, s24, v1
	v_mul_lo_u32 v4, s25, v0
	v_mad_u64_u32 v[30:31], s[4:5], s24, v0, v[2:3]
	v_lshlrev_b64 v[28:29], 2, v[18:19]
	v_add3_u32 v31, v4, v31, v1
	v_mad_u64_u32 v[32:33], s[4:5], s22, v16, v[2:3]
	v_mul_lo_u32 v0, s22, v17
	v_mul_lo_u32 v1, s23, v16
	v_add3_u32 v33, v1, v33, v0
	v_lshl_add_u64 v[0:1], v[28:29], 0, 64
	v_mov_b64_e32 v[2:3], s[28:29]
	v_mul_lo_u32 v1, s36, v1
	v_mul_lo_u32 v4, s37, v0
	v_mad_u64_u32 v[34:35], s[4:5], s36, v0, v[2:3]
	v_lshl_add_u64 v[36:37], v[22:23], 0, 16
	v_mov_b32_e32 v44, 0
	v_add3_u32 v35, v4, v35, v1
	v_cmp_le_i32_e64 s[6:7], s46, v22
	v_cmp_le_i64_e64 s[8:9], s[46:47], v[36:37]
	v_lshl_add_u64 v[38:39], v[24:25], 0, 16
	v_lshl_add_u64 v[40:41], v[24:25], 0, -16
	s_mov_b64 s[26:27], 0
	v_mov_b64_e32 v[42:43], v[20:21]
	v_mov_b32_e32 v45, v44
	v_mov_b32_e32 v46, v44
	;; [unrolled: 1-line block ×3, first 2 shown]
	s_branch .LBB22_7
.LBB22_6:                               ;   in Loop: Header=BB22_7 Depth=2
	s_or_b64 exec, exec, s[4:5]
	s_waitcnt lgkmcnt(0)
	s_barrier
	ds_read_b128 v[56:59], v49
	ds_read_b128 v[60:63], v49 offset:16
	ds_read_b128 v[4:7], v49 offset:32
	;; [unrolled: 1-line block ×3, first 2 shown]
	ds_read2_b32 v[72:73], v51 offset1:16
	ds_read2_b32 v[74:75], v51 offset0:32 offset1:48
	ds_read2_b32 v[76:77], v51 offset0:64 offset1:80
	;; [unrolled: 1-line block ×4, first 2 shown]
	ds_read_b128 v[64:67], v49 offset:2048
	ds_read_b128 v[68:71], v49 offset:2064
	ds_read2_b32 v[82:83], v51 offset0:160 offset1:176
	ds_read2_b32 v[84:85], v51 offset0:192 offset1:208
	;; [unrolled: 1-line block ×3, first 2 shown]
	s_waitcnt lgkmcnt(9)
	v_pk_fma_f32 v[46:47], v[72:73], v[56:57], v[46:47] op_sel_hi:[1,0,1]
	v_add_u32_e32 v55, 0x400, v51
	s_waitcnt lgkmcnt(8)
	v_pk_fma_f32 v[46:47], v[74:75], v[56:57], v[46:47] op_sel:[0,1,0]
	v_mov_b32_e32 v56, v59
	s_waitcnt lgkmcnt(7)
	v_pk_fma_f32 v[46:47], v[76:77], v[58:59], v[46:47] op_sel_hi:[1,0,1]
	ds_read2_b32 v[88:89], v55 offset1:16
	ds_read_b128 v[8:11], v49 offset:2080
	s_waitcnt lgkmcnt(8)
	v_pk_fma_f32 v[46:47], v[78:79], v[56:57], v[46:47] op_sel_hi:[1,0,1]
	ds_read2_b32 v[58:59], v55 offset0:32 offset1:48
	s_waitcnt lgkmcnt(8)
	v_pk_fma_f32 v[46:47], v[80:81], v[60:61], v[46:47] op_sel_hi:[1,0,1]
	v_mov_b32_e32 v56, v63
	s_waitcnt lgkmcnt(5)
	v_pk_fma_f32 v[46:47], v[82:83], v[60:61], v[46:47] op_sel:[0,1,0]
	v_pk_fma_f32 v[44:45], v[72:73], v[64:65], v[44:45] op_sel_hi:[1,0,1]
	s_waitcnt lgkmcnt(4)
	v_pk_fma_f32 v[46:47], v[84:85], v[62:63], v[46:47] op_sel_hi:[1,0,1]
	v_pk_fma_f32 v[44:45], v[74:75], v[64:65], v[44:45] op_sel:[0,1,0]
	s_waitcnt lgkmcnt(3)
	v_pk_fma_f32 v[46:47], v[86:87], v[56:57], v[46:47] op_sel_hi:[1,0,1]
	v_pk_fma_f32 v[44:45], v[76:77], v[66:67], v[44:45] op_sel_hi:[1,0,1]
	s_waitcnt lgkmcnt(2)
	v_pk_fma_f32 v[46:47], v[88:89], v[4:5], v[46:47] op_sel_hi:[1,0,1]
	s_add_u32 s26, s26, 32
	s_waitcnt lgkmcnt(0)
	v_pk_fma_f32 v[4:5], v[58:59], v[4:5], v[46:47] op_sel:[0,1,0]
	v_mov_b32_e32 v46, v67
	v_pk_fma_f32 v[44:45], v[78:79], v[46:47], v[44:45] op_sel_hi:[1,0,1]
	v_mov_b32_e32 v46, v71
	v_pk_fma_f32 v[44:45], v[80:81], v[68:69], v[44:45] op_sel_hi:[1,0,1]
	s_addc_u32 s27, s27, 0
	v_pk_fma_f32 v[44:45], v[82:83], v[68:69], v[44:45] op_sel:[0,1,0]
	v_lshl_add_u64 v[42:43], v[42:43], 0, s[50:51]
	v_pk_fma_f32 v[44:45], v[84:85], v[70:71], v[44:45] op_sel_hi:[1,0,1]
	v_lshl_add_u64 v[30:31], v[30:31], 0, s[42:43]
	v_pk_fma_f32 v[56:57], v[86:87], v[46:47], v[44:45] op_sel_hi:[1,0,1]
	ds_read_b128 v[44:47], v49 offset:2096
	ds_read2_b32 v[64:65], v55 offset0:64 offset1:80
	ds_read2_b32 v[66:67], v55 offset0:96 offset1:112
	;; [unrolled: 1-line block ×6, first 2 shown]
	s_waitcnt lgkmcnt(5)
	v_pk_fma_f32 v[4:5], v[64:65], v[6:7], v[4:5] op_sel_hi:[1,0,1]
	v_mov_b32_e32 v6, v7
	s_waitcnt lgkmcnt(4)
	v_pk_fma_f32 v[4:5], v[66:67], v[6:7], v[4:5] op_sel_hi:[1,0,1]
	v_pk_fma_f32 v[56:57], v[88:89], v[8:9], v[56:57] op_sel_hi:[1,0,1]
	v_add_u32_e32 v55, 0x800, v51
	s_waitcnt lgkmcnt(3)
	v_pk_fma_f32 v[4:5], v[68:69], v[0:1], v[4:5] op_sel_hi:[1,0,1]
	v_pk_fma_f32 v[8:9], v[58:59], v[8:9], v[56:57] op_sel:[0,1,0]
	ds_read2_b32 v[76:77], v55 offset1:16
	ds_read2_b32 v[78:79], v55 offset0:32 offset1:48
	ds_read2_b32 v[80:81], v55 offset0:64 offset1:80
	;; [unrolled: 1-line block ×3, first 2 shown]
	ds_read_b128 v[56:59], v49 offset:64
	ds_read_b128 v[60:63], v49 offset:80
	ds_read2_b32 v[84:85], v55 offset0:128 offset1:144
	s_waitcnt lgkmcnt(9)
	v_pk_fma_f32 v[0:1], v[70:71], v[0:1], v[4:5] op_sel:[0,1,0]
	v_pk_fma_f32 v[8:9], v[64:65], v[10:11], v[8:9] op_sel_hi:[1,0,1]
	s_waitcnt lgkmcnt(8)
	v_pk_fma_f32 v[0:1], v[72:73], v[2:3], v[0:1] op_sel_hi:[1,0,1]
	v_mov_b32_e32 v2, v3
	s_waitcnt lgkmcnt(7)
	v_pk_fma_f32 v[0:1], v[74:75], v[2:3], v[0:1] op_sel_hi:[1,0,1]
	s_waitcnt lgkmcnt(2)
	v_mov_b32_e32 v2, v59
	v_pk_fma_f32 v[0:1], v[76:77], v[56:57], v[0:1] op_sel_hi:[1,0,1]
	v_mov_b32_e32 v10, v11
	v_pk_fma_f32 v[0:1], v[78:79], v[56:57], v[0:1] op_sel:[0,1,0]
	v_pk_fma_f32 v[8:9], v[66:67], v[10:11], v[8:9] op_sel_hi:[1,0,1]
	v_pk_fma_f32 v[0:1], v[80:81], v[58:59], v[0:1] op_sel_hi:[1,0,1]
	;; [unrolled: 1-line block ×4, first 2 shown]
	v_pk_fma_f32 v[8:9], v[70:71], v[44:45], v[8:9] op_sel:[0,1,0]
	s_waitcnt lgkmcnt(0)
	v_pk_fma_f32 v[86:87], v[84:85], v[60:61], v[0:1] op_sel_hi:[1,0,1]
	ds_read_b128 v[0:3], v49 offset:2112
	ds_read_b128 v[4:7], v49 offset:2128
	v_pk_fma_f32 v[8:9], v[72:73], v[46:47], v[8:9] op_sel_hi:[1,0,1]
	v_mov_b32_e32 v10, v47
	v_pk_fma_f32 v[8:9], v[74:75], v[10:11], v[8:9] op_sel_hi:[1,0,1]
	ds_read2_b32 v[68:69], v55 offset0:160 offset1:176
	ds_read2_b32 v[70:71], v55 offset0:192 offset1:208
	;; [unrolled: 1-line block ×3, first 2 shown]
	s_waitcnt lgkmcnt(4)
	v_pk_fma_f32 v[8:9], v[76:77], v[0:1], v[8:9] op_sel_hi:[1,0,1]
	v_add_u32_e32 v46, 0xc00, v51
	v_pk_fma_f32 v[0:1], v[78:79], v[0:1], v[8:9] op_sel:[0,1,0]
	s_cmp_ge_i32 s26, s58
	v_pk_fma_f32 v[0:1], v[80:81], v[2:3], v[0:1] op_sel_hi:[1,0,1]
	v_mov_b32_e32 v2, v3
	v_pk_fma_f32 v[0:1], v[82:83], v[2:3], v[0:1] op_sel_hi:[1,0,1]
	v_lshl_add_u64 v[32:33], v[32:33], 0, s[42:43]
	s_waitcnt lgkmcnt(3)
	v_pk_fma_f32 v[44:45], v[84:85], v[4:5], v[0:1] op_sel_hi:[1,0,1]
	ds_read2_b32 v[74:75], v46 offset1:16
	ds_read2_b32 v[76:77], v46 offset0:32 offset1:48
	ds_read2_b32 v[78:79], v46 offset0:64 offset1:80
	;; [unrolled: 1-line block ×3, first 2 shown]
	ds_read_b128 v[0:3], v49 offset:96
	ds_read_b128 v[8:11], v49 offset:112
	ds_read2_b32 v[82:83], v46 offset0:128 offset1:144
	ds_read_b128 v[56:59], v49 offset:2144
	ds_read_b128 v[64:67], v49 offset:2160
	ds_read2_b32 v[84:85], v46 offset0:160 offset1:176
	ds_read2_b32 v[88:89], v46 offset0:192 offset1:208
	;; [unrolled: 1-line block ×3, first 2 shown]
	s_waitcnt lgkmcnt(14)
	v_pk_fma_f32 v[46:47], v[68:69], v[60:61], v[86:87] op_sel:[0,1,0]
	v_mov_b32_e32 v60, v63
	s_waitcnt lgkmcnt(13)
	v_pk_fma_f32 v[46:47], v[70:71], v[62:63], v[46:47] op_sel_hi:[1,0,1]
	s_waitcnt lgkmcnt(0)
	v_pk_fma_f32 v[46:47], v[72:73], v[60:61], v[46:47] op_sel_hi:[1,0,1]
	s_barrier
	v_pk_fma_f32 v[46:47], v[74:75], v[0:1], v[46:47] op_sel_hi:[1,0,1]
	s_nop 0
	v_pk_fma_f32 v[0:1], v[76:77], v[0:1], v[46:47] op_sel:[0,1,0]
	s_nop 0
	v_pk_fma_f32 v[0:1], v[78:79], v[2:3], v[0:1] op_sel_hi:[1,0,1]
	v_mov_b32_e32 v2, v3
	v_pk_fma_f32 v[0:1], v[80:81], v[2:3], v[0:1] op_sel_hi:[1,0,1]
	v_mov_b32_e32 v2, v11
	v_pk_fma_f32 v[0:1], v[82:83], v[8:9], v[0:1] op_sel_hi:[1,0,1]
	s_nop 0
	v_pk_fma_f32 v[0:1], v[84:85], v[8:9], v[0:1] op_sel:[0,1,0]
	s_nop 0
	v_pk_fma_f32 v[0:1], v[88:89], v[10:11], v[0:1] op_sel_hi:[1,0,1]
	s_nop 0
	v_pk_fma_f32 v[46:47], v[90:91], v[2:3], v[0:1] op_sel_hi:[1,0,1]
	v_pk_fma_f32 v[0:1], v[68:69], v[4:5], v[44:45] op_sel:[0,1,0]
	v_mov_b32_e32 v2, v7
	v_pk_fma_f32 v[0:1], v[70:71], v[6:7], v[0:1] op_sel_hi:[1,0,1]
	s_nop 0
	v_pk_fma_f32 v[0:1], v[72:73], v[2:3], v[0:1] op_sel_hi:[1,0,1]
	v_mov_b32_e32 v2, v59
	v_pk_fma_f32 v[0:1], v[74:75], v[56:57], v[0:1] op_sel_hi:[1,0,1]
	s_nop 0
	v_pk_fma_f32 v[0:1], v[76:77], v[56:57], v[0:1] op_sel:[0,1,0]
	s_nop 0
	v_pk_fma_f32 v[0:1], v[78:79], v[58:59], v[0:1] op_sel_hi:[1,0,1]
	s_nop 0
	v_pk_fma_f32 v[0:1], v[80:81], v[2:3], v[0:1] op_sel_hi:[1,0,1]
	v_mov_b32_e32 v2, v67
	v_pk_fma_f32 v[0:1], v[82:83], v[64:65], v[0:1] op_sel_hi:[1,0,1]
	s_nop 0
	v_pk_fma_f32 v[0:1], v[84:85], v[64:65], v[0:1] op_sel:[0,1,0]
	s_nop 0
	v_pk_fma_f32 v[0:1], v[88:89], v[66:67], v[0:1] op_sel_hi:[1,0,1]
	s_nop 0
	v_pk_fma_f32 v[44:45], v[90:91], v[2:3], v[0:1] op_sel_hi:[1,0,1]
	s_cbranch_scc1 .LBB22_43
.LBB22_7:                               ;   Parent Loop BB22_4 Depth=1
                                        ; =>  This Inner Loop Header: Depth=2
	v_lshl_add_u64 v[2:3], v[16:17], 0, s[26:27]
	v_cmp_eq_u64_e64 s[4:5], s[26:27], v[24:25]
	v_cmp_lt_i64_e64 s[10:11], v[2:3], v[22:23]
	s_and_b64 s[30:31], s[40:41], s[4:5]
	v_cmp_le_i64_e64 s[12:13], s[46:47], v[2:3]
	s_or_b64 s[4:5], s[6:7], s[10:11]
	s_or_b64 s[4:5], s[12:13], s[4:5]
	v_lshl_add_u64 v[0:1], v[32:33], 0, v[28:29]
	s_nor_b64 s[4:5], s[4:5], s[30:31]
                                        ; implicit-def: $vgpr4
	s_and_saveexec_b64 s[14:15], s[4:5]
	s_xor_b64 s[4:5], exec, s[14:15]
	s_cbranch_execz .LBB22_9
; %bb.8:                                ;   in Loop: Header=BB22_7 Depth=2
	global_load_dword v4, v[0:1], off
.LBB22_9:                               ;   in Loop: Header=BB22_7 Depth=2
	s_andn2_saveexec_b64 s[4:5], s[4:5]
	s_cbranch_execz .LBB22_11
; %bb.10:                               ;   in Loop: Header=BB22_7 Depth=2
	s_waitcnt vmcnt(0)
	v_cndmask_b32_e64 v4, 0, 1.0, s[30:31]
.LBB22_11:                              ;   in Loop: Header=BB22_7 Depth=2
	s_or_b64 exec, exec, s[4:5]
	s_waitcnt vmcnt(0)
	ds_write_b32 v50, v4
	v_lshl_add_u64 v[4:5], v[2:3], 0, 16
	v_cmp_eq_u64_e64 s[4:5], s[26:27], v[40:41]
	s_and_b64 s[38:39], s[40:41], s[4:5]
	v_cmp_lt_i64_e64 s[4:5], v[4:5], v[22:23]
	v_cmp_le_i64_e64 s[14:15], s[46:47], v[4:5]
	s_or_b64 s[4:5], s[6:7], s[4:5]
	s_or_b64 s[4:5], s[14:15], s[4:5]
	s_nor_b64 s[4:5], s[4:5], s[38:39]
	v_lshl_add_u64 v[4:5], v[30:31], 0, v[28:29]
	s_and_saveexec_b64 s[60:61], s[4:5]
	s_xor_b64 s[4:5], exec, s[60:61]
	s_cbranch_execz .LBB22_13
; %bb.12:                               ;   in Loop: Header=BB22_7 Depth=2
	global_load_dword v6, v[4:5], off
	s_waitcnt vmcnt(0)
	ds_write_b32 v50, v6 offset:64
.LBB22_13:                              ;   in Loop: Header=BB22_7 Depth=2
	s_andn2_saveexec_b64 s[4:5], s[4:5]
	s_cbranch_execz .LBB22_19
; %bb.14:                               ;   in Loop: Header=BB22_7 Depth=2
	s_xor_b64 s[38:39], s[38:39], -1
	s_and_saveexec_b64 s[60:61], s[38:39]
	s_xor_b64 s[38:39], exec, s[60:61]
; %bb.15:                               ;   in Loop: Header=BB22_7 Depth=2
	ds_write_b32 v50, v53 offset:64
; %bb.16:                               ;   in Loop: Header=BB22_7 Depth=2
	s_andn2_saveexec_b64 s[38:39], s[38:39]
; %bb.17:                               ;   in Loop: Header=BB22_7 Depth=2
	ds_write_b32 v50, v54 offset:64
; %bb.18:                               ;   in Loop: Header=BB22_7 Depth=2
	s_or_b64 exec, exec, s[38:39]
.LBB22_19:                              ;   in Loop: Header=BB22_7 Depth=2
	s_or_b64 exec, exec, s[4:5]
	v_cmp_eq_u64_e64 s[4:5], s[26:27], v[38:39]
	s_and_b64 s[38:39], s[40:41], s[4:5]
	v_cmp_lt_i64_e64 s[4:5], v[2:3], v[36:37]
	s_or_b64 s[4:5], s[8:9], s[4:5]
	s_or_b64 s[4:5], s[4:5], s[38:39]
	s_nor_b64 s[4:5], s[12:13], s[4:5]
                                        ; implicit-def: $vgpr2
	s_and_saveexec_b64 s[12:13], s[4:5]
	s_xor_b64 s[4:5], exec, s[12:13]
	s_cbranch_execz .LBB22_21
; %bb.20:                               ;   in Loop: Header=BB22_7 Depth=2
	global_load_dword v2, v[0:1], off offset:64
.LBB22_21:                              ;   in Loop: Header=BB22_7 Depth=2
	s_andn2_saveexec_b64 s[4:5], s[4:5]
	s_cbranch_execz .LBB22_23
; %bb.22:                               ;   in Loop: Header=BB22_7 Depth=2
	s_waitcnt vmcnt(0)
	v_cndmask_b32_e64 v2, 0, 1.0, s[38:39]
.LBB22_23:                              ;   in Loop: Header=BB22_7 Depth=2
	s_or_b64 exec, exec, s[4:5]
	s_or_b64 s[4:5], s[8:9], s[10:11]
	s_or_b64 s[4:5], s[14:15], s[4:5]
	s_nor_b64 s[4:5], s[4:5], s[30:31]
	s_waitcnt vmcnt(0)
	ds_write_b32 v50, v2 offset:2048
	s_and_saveexec_b64 s[10:11], s[4:5]
	s_xor_b64 s[4:5], exec, s[10:11]
	s_cbranch_execz .LBB22_25
; %bb.24:                               ;   in Loop: Header=BB22_7 Depth=2
	global_load_dword v0, v[4:5], off offset:64
	s_waitcnt vmcnt(0)
	ds_write_b32 v50, v0 offset:2112
.LBB22_25:                              ;   in Loop: Header=BB22_7 Depth=2
	s_andn2_saveexec_b64 s[4:5], s[4:5]
	s_cbranch_execz .LBB22_31
; %bb.26:                               ;   in Loop: Header=BB22_7 Depth=2
	s_xor_b64 s[10:11], s[30:31], -1
	s_and_saveexec_b64 s[12:13], s[10:11]
	s_xor_b64 s[10:11], exec, s[12:13]
; %bb.27:                               ;   in Loop: Header=BB22_7 Depth=2
	ds_write_b32 v50, v53 offset:2112
; %bb.28:                               ;   in Loop: Header=BB22_7 Depth=2
	s_andn2_saveexec_b64 s[10:11], s[10:11]
; %bb.29:                               ;   in Loop: Header=BB22_7 Depth=2
	ds_write_b32 v50, v54 offset:2112
; %bb.30:                               ;   in Loop: Header=BB22_7 Depth=2
	s_or_b64 exec, exec, s[10:11]
.LBB22_31:                              ;   in Loop: Header=BB22_7 Depth=2
	s_or_b64 exec, exec, s[4:5]
	v_lshl_add_u64 v[0:1], v[18:19], 0, s[26:27]
	v_cmp_le_i64_e64 s[10:11], s[46:47], v[0:1]
	v_lshl_add_u64 v[2:3], v[26:27], 0, v[42:43]
	s_nor_b64 s[12:13], s[10:11], vcc
	v_mov_b32_e32 v4, 0
	s_and_saveexec_b64 s[4:5], s[12:13]
	s_cbranch_execz .LBB22_33
; %bb.32:                               ;   in Loop: Header=BB22_7 Depth=2
	global_load_dword v4, v[2:3], off offset:-64
.LBB22_33:                              ;   in Loop: Header=BB22_7 Depth=2
	s_or_b64 exec, exec, s[4:5]
	s_nor_b64 s[4:5], s[10:11], s[0:1]
	s_waitcnt vmcnt(0)
	ds_write_b32 v52, v4
	s_and_saveexec_b64 s[10:11], s[4:5]
	s_xor_b64 s[4:5], exec, s[10:11]
	s_cbranch_execz .LBB22_35
; %bb.34:                               ;   in Loop: Header=BB22_7 Depth=2
	global_load_dword v2, v[2:3], off
	s_waitcnt vmcnt(0)
	ds_write_b32 v52, v2 offset:64
.LBB22_35:                              ;   in Loop: Header=BB22_7 Depth=2
	s_andn2_saveexec_b64 s[4:5], s[4:5]
; %bb.36:                               ;   in Loop: Header=BB22_7 Depth=2
	ds_write_b32 v52, v53 offset:64
; %bb.37:                               ;   in Loop: Header=BB22_7 Depth=2
	s_or_b64 exec, exec, s[4:5]
	v_cmp_le_i64_e64 s[10:11], s[52:53], v[0:1]
	v_lshl_add_u64 v[0:1], v[34:35], 0, v[42:43]
	s_nor_b64 s[12:13], s[10:11], vcc
	v_mov_b32_e32 v2, 0
	s_and_saveexec_b64 s[4:5], s[12:13]
	s_cbranch_execz .LBB22_39
; %bb.38:                               ;   in Loop: Header=BB22_7 Depth=2
	global_load_dword v2, v[0:1], off
.LBB22_39:                              ;   in Loop: Header=BB22_7 Depth=2
	s_or_b64 exec, exec, s[4:5]
	s_nor_b64 s[4:5], s[10:11], s[0:1]
	s_waitcnt vmcnt(0)
	ds_write_b32 v52, v2 offset:2048
	s_and_saveexec_b64 s[10:11], s[4:5]
	s_xor_b64 s[4:5], exec, s[10:11]
	s_cbranch_execz .LBB22_41
; %bb.40:                               ;   in Loop: Header=BB22_7 Depth=2
	global_load_dword v0, v[0:1], off offset:64
	s_waitcnt vmcnt(0)
	ds_write_b32 v52, v0 offset:2112
.LBB22_41:                              ;   in Loop: Header=BB22_7 Depth=2
	s_andn2_saveexec_b64 s[4:5], s[4:5]
	s_cbranch_execz .LBB22_6
; %bb.42:                               ;   in Loop: Header=BB22_7 Depth=2
	ds_write_b32 v52, v53 offset:2112
	s_branch .LBB22_6
.LBB22_43:                              ;   in Loop: Header=BB22_4 Depth=1
	v_mul_lo_u32 v2, s49, v22
	v_mul_lo_u32 v3, s48, v23
	v_mad_u64_u32 v[0:1], s[4:5], s48, v22, 0
	v_cmp_gt_i32_e64 s[6:7], s46, v22
	v_add3_u32 v1, v1, v3, v2
	v_lshl_add_u64 v[0:1], v[0:1], 2, s[34:35]
	s_and_b64 s[8:9], s[16:17], s[6:7]
	s_and_saveexec_b64 s[4:5], s[8:9]
	s_cbranch_execz .LBB22_45
; %bb.44:                               ;   in Loop: Header=BB22_4 Depth=1
	v_lshl_add_u64 v[2:3], v[12:13], 2, v[0:1]
	global_load_dword v4, v[2:3], off
	s_waitcnt vmcnt(0)
	v_fmac_f32_e32 v4, s33, v46
	global_store_dword v[2:3], v4, off
.LBB22_45:                              ;   in Loop: Header=BB22_4 Depth=1
	s_or_b64 exec, exec, s[4:5]
	s_and_b64 s[6:7], s[18:19], s[6:7]
	s_and_saveexec_b64 s[4:5], s[6:7]
	s_cbranch_execz .LBB22_47
; %bb.46:                               ;   in Loop: Header=BB22_4 Depth=1
	v_lshl_add_u64 v[0:1], v[14:15], 2, v[0:1]
	global_load_dword v2, v[0:1], off
	s_waitcnt vmcnt(0)
	v_fmac_f32_e32 v2, s33, v47
	global_store_dword v[0:1], v2, off
.LBB22_47:                              ;   in Loop: Header=BB22_4 Depth=1
	s_or_b64 exec, exec, s[4:5]
	v_add_u32_e32 v0, 16, v22
	v_ashrrev_i32_e32 v1, 31, v0
	v_cmp_gt_i32_e64 s[6:7], s46, v0
	v_mul_lo_u32 v2, s48, v1
	v_mul_lo_u32 v3, s49, v0
	v_mad_u64_u32 v[0:1], s[4:5], s48, v0, 0
	v_add3_u32 v1, v1, v2, v3
	v_lshl_add_u64 v[0:1], v[0:1], 2, s[34:35]
	s_and_b64 s[8:9], s[16:17], s[6:7]
	s_and_saveexec_b64 s[4:5], s[8:9]
	s_cbranch_execz .LBB22_49
; %bb.48:                               ;   in Loop: Header=BB22_4 Depth=1
	v_lshl_add_u64 v[2:3], v[12:13], 2, v[0:1]
	global_load_dword v4, v[2:3], off
	s_waitcnt vmcnt(0)
	v_fmac_f32_e32 v4, s33, v44
	global_store_dword v[2:3], v4, off
.LBB22_49:                              ;   in Loop: Header=BB22_4 Depth=1
	s_or_b64 exec, exec, s[4:5]
	s_and_b64 s[6:7], s[18:19], s[6:7]
	s_and_saveexec_b64 s[4:5], s[6:7]
	s_cbranch_execz .LBB22_3
; %bb.50:                               ;   in Loop: Header=BB22_4 Depth=1
	v_lshl_add_u64 v[0:1], v[14:15], 2, v[0:1]
	global_load_dword v2, v[0:1], off
	s_waitcnt vmcnt(0)
	v_fmac_f32_e32 v2, s33, v45
	global_store_dword v[0:1], v2, off
	s_branch .LBB22_3
.LBB22_51:
	s_endpgm
	.section	.rodata,"a",@progbits
	.p2align	6, 0x0
	.amdhsa_kernel _ZL30rocblas_trmm_outofplace_kernelIfLi32ELi2ELb0ELb1ELb1ELb1EPKfS0_fEv17rocblas_diagonal_iiT6_lPT7_lllS5_lllPT8_llli
		.amdhsa_group_segment_fixed_size 8192
		.amdhsa_private_segment_fixed_size 0
		.amdhsa_kernarg_size 392
		.amdhsa_user_sgpr_count 2
		.amdhsa_user_sgpr_dispatch_ptr 0
		.amdhsa_user_sgpr_queue_ptr 0
		.amdhsa_user_sgpr_kernarg_segment_ptr 1
		.amdhsa_user_sgpr_dispatch_id 0
		.amdhsa_user_sgpr_kernarg_preload_length 0
		.amdhsa_user_sgpr_kernarg_preload_offset 0
		.amdhsa_user_sgpr_private_segment_size 0
		.amdhsa_uses_dynamic_stack 0
		.amdhsa_enable_private_segment 0
		.amdhsa_system_sgpr_workgroup_id_x 1
		.amdhsa_system_sgpr_workgroup_id_y 1
		.amdhsa_system_sgpr_workgroup_id_z 1
		.amdhsa_system_sgpr_workgroup_info 0
		.amdhsa_system_vgpr_workitem_id 1
		.amdhsa_next_free_vgpr 92
		.amdhsa_next_free_sgpr 62
		.amdhsa_accum_offset 92
		.amdhsa_reserve_vcc 1
		.amdhsa_float_round_mode_32 0
		.amdhsa_float_round_mode_16_64 0
		.amdhsa_float_denorm_mode_32 3
		.amdhsa_float_denorm_mode_16_64 3
		.amdhsa_dx10_clamp 1
		.amdhsa_ieee_mode 1
		.amdhsa_fp16_overflow 0
		.amdhsa_tg_split 0
		.amdhsa_exception_fp_ieee_invalid_op 0
		.amdhsa_exception_fp_denorm_src 0
		.amdhsa_exception_fp_ieee_div_zero 0
		.amdhsa_exception_fp_ieee_overflow 0
		.amdhsa_exception_fp_ieee_underflow 0
		.amdhsa_exception_fp_ieee_inexact 0
		.amdhsa_exception_int_div_zero 0
	.end_amdhsa_kernel
	.section	.text._ZL30rocblas_trmm_outofplace_kernelIfLi32ELi2ELb0ELb1ELb1ELb1EPKfS0_fEv17rocblas_diagonal_iiT6_lPT7_lllS5_lllPT8_llli,"axG",@progbits,_ZL30rocblas_trmm_outofplace_kernelIfLi32ELi2ELb0ELb1ELb1ELb1EPKfS0_fEv17rocblas_diagonal_iiT6_lPT7_lllS5_lllPT8_llli,comdat
.Lfunc_end22:
	.size	_ZL30rocblas_trmm_outofplace_kernelIfLi32ELi2ELb0ELb1ELb1ELb1EPKfS0_fEv17rocblas_diagonal_iiT6_lPT7_lllS5_lllPT8_llli, .Lfunc_end22-_ZL30rocblas_trmm_outofplace_kernelIfLi32ELi2ELb0ELb1ELb1ELb1EPKfS0_fEv17rocblas_diagonal_iiT6_lPT7_lllS5_lllPT8_llli
                                        ; -- End function
	.set _ZL30rocblas_trmm_outofplace_kernelIfLi32ELi2ELb0ELb1ELb1ELb1EPKfS0_fEv17rocblas_diagonal_iiT6_lPT7_lllS5_lllPT8_llli.num_vgpr, 92
	.set _ZL30rocblas_trmm_outofplace_kernelIfLi32ELi2ELb0ELb1ELb1ELb1EPKfS0_fEv17rocblas_diagonal_iiT6_lPT7_lllS5_lllPT8_llli.num_agpr, 0
	.set _ZL30rocblas_trmm_outofplace_kernelIfLi32ELi2ELb0ELb1ELb1ELb1EPKfS0_fEv17rocblas_diagonal_iiT6_lPT7_lllS5_lllPT8_llli.numbered_sgpr, 62
	.set _ZL30rocblas_trmm_outofplace_kernelIfLi32ELi2ELb0ELb1ELb1ELb1EPKfS0_fEv17rocblas_diagonal_iiT6_lPT7_lllS5_lllPT8_llli.num_named_barrier, 0
	.set _ZL30rocblas_trmm_outofplace_kernelIfLi32ELi2ELb0ELb1ELb1ELb1EPKfS0_fEv17rocblas_diagonal_iiT6_lPT7_lllS5_lllPT8_llli.private_seg_size, 0
	.set _ZL30rocblas_trmm_outofplace_kernelIfLi32ELi2ELb0ELb1ELb1ELb1EPKfS0_fEv17rocblas_diagonal_iiT6_lPT7_lllS5_lllPT8_llli.uses_vcc, 1
	.set _ZL30rocblas_trmm_outofplace_kernelIfLi32ELi2ELb0ELb1ELb1ELb1EPKfS0_fEv17rocblas_diagonal_iiT6_lPT7_lllS5_lllPT8_llli.uses_flat_scratch, 0
	.set _ZL30rocblas_trmm_outofplace_kernelIfLi32ELi2ELb0ELb1ELb1ELb1EPKfS0_fEv17rocblas_diagonal_iiT6_lPT7_lllS5_lllPT8_llli.has_dyn_sized_stack, 0
	.set _ZL30rocblas_trmm_outofplace_kernelIfLi32ELi2ELb0ELb1ELb1ELb1EPKfS0_fEv17rocblas_diagonal_iiT6_lPT7_lllS5_lllPT8_llli.has_recursion, 0
	.set _ZL30rocblas_trmm_outofplace_kernelIfLi32ELi2ELb0ELb1ELb1ELb1EPKfS0_fEv17rocblas_diagonal_iiT6_lPT7_lllS5_lllPT8_llli.has_indirect_call, 0
	.section	.AMDGPU.csdata,"",@progbits
; Kernel info:
; codeLenInByte = 2892
; TotalNumSgprs: 68
; NumVgprs: 92
; NumAgprs: 0
; TotalNumVgprs: 92
; ScratchSize: 0
; MemoryBound: 0
; FloatMode: 240
; IeeeMode: 1
; LDSByteSize: 8192 bytes/workgroup (compile time only)
; SGPRBlocks: 8
; VGPRBlocks: 11
; NumSGPRsForWavesPerEU: 68
; NumVGPRsForWavesPerEU: 92
; AccumOffset: 92
; Occupancy: 5
; WaveLimiterHint : 0
; COMPUTE_PGM_RSRC2:SCRATCH_EN: 0
; COMPUTE_PGM_RSRC2:USER_SGPR: 2
; COMPUTE_PGM_RSRC2:TRAP_HANDLER: 0
; COMPUTE_PGM_RSRC2:TGID_X_EN: 1
; COMPUTE_PGM_RSRC2:TGID_Y_EN: 1
; COMPUTE_PGM_RSRC2:TGID_Z_EN: 1
; COMPUTE_PGM_RSRC2:TIDIG_COMP_CNT: 1
; COMPUTE_PGM_RSRC3_GFX90A:ACCUM_OFFSET: 22
; COMPUTE_PGM_RSRC3_GFX90A:TG_SPLIT: 0
	.section	.text._ZL30rocblas_trmm_outofplace_kernelIfLi32ELi2ELb0ELb1ELb1ELb1EfKffEv17rocblas_diagonal_iiT6_lPT7_lllS4_lllPT8_llli,"axG",@progbits,_ZL30rocblas_trmm_outofplace_kernelIfLi32ELi2ELb0ELb1ELb1ELb1EfKffEv17rocblas_diagonal_iiT6_lPT7_lllS4_lllPT8_llli,comdat
	.globl	_ZL30rocblas_trmm_outofplace_kernelIfLi32ELi2ELb0ELb1ELb1ELb1EfKffEv17rocblas_diagonal_iiT6_lPT7_lllS4_lllPT8_llli ; -- Begin function _ZL30rocblas_trmm_outofplace_kernelIfLi32ELi2ELb0ELb1ELb1ELb1EfKffEv17rocblas_diagonal_iiT6_lPT7_lllS4_lllPT8_llli
	.p2align	8
	.type	_ZL30rocblas_trmm_outofplace_kernelIfLi32ELi2ELb0ELb1ELb1ELb1EfKffEv17rocblas_diagonal_iiT6_lPT7_lllS4_lllPT8_llli,@function
_ZL30rocblas_trmm_outofplace_kernelIfLi32ELi2ELb0ELb1ELb1ELb1EfKffEv17rocblas_diagonal_iiT6_lPT7_lllS4_lllPT8_llli: ; @_ZL30rocblas_trmm_outofplace_kernelIfLi32ELi2ELb0ELb1ELb1ELb1EfKffEv17rocblas_diagonal_iiT6_lPT7_lllS4_lllPT8_llli
; %bb.0:
	s_load_dwordx4 s[24:27], s[0:1], 0x0
	s_waitcnt lgkmcnt(0)
	v_cmp_eq_f32_e64 s[6:7], s27, 0
	s_and_b64 vcc, exec, s[6:7]
	s_cbranch_vccnz .LBB23_51
; %bb.1:
	s_add_i32 s5, s26, -1
	s_ashr_i32 s6, s5, 31
	s_lshr_b32 s6, s6, 27
	s_add_i32 s5, s5, s6
	s_ashr_i32 s33, s5, 5
	s_cmp_gt_i32 s3, s33
	s_cbranch_scc1 .LBB23_51
; %bb.2:
	s_load_dwordx8 s[16:23], s[0:1], 0x58
	s_load_dwordx16 s[36:51], s[0:1], 0x18
	v_and_b32_e32 v2, 0x3ff, v0
	v_lshl_add_u32 v12, s2, 5, v2
	v_bfe_u32 v48, v0, 10, 10
	s_waitcnt lgkmcnt(0)
	s_mul_i32 s5, s23, s4
	s_mul_hi_u32 s7, s22, s4
	s_mul_i32 s6, s22, s4
	s_add_i32 s7, s7, s5
	s_lshl_b64 s[6:7], s[6:7], 2
	s_add_u32 s5, s16, s6
	s_addc_u32 s8, s17, s7
	s_lshl_b64 s[6:7], s[18:19], 2
	s_add_u32 s22, s5, s6
	s_addc_u32 s23, s8, s7
	s_cmpk_eq_i32 s24, 0x84
	s_cselect_b64 s[28:29], -1, 0
	s_ashr_i32 s2, s25, 31
	v_mov_b32_e32 v1, s2
	s_load_dword s2, s[0:1], 0x84
	s_ashr_i32 s31, s26, 31
	s_lshl_b64 s[34:35], s[40:41], 7
	s_lshl_b64 s[52:53], s[48:49], 7
	s_add_u32 s54, s26, -16
	s_addc_u32 s55, s31, -1
	s_lshl_b32 s5, s3, 5
	s_waitcnt lgkmcnt(0)
	s_lshl_b32 s58, s2, 5
	v_add_u32_e32 v14, 16, v12
	v_add_u32_e32 v16, s5, v2
	;; [unrolled: 1-line block ×3, first 2 shown]
	s_add_u32 s24, s44, 64
	s_mul_i32 s5, s51, s4
	s_mul_hi_u32 s6, s50, s4
	v_sub_co_u32_e32 v0, vcc, s25, v12
	v_cmp_gt_i32_e64 s[16:17], s25, v12
	v_cmp_gt_i32_e64 s[18:19], s25, v14
	s_addc_u32 s25, s45, 0
	s_add_i32 s7, s6, s5
	s_mul_i32 s6, s50, s4
	s_lshl_b64 s[56:57], s[48:49], 2
	s_lshl_b64 s[6:7], s[6:7], 2
	;; [unrolled: 1-line block ×3, first 2 shown]
	s_add_u32 s6, s6, s8
	v_ashrrev_i32_e32 v13, 31, v12
	s_addc_u32 s7, s7, s9
	v_lshl_add_u64 v[20:21], v[12:13], 2, s[6:7]
	s_mul_i32 s5, s43, s4
	s_mul_hi_u32 s6, s42, s4
	s_add_i32 s5, s6, s5
	s_mul_i32 s4, s42, s4
	s_lshl_b64 s[4:5], s[4:5], 2
	s_lshl_b64 s[6:7], s[38:39], 2
	s_add_u32 s4, s4, s6
	v_lshlrev_b32_e32 v3, 2, v2
	s_addc_u32 s5, s5, s7
	v_lshlrev_b32_e32 v49, 7, v48
	v_subb_co_u32_e32 v1, vcc, v1, v13, vcc
	v_or_b32_e32 v51, 0x1000, v3
	s_add_u32 s36, s36, s4
	s_mov_b32 s30, s26
	v_add_u32_e32 v50, v49, v3
	v_add_u32_e32 v52, v51, v49
	v_cmp_gt_i64_e32 vcc, 1, v[0:1]
	v_cmp_gt_i64_e64 s[0:1], 17, v[0:1]
	v_ashrrev_i32_e32 v15, 31, v14
	s_addc_u32 s37, s37, s5
	s_lshl_b64 s[38:39], s[40:41], 2
	v_mov_b32_e32 v53, 0
	v_mov_b32_e32 v54, 1.0
	s_branch .LBB23_4
.LBB23_3:                               ;   in Loop: Header=BB23_4 Depth=1
	s_or_b64 exec, exec, s[4:5]
	s_add_i32 s3, s2, s3
	v_add_u32_e32 v16, s58, v16
	s_cmp_le_i32 s3, s33
	v_add_u32_e32 v18, s58, v18
	s_cbranch_scc0 .LBB23_51
.LBB23_4:                               ; =>This Loop Header: Depth=1
                                        ;     Child Loop BB23_7 Depth 2
	s_lshl_b32 s4, s3, 5
	v_add_u32_e32 v22, s4, v48
	s_sub_i32 s59, s26, s4
	v_ashrrev_i32_e32 v17, 31, v16
	v_ashrrev_i32_e32 v19, 31, v18
	;; [unrolled: 1-line block ×3, first 2 shown]
	s_cmp_lt_i32 s59, 1
	v_mov_b32_e32 v47, 0
	v_mov_b32_e32 v46, 0
	;; [unrolled: 1-line block ×4, first 2 shown]
	s_cbranch_scc1 .LBB23_43
; %bb.5:                                ;   in Loop: Header=BB23_4 Depth=1
	v_sub_co_u32_e64 v24, s[4:5], v18, v16
	v_mov_b64_e32 v[0:1], s[24:25]
	s_nop 0
	v_subb_co_u32_e64 v25, s[4:5], v19, v17, s[4:5]
	v_mad_u64_u32 v[26:27], s[4:5], s56, v18, v[0:1]
	v_mul_lo_u32 v0, s56, v19
	v_mul_lo_u32 v1, s57, v18
	v_add3_u32 v27, v1, v27, v0
	v_lshl_add_u64 v[0:1], v[16:17], 2, 64
	v_mov_b64_e32 v[2:3], s[36:37]
	v_mul_lo_u32 v1, s40, v1
	v_mul_lo_u32 v4, s41, v0
	v_mad_u64_u32 v[30:31], s[4:5], s40, v0, v[2:3]
	v_lshlrev_b64 v[28:29], 2, v[18:19]
	v_add3_u32 v31, v4, v31, v1
	v_mad_u64_u32 v[32:33], s[4:5], s38, v16, v[2:3]
	v_mul_lo_u32 v0, s38, v17
	v_mul_lo_u32 v1, s39, v16
	v_add3_u32 v33, v1, v33, v0
	v_lshl_add_u64 v[0:1], v[28:29], 0, 64
	v_mov_b64_e32 v[2:3], s[44:45]
	v_mul_lo_u32 v1, s48, v1
	v_mul_lo_u32 v4, s49, v0
	v_mad_u64_u32 v[34:35], s[4:5], s48, v0, v[2:3]
	v_lshl_add_u64 v[36:37], v[22:23], 0, 16
	v_mov_b32_e32 v44, 0
	v_add3_u32 v35, v4, v35, v1
	v_cmp_le_i32_e64 s[6:7], s26, v22
	v_cmp_le_i64_e64 s[8:9], s[30:31], v[36:37]
	v_lshl_add_u64 v[38:39], v[24:25], 0, 16
	v_lshl_add_u64 v[40:41], v[24:25], 0, -16
	s_mov_b64 s[42:43], 0
	v_mov_b64_e32 v[42:43], v[20:21]
	v_mov_b32_e32 v45, v44
	v_mov_b32_e32 v46, v44
	v_mov_b32_e32 v47, v44
	s_branch .LBB23_7
.LBB23_6:                               ;   in Loop: Header=BB23_7 Depth=2
	s_or_b64 exec, exec, s[4:5]
	s_waitcnt lgkmcnt(0)
	s_barrier
	ds_read_b128 v[56:59], v49
	ds_read_b128 v[60:63], v49 offset:16
	ds_read_b128 v[4:7], v49 offset:32
	;; [unrolled: 1-line block ×3, first 2 shown]
	ds_read2_b32 v[72:73], v51 offset1:16
	ds_read2_b32 v[74:75], v51 offset0:32 offset1:48
	ds_read2_b32 v[76:77], v51 offset0:64 offset1:80
	;; [unrolled: 1-line block ×4, first 2 shown]
	ds_read_b128 v[64:67], v49 offset:2048
	ds_read_b128 v[68:71], v49 offset:2064
	ds_read2_b32 v[82:83], v51 offset0:160 offset1:176
	ds_read2_b32 v[84:85], v51 offset0:192 offset1:208
	;; [unrolled: 1-line block ×3, first 2 shown]
	s_waitcnt lgkmcnt(9)
	v_pk_fma_f32 v[46:47], v[72:73], v[56:57], v[46:47] op_sel_hi:[1,0,1]
	v_add_u32_e32 v55, 0x400, v51
	s_waitcnt lgkmcnt(8)
	v_pk_fma_f32 v[46:47], v[74:75], v[56:57], v[46:47] op_sel:[0,1,0]
	v_mov_b32_e32 v56, v59
	s_waitcnt lgkmcnt(7)
	v_pk_fma_f32 v[46:47], v[76:77], v[58:59], v[46:47] op_sel_hi:[1,0,1]
	ds_read2_b32 v[88:89], v55 offset1:16
	ds_read_b128 v[8:11], v49 offset:2080
	s_waitcnt lgkmcnt(8)
	v_pk_fma_f32 v[46:47], v[78:79], v[56:57], v[46:47] op_sel_hi:[1,0,1]
	ds_read2_b32 v[58:59], v55 offset0:32 offset1:48
	s_waitcnt lgkmcnt(8)
	v_pk_fma_f32 v[46:47], v[80:81], v[60:61], v[46:47] op_sel_hi:[1,0,1]
	v_mov_b32_e32 v56, v63
	s_waitcnt lgkmcnt(5)
	v_pk_fma_f32 v[46:47], v[82:83], v[60:61], v[46:47] op_sel:[0,1,0]
	v_pk_fma_f32 v[44:45], v[72:73], v[64:65], v[44:45] op_sel_hi:[1,0,1]
	s_waitcnt lgkmcnt(4)
	v_pk_fma_f32 v[46:47], v[84:85], v[62:63], v[46:47] op_sel_hi:[1,0,1]
	v_pk_fma_f32 v[44:45], v[74:75], v[64:65], v[44:45] op_sel:[0,1,0]
	s_waitcnt lgkmcnt(3)
	v_pk_fma_f32 v[46:47], v[86:87], v[56:57], v[46:47] op_sel_hi:[1,0,1]
	v_pk_fma_f32 v[44:45], v[76:77], v[66:67], v[44:45] op_sel_hi:[1,0,1]
	s_waitcnt lgkmcnt(2)
	v_pk_fma_f32 v[46:47], v[88:89], v[4:5], v[46:47] op_sel_hi:[1,0,1]
	s_add_u32 s42, s42, 32
	s_waitcnt lgkmcnt(0)
	v_pk_fma_f32 v[4:5], v[58:59], v[4:5], v[46:47] op_sel:[0,1,0]
	v_mov_b32_e32 v46, v67
	v_pk_fma_f32 v[44:45], v[78:79], v[46:47], v[44:45] op_sel_hi:[1,0,1]
	v_mov_b32_e32 v46, v71
	v_pk_fma_f32 v[44:45], v[80:81], v[68:69], v[44:45] op_sel_hi:[1,0,1]
	s_addc_u32 s43, s43, 0
	v_pk_fma_f32 v[44:45], v[82:83], v[68:69], v[44:45] op_sel:[0,1,0]
	v_lshl_add_u64 v[42:43], v[42:43], 0, s[52:53]
	v_pk_fma_f32 v[44:45], v[84:85], v[70:71], v[44:45] op_sel_hi:[1,0,1]
	v_lshl_add_u64 v[30:31], v[30:31], 0, s[34:35]
	v_pk_fma_f32 v[56:57], v[86:87], v[46:47], v[44:45] op_sel_hi:[1,0,1]
	ds_read_b128 v[44:47], v49 offset:2096
	ds_read2_b32 v[64:65], v55 offset0:64 offset1:80
	ds_read2_b32 v[66:67], v55 offset0:96 offset1:112
	ds_read2_b32 v[68:69], v55 offset0:128 offset1:144
	ds_read2_b32 v[70:71], v55 offset0:160 offset1:176
	ds_read2_b32 v[72:73], v55 offset0:192 offset1:208
	ds_read2_b32 v[74:75], v55 offset0:224 offset1:240
	s_waitcnt lgkmcnt(5)
	v_pk_fma_f32 v[4:5], v[64:65], v[6:7], v[4:5] op_sel_hi:[1,0,1]
	v_mov_b32_e32 v6, v7
	s_waitcnt lgkmcnt(4)
	v_pk_fma_f32 v[4:5], v[66:67], v[6:7], v[4:5] op_sel_hi:[1,0,1]
	v_pk_fma_f32 v[56:57], v[88:89], v[8:9], v[56:57] op_sel_hi:[1,0,1]
	v_add_u32_e32 v55, 0x800, v51
	s_waitcnt lgkmcnt(3)
	v_pk_fma_f32 v[4:5], v[68:69], v[0:1], v[4:5] op_sel_hi:[1,0,1]
	v_pk_fma_f32 v[8:9], v[58:59], v[8:9], v[56:57] op_sel:[0,1,0]
	ds_read2_b32 v[76:77], v55 offset1:16
	ds_read2_b32 v[78:79], v55 offset0:32 offset1:48
	ds_read2_b32 v[80:81], v55 offset0:64 offset1:80
	;; [unrolled: 1-line block ×3, first 2 shown]
	ds_read_b128 v[56:59], v49 offset:64
	ds_read_b128 v[60:63], v49 offset:80
	ds_read2_b32 v[84:85], v55 offset0:128 offset1:144
	s_waitcnt lgkmcnt(9)
	v_pk_fma_f32 v[0:1], v[70:71], v[0:1], v[4:5] op_sel:[0,1,0]
	v_pk_fma_f32 v[8:9], v[64:65], v[10:11], v[8:9] op_sel_hi:[1,0,1]
	s_waitcnt lgkmcnt(8)
	v_pk_fma_f32 v[0:1], v[72:73], v[2:3], v[0:1] op_sel_hi:[1,0,1]
	v_mov_b32_e32 v2, v3
	s_waitcnt lgkmcnt(7)
	v_pk_fma_f32 v[0:1], v[74:75], v[2:3], v[0:1] op_sel_hi:[1,0,1]
	s_waitcnt lgkmcnt(2)
	v_mov_b32_e32 v2, v59
	v_pk_fma_f32 v[0:1], v[76:77], v[56:57], v[0:1] op_sel_hi:[1,0,1]
	v_mov_b32_e32 v10, v11
	v_pk_fma_f32 v[0:1], v[78:79], v[56:57], v[0:1] op_sel:[0,1,0]
	v_pk_fma_f32 v[8:9], v[66:67], v[10:11], v[8:9] op_sel_hi:[1,0,1]
	v_pk_fma_f32 v[0:1], v[80:81], v[58:59], v[0:1] op_sel_hi:[1,0,1]
	;; [unrolled: 1-line block ×4, first 2 shown]
	v_pk_fma_f32 v[8:9], v[70:71], v[44:45], v[8:9] op_sel:[0,1,0]
	s_waitcnt lgkmcnt(0)
	v_pk_fma_f32 v[86:87], v[84:85], v[60:61], v[0:1] op_sel_hi:[1,0,1]
	ds_read_b128 v[0:3], v49 offset:2112
	ds_read_b128 v[4:7], v49 offset:2128
	v_pk_fma_f32 v[8:9], v[72:73], v[46:47], v[8:9] op_sel_hi:[1,0,1]
	v_mov_b32_e32 v10, v47
	v_pk_fma_f32 v[8:9], v[74:75], v[10:11], v[8:9] op_sel_hi:[1,0,1]
	ds_read2_b32 v[68:69], v55 offset0:160 offset1:176
	ds_read2_b32 v[70:71], v55 offset0:192 offset1:208
	;; [unrolled: 1-line block ×3, first 2 shown]
	s_waitcnt lgkmcnt(4)
	v_pk_fma_f32 v[8:9], v[76:77], v[0:1], v[8:9] op_sel_hi:[1,0,1]
	v_add_u32_e32 v46, 0xc00, v51
	v_pk_fma_f32 v[0:1], v[78:79], v[0:1], v[8:9] op_sel:[0,1,0]
	s_cmp_ge_i32 s42, s59
	v_pk_fma_f32 v[0:1], v[80:81], v[2:3], v[0:1] op_sel_hi:[1,0,1]
	v_mov_b32_e32 v2, v3
	v_pk_fma_f32 v[0:1], v[82:83], v[2:3], v[0:1] op_sel_hi:[1,0,1]
	v_lshl_add_u64 v[32:33], v[32:33], 0, s[34:35]
	s_waitcnt lgkmcnt(3)
	v_pk_fma_f32 v[44:45], v[84:85], v[4:5], v[0:1] op_sel_hi:[1,0,1]
	ds_read2_b32 v[74:75], v46 offset1:16
	ds_read2_b32 v[76:77], v46 offset0:32 offset1:48
	ds_read2_b32 v[78:79], v46 offset0:64 offset1:80
	;; [unrolled: 1-line block ×3, first 2 shown]
	ds_read_b128 v[0:3], v49 offset:96
	ds_read_b128 v[8:11], v49 offset:112
	ds_read2_b32 v[82:83], v46 offset0:128 offset1:144
	ds_read_b128 v[56:59], v49 offset:2144
	ds_read_b128 v[64:67], v49 offset:2160
	ds_read2_b32 v[84:85], v46 offset0:160 offset1:176
	ds_read2_b32 v[88:89], v46 offset0:192 offset1:208
	ds_read2_b32 v[90:91], v46 offset0:224 offset1:240
	s_waitcnt lgkmcnt(14)
	v_pk_fma_f32 v[46:47], v[68:69], v[60:61], v[86:87] op_sel:[0,1,0]
	v_mov_b32_e32 v60, v63
	s_waitcnt lgkmcnt(13)
	v_pk_fma_f32 v[46:47], v[70:71], v[62:63], v[46:47] op_sel_hi:[1,0,1]
	s_waitcnt lgkmcnt(0)
	v_pk_fma_f32 v[46:47], v[72:73], v[60:61], v[46:47] op_sel_hi:[1,0,1]
	s_barrier
	v_pk_fma_f32 v[46:47], v[74:75], v[0:1], v[46:47] op_sel_hi:[1,0,1]
	s_nop 0
	v_pk_fma_f32 v[0:1], v[76:77], v[0:1], v[46:47] op_sel:[0,1,0]
	s_nop 0
	v_pk_fma_f32 v[0:1], v[78:79], v[2:3], v[0:1] op_sel_hi:[1,0,1]
	v_mov_b32_e32 v2, v3
	v_pk_fma_f32 v[0:1], v[80:81], v[2:3], v[0:1] op_sel_hi:[1,0,1]
	v_mov_b32_e32 v2, v11
	v_pk_fma_f32 v[0:1], v[82:83], v[8:9], v[0:1] op_sel_hi:[1,0,1]
	s_nop 0
	v_pk_fma_f32 v[0:1], v[84:85], v[8:9], v[0:1] op_sel:[0,1,0]
	s_nop 0
	v_pk_fma_f32 v[0:1], v[88:89], v[10:11], v[0:1] op_sel_hi:[1,0,1]
	s_nop 0
	v_pk_fma_f32 v[46:47], v[90:91], v[2:3], v[0:1] op_sel_hi:[1,0,1]
	v_pk_fma_f32 v[0:1], v[68:69], v[4:5], v[44:45] op_sel:[0,1,0]
	v_mov_b32_e32 v2, v7
	v_pk_fma_f32 v[0:1], v[70:71], v[6:7], v[0:1] op_sel_hi:[1,0,1]
	s_nop 0
	v_pk_fma_f32 v[0:1], v[72:73], v[2:3], v[0:1] op_sel_hi:[1,0,1]
	v_mov_b32_e32 v2, v59
	v_pk_fma_f32 v[0:1], v[74:75], v[56:57], v[0:1] op_sel_hi:[1,0,1]
	s_nop 0
	v_pk_fma_f32 v[0:1], v[76:77], v[56:57], v[0:1] op_sel:[0,1,0]
	s_nop 0
	v_pk_fma_f32 v[0:1], v[78:79], v[58:59], v[0:1] op_sel_hi:[1,0,1]
	s_nop 0
	v_pk_fma_f32 v[0:1], v[80:81], v[2:3], v[0:1] op_sel_hi:[1,0,1]
	v_mov_b32_e32 v2, v67
	v_pk_fma_f32 v[0:1], v[82:83], v[64:65], v[0:1] op_sel_hi:[1,0,1]
	s_nop 0
	v_pk_fma_f32 v[0:1], v[84:85], v[64:65], v[0:1] op_sel:[0,1,0]
	s_nop 0
	v_pk_fma_f32 v[0:1], v[88:89], v[66:67], v[0:1] op_sel_hi:[1,0,1]
	s_nop 0
	v_pk_fma_f32 v[44:45], v[90:91], v[2:3], v[0:1] op_sel_hi:[1,0,1]
	s_cbranch_scc1 .LBB23_43
.LBB23_7:                               ;   Parent Loop BB23_4 Depth=1
                                        ; =>  This Inner Loop Header: Depth=2
	v_lshl_add_u64 v[2:3], v[16:17], 0, s[42:43]
	v_cmp_eq_u64_e64 s[4:5], s[42:43], v[24:25]
	v_cmp_lt_i64_e64 s[10:11], v[2:3], v[22:23]
	s_and_b64 s[46:47], s[28:29], s[4:5]
	v_cmp_le_i64_e64 s[12:13], s[30:31], v[2:3]
	s_or_b64 s[4:5], s[6:7], s[10:11]
	s_or_b64 s[4:5], s[12:13], s[4:5]
	v_lshl_add_u64 v[0:1], v[32:33], 0, v[28:29]
	s_nor_b64 s[4:5], s[4:5], s[46:47]
                                        ; implicit-def: $vgpr4
	s_and_saveexec_b64 s[14:15], s[4:5]
	s_xor_b64 s[4:5], exec, s[14:15]
	s_cbranch_execz .LBB23_9
; %bb.8:                                ;   in Loop: Header=BB23_7 Depth=2
	global_load_dword v4, v[0:1], off
.LBB23_9:                               ;   in Loop: Header=BB23_7 Depth=2
	s_andn2_saveexec_b64 s[4:5], s[4:5]
	s_cbranch_execz .LBB23_11
; %bb.10:                               ;   in Loop: Header=BB23_7 Depth=2
	s_waitcnt vmcnt(0)
	v_cndmask_b32_e64 v4, 0, 1.0, s[46:47]
.LBB23_11:                              ;   in Loop: Header=BB23_7 Depth=2
	s_or_b64 exec, exec, s[4:5]
	s_waitcnt vmcnt(0)
	ds_write_b32 v50, v4
	v_lshl_add_u64 v[4:5], v[2:3], 0, 16
	v_cmp_eq_u64_e64 s[4:5], s[42:43], v[40:41]
	s_and_b64 s[50:51], s[28:29], s[4:5]
	v_cmp_lt_i64_e64 s[4:5], v[4:5], v[22:23]
	v_cmp_le_i64_e64 s[14:15], s[30:31], v[4:5]
	s_or_b64 s[4:5], s[6:7], s[4:5]
	s_or_b64 s[4:5], s[14:15], s[4:5]
	s_nor_b64 s[4:5], s[4:5], s[50:51]
	v_lshl_add_u64 v[4:5], v[30:31], 0, v[28:29]
	s_and_saveexec_b64 s[60:61], s[4:5]
	s_xor_b64 s[4:5], exec, s[60:61]
	s_cbranch_execz .LBB23_13
; %bb.12:                               ;   in Loop: Header=BB23_7 Depth=2
	global_load_dword v6, v[4:5], off
	s_waitcnt vmcnt(0)
	ds_write_b32 v50, v6 offset:64
.LBB23_13:                              ;   in Loop: Header=BB23_7 Depth=2
	s_andn2_saveexec_b64 s[4:5], s[4:5]
	s_cbranch_execz .LBB23_19
; %bb.14:                               ;   in Loop: Header=BB23_7 Depth=2
	s_xor_b64 s[50:51], s[50:51], -1
	s_and_saveexec_b64 s[60:61], s[50:51]
	s_xor_b64 s[50:51], exec, s[60:61]
; %bb.15:                               ;   in Loop: Header=BB23_7 Depth=2
	ds_write_b32 v50, v53 offset:64
; %bb.16:                               ;   in Loop: Header=BB23_7 Depth=2
	s_andn2_saveexec_b64 s[50:51], s[50:51]
; %bb.17:                               ;   in Loop: Header=BB23_7 Depth=2
	ds_write_b32 v50, v54 offset:64
; %bb.18:                               ;   in Loop: Header=BB23_7 Depth=2
	s_or_b64 exec, exec, s[50:51]
.LBB23_19:                              ;   in Loop: Header=BB23_7 Depth=2
	s_or_b64 exec, exec, s[4:5]
	v_cmp_eq_u64_e64 s[4:5], s[42:43], v[38:39]
	s_and_b64 s[50:51], s[28:29], s[4:5]
	v_cmp_lt_i64_e64 s[4:5], v[2:3], v[36:37]
	s_or_b64 s[4:5], s[8:9], s[4:5]
	s_or_b64 s[4:5], s[4:5], s[50:51]
	s_nor_b64 s[4:5], s[12:13], s[4:5]
                                        ; implicit-def: $vgpr2
	s_and_saveexec_b64 s[12:13], s[4:5]
	s_xor_b64 s[4:5], exec, s[12:13]
	s_cbranch_execz .LBB23_21
; %bb.20:                               ;   in Loop: Header=BB23_7 Depth=2
	global_load_dword v2, v[0:1], off offset:64
.LBB23_21:                              ;   in Loop: Header=BB23_7 Depth=2
	s_andn2_saveexec_b64 s[4:5], s[4:5]
	s_cbranch_execz .LBB23_23
; %bb.22:                               ;   in Loop: Header=BB23_7 Depth=2
	s_waitcnt vmcnt(0)
	v_cndmask_b32_e64 v2, 0, 1.0, s[50:51]
.LBB23_23:                              ;   in Loop: Header=BB23_7 Depth=2
	s_or_b64 exec, exec, s[4:5]
	s_or_b64 s[4:5], s[8:9], s[10:11]
	s_or_b64 s[4:5], s[14:15], s[4:5]
	s_nor_b64 s[4:5], s[4:5], s[46:47]
	s_waitcnt vmcnt(0)
	ds_write_b32 v50, v2 offset:2048
	s_and_saveexec_b64 s[10:11], s[4:5]
	s_xor_b64 s[4:5], exec, s[10:11]
	s_cbranch_execz .LBB23_25
; %bb.24:                               ;   in Loop: Header=BB23_7 Depth=2
	global_load_dword v0, v[4:5], off offset:64
	s_waitcnt vmcnt(0)
	ds_write_b32 v50, v0 offset:2112
.LBB23_25:                              ;   in Loop: Header=BB23_7 Depth=2
	s_andn2_saveexec_b64 s[4:5], s[4:5]
	s_cbranch_execz .LBB23_31
; %bb.26:                               ;   in Loop: Header=BB23_7 Depth=2
	s_xor_b64 s[10:11], s[46:47], -1
	s_and_saveexec_b64 s[12:13], s[10:11]
	s_xor_b64 s[10:11], exec, s[12:13]
; %bb.27:                               ;   in Loop: Header=BB23_7 Depth=2
	ds_write_b32 v50, v53 offset:2112
; %bb.28:                               ;   in Loop: Header=BB23_7 Depth=2
	s_andn2_saveexec_b64 s[10:11], s[10:11]
; %bb.29:                               ;   in Loop: Header=BB23_7 Depth=2
	ds_write_b32 v50, v54 offset:2112
; %bb.30:                               ;   in Loop: Header=BB23_7 Depth=2
	s_or_b64 exec, exec, s[10:11]
.LBB23_31:                              ;   in Loop: Header=BB23_7 Depth=2
	s_or_b64 exec, exec, s[4:5]
	v_lshl_add_u64 v[0:1], v[18:19], 0, s[42:43]
	v_cmp_le_i64_e64 s[10:11], s[30:31], v[0:1]
	v_lshl_add_u64 v[2:3], v[26:27], 0, v[42:43]
	s_nor_b64 s[12:13], s[10:11], vcc
	v_mov_b32_e32 v4, 0
	s_and_saveexec_b64 s[4:5], s[12:13]
	s_cbranch_execz .LBB23_33
; %bb.32:                               ;   in Loop: Header=BB23_7 Depth=2
	global_load_dword v4, v[2:3], off offset:-64
.LBB23_33:                              ;   in Loop: Header=BB23_7 Depth=2
	s_or_b64 exec, exec, s[4:5]
	s_nor_b64 s[4:5], s[10:11], s[0:1]
	s_waitcnt vmcnt(0)
	ds_write_b32 v52, v4
	s_and_saveexec_b64 s[10:11], s[4:5]
	s_xor_b64 s[4:5], exec, s[10:11]
	s_cbranch_execz .LBB23_35
; %bb.34:                               ;   in Loop: Header=BB23_7 Depth=2
	global_load_dword v2, v[2:3], off
	s_waitcnt vmcnt(0)
	ds_write_b32 v52, v2 offset:64
.LBB23_35:                              ;   in Loop: Header=BB23_7 Depth=2
	s_andn2_saveexec_b64 s[4:5], s[4:5]
; %bb.36:                               ;   in Loop: Header=BB23_7 Depth=2
	ds_write_b32 v52, v53 offset:64
; %bb.37:                               ;   in Loop: Header=BB23_7 Depth=2
	s_or_b64 exec, exec, s[4:5]
	v_cmp_le_i64_e64 s[10:11], s[54:55], v[0:1]
	v_lshl_add_u64 v[0:1], v[34:35], 0, v[42:43]
	s_nor_b64 s[12:13], s[10:11], vcc
	v_mov_b32_e32 v2, 0
	s_and_saveexec_b64 s[4:5], s[12:13]
	s_cbranch_execz .LBB23_39
; %bb.38:                               ;   in Loop: Header=BB23_7 Depth=2
	global_load_dword v2, v[0:1], off
.LBB23_39:                              ;   in Loop: Header=BB23_7 Depth=2
	s_or_b64 exec, exec, s[4:5]
	s_nor_b64 s[4:5], s[10:11], s[0:1]
	s_waitcnt vmcnt(0)
	ds_write_b32 v52, v2 offset:2048
	s_and_saveexec_b64 s[10:11], s[4:5]
	s_xor_b64 s[4:5], exec, s[10:11]
	s_cbranch_execz .LBB23_41
; %bb.40:                               ;   in Loop: Header=BB23_7 Depth=2
	global_load_dword v0, v[0:1], off offset:64
	s_waitcnt vmcnt(0)
	ds_write_b32 v52, v0 offset:2112
.LBB23_41:                              ;   in Loop: Header=BB23_7 Depth=2
	s_andn2_saveexec_b64 s[4:5], s[4:5]
	s_cbranch_execz .LBB23_6
; %bb.42:                               ;   in Loop: Header=BB23_7 Depth=2
	ds_write_b32 v52, v53 offset:2112
	s_branch .LBB23_6
.LBB23_43:                              ;   in Loop: Header=BB23_4 Depth=1
	v_mul_lo_u32 v2, s21, v22
	v_mul_lo_u32 v3, s20, v23
	v_mad_u64_u32 v[0:1], s[4:5], s20, v22, 0
	v_cmp_gt_i32_e64 s[6:7], s26, v22
	v_add3_u32 v1, v1, v3, v2
	v_lshl_add_u64 v[0:1], v[0:1], 2, s[22:23]
	s_and_b64 s[8:9], s[16:17], s[6:7]
	s_and_saveexec_b64 s[4:5], s[8:9]
	s_cbranch_execz .LBB23_45
; %bb.44:                               ;   in Loop: Header=BB23_4 Depth=1
	v_lshl_add_u64 v[2:3], v[12:13], 2, v[0:1]
	global_load_dword v4, v[2:3], off
	s_waitcnt vmcnt(0)
	v_fmac_f32_e32 v4, s27, v46
	global_store_dword v[2:3], v4, off
.LBB23_45:                              ;   in Loop: Header=BB23_4 Depth=1
	s_or_b64 exec, exec, s[4:5]
	s_and_b64 s[6:7], s[18:19], s[6:7]
	s_and_saveexec_b64 s[4:5], s[6:7]
	s_cbranch_execz .LBB23_47
; %bb.46:                               ;   in Loop: Header=BB23_4 Depth=1
	v_lshl_add_u64 v[0:1], v[14:15], 2, v[0:1]
	global_load_dword v2, v[0:1], off
	s_waitcnt vmcnt(0)
	v_fmac_f32_e32 v2, s27, v47
	global_store_dword v[0:1], v2, off
.LBB23_47:                              ;   in Loop: Header=BB23_4 Depth=1
	s_or_b64 exec, exec, s[4:5]
	v_add_u32_e32 v0, 16, v22
	v_ashrrev_i32_e32 v1, 31, v0
	v_cmp_gt_i32_e64 s[6:7], s26, v0
	v_mul_lo_u32 v2, s20, v1
	v_mul_lo_u32 v3, s21, v0
	v_mad_u64_u32 v[0:1], s[4:5], s20, v0, 0
	v_add3_u32 v1, v1, v2, v3
	v_lshl_add_u64 v[0:1], v[0:1], 2, s[22:23]
	s_and_b64 s[8:9], s[16:17], s[6:7]
	s_and_saveexec_b64 s[4:5], s[8:9]
	s_cbranch_execz .LBB23_49
; %bb.48:                               ;   in Loop: Header=BB23_4 Depth=1
	v_lshl_add_u64 v[2:3], v[12:13], 2, v[0:1]
	global_load_dword v4, v[2:3], off
	s_waitcnt vmcnt(0)
	v_fmac_f32_e32 v4, s27, v44
	global_store_dword v[2:3], v4, off
.LBB23_49:                              ;   in Loop: Header=BB23_4 Depth=1
	s_or_b64 exec, exec, s[4:5]
	s_and_b64 s[6:7], s[18:19], s[6:7]
	s_and_saveexec_b64 s[4:5], s[6:7]
	s_cbranch_execz .LBB23_3
; %bb.50:                               ;   in Loop: Header=BB23_4 Depth=1
	v_lshl_add_u64 v[0:1], v[14:15], 2, v[0:1]
	global_load_dword v2, v[0:1], off
	s_waitcnt vmcnt(0)
	v_fmac_f32_e32 v2, s27, v45
	global_store_dword v[0:1], v2, off
	s_branch .LBB23_3
.LBB23_51:
	s_endpgm
	.section	.rodata,"a",@progbits
	.p2align	6, 0x0
	.amdhsa_kernel _ZL30rocblas_trmm_outofplace_kernelIfLi32ELi2ELb0ELb1ELb1ELb1EfKffEv17rocblas_diagonal_iiT6_lPT7_lllS4_lllPT8_llli
		.amdhsa_group_segment_fixed_size 8192
		.amdhsa_private_segment_fixed_size 0
		.amdhsa_kernarg_size 384
		.amdhsa_user_sgpr_count 2
		.amdhsa_user_sgpr_dispatch_ptr 0
		.amdhsa_user_sgpr_queue_ptr 0
		.amdhsa_user_sgpr_kernarg_segment_ptr 1
		.amdhsa_user_sgpr_dispatch_id 0
		.amdhsa_user_sgpr_kernarg_preload_length 0
		.amdhsa_user_sgpr_kernarg_preload_offset 0
		.amdhsa_user_sgpr_private_segment_size 0
		.amdhsa_uses_dynamic_stack 0
		.amdhsa_enable_private_segment 0
		.amdhsa_system_sgpr_workgroup_id_x 1
		.amdhsa_system_sgpr_workgroup_id_y 1
		.amdhsa_system_sgpr_workgroup_id_z 1
		.amdhsa_system_sgpr_workgroup_info 0
		.amdhsa_system_vgpr_workitem_id 1
		.amdhsa_next_free_vgpr 92
		.amdhsa_next_free_sgpr 62
		.amdhsa_accum_offset 92
		.amdhsa_reserve_vcc 1
		.amdhsa_float_round_mode_32 0
		.amdhsa_float_round_mode_16_64 0
		.amdhsa_float_denorm_mode_32 3
		.amdhsa_float_denorm_mode_16_64 3
		.amdhsa_dx10_clamp 1
		.amdhsa_ieee_mode 1
		.amdhsa_fp16_overflow 0
		.amdhsa_tg_split 0
		.amdhsa_exception_fp_ieee_invalid_op 0
		.amdhsa_exception_fp_denorm_src 0
		.amdhsa_exception_fp_ieee_div_zero 0
		.amdhsa_exception_fp_ieee_overflow 0
		.amdhsa_exception_fp_ieee_underflow 0
		.amdhsa_exception_fp_ieee_inexact 0
		.amdhsa_exception_int_div_zero 0
	.end_amdhsa_kernel
	.section	.text._ZL30rocblas_trmm_outofplace_kernelIfLi32ELi2ELb0ELb1ELb1ELb1EfKffEv17rocblas_diagonal_iiT6_lPT7_lllS4_lllPT8_llli,"axG",@progbits,_ZL30rocblas_trmm_outofplace_kernelIfLi32ELi2ELb0ELb1ELb1ELb1EfKffEv17rocblas_diagonal_iiT6_lPT7_lllS4_lllPT8_llli,comdat
.Lfunc_end23:
	.size	_ZL30rocblas_trmm_outofplace_kernelIfLi32ELi2ELb0ELb1ELb1ELb1EfKffEv17rocblas_diagonal_iiT6_lPT7_lllS4_lllPT8_llli, .Lfunc_end23-_ZL30rocblas_trmm_outofplace_kernelIfLi32ELi2ELb0ELb1ELb1ELb1EfKffEv17rocblas_diagonal_iiT6_lPT7_lllS4_lllPT8_llli
                                        ; -- End function
	.set _ZL30rocblas_trmm_outofplace_kernelIfLi32ELi2ELb0ELb1ELb1ELb1EfKffEv17rocblas_diagonal_iiT6_lPT7_lllS4_lllPT8_llli.num_vgpr, 92
	.set _ZL30rocblas_trmm_outofplace_kernelIfLi32ELi2ELb0ELb1ELb1ELb1EfKffEv17rocblas_diagonal_iiT6_lPT7_lllS4_lllPT8_llli.num_agpr, 0
	.set _ZL30rocblas_trmm_outofplace_kernelIfLi32ELi2ELb0ELb1ELb1ELb1EfKffEv17rocblas_diagonal_iiT6_lPT7_lllS4_lllPT8_llli.numbered_sgpr, 62
	.set _ZL30rocblas_trmm_outofplace_kernelIfLi32ELi2ELb0ELb1ELb1ELb1EfKffEv17rocblas_diagonal_iiT6_lPT7_lllS4_lllPT8_llli.num_named_barrier, 0
	.set _ZL30rocblas_trmm_outofplace_kernelIfLi32ELi2ELb0ELb1ELb1ELb1EfKffEv17rocblas_diagonal_iiT6_lPT7_lllS4_lllPT8_llli.private_seg_size, 0
	.set _ZL30rocblas_trmm_outofplace_kernelIfLi32ELi2ELb0ELb1ELb1ELb1EfKffEv17rocblas_diagonal_iiT6_lPT7_lllS4_lllPT8_llli.uses_vcc, 1
	.set _ZL30rocblas_trmm_outofplace_kernelIfLi32ELi2ELb0ELb1ELb1ELb1EfKffEv17rocblas_diagonal_iiT6_lPT7_lllS4_lllPT8_llli.uses_flat_scratch, 0
	.set _ZL30rocblas_trmm_outofplace_kernelIfLi32ELi2ELb0ELb1ELb1ELb1EfKffEv17rocblas_diagonal_iiT6_lPT7_lllS4_lllPT8_llli.has_dyn_sized_stack, 0
	.set _ZL30rocblas_trmm_outofplace_kernelIfLi32ELi2ELb0ELb1ELb1ELb1EfKffEv17rocblas_diagonal_iiT6_lPT7_lllS4_lllPT8_llli.has_recursion, 0
	.set _ZL30rocblas_trmm_outofplace_kernelIfLi32ELi2ELb0ELb1ELb1ELb1EfKffEv17rocblas_diagonal_iiT6_lPT7_lllS4_lllPT8_llli.has_indirect_call, 0
	.section	.AMDGPU.csdata,"",@progbits
; Kernel info:
; codeLenInByte = 2848
; TotalNumSgprs: 68
; NumVgprs: 92
; NumAgprs: 0
; TotalNumVgprs: 92
; ScratchSize: 0
; MemoryBound: 0
; FloatMode: 240
; IeeeMode: 1
; LDSByteSize: 8192 bytes/workgroup (compile time only)
; SGPRBlocks: 8
; VGPRBlocks: 11
; NumSGPRsForWavesPerEU: 68
; NumVGPRsForWavesPerEU: 92
; AccumOffset: 92
; Occupancy: 5
; WaveLimiterHint : 0
; COMPUTE_PGM_RSRC2:SCRATCH_EN: 0
; COMPUTE_PGM_RSRC2:USER_SGPR: 2
; COMPUTE_PGM_RSRC2:TRAP_HANDLER: 0
; COMPUTE_PGM_RSRC2:TGID_X_EN: 1
; COMPUTE_PGM_RSRC2:TGID_Y_EN: 1
; COMPUTE_PGM_RSRC2:TGID_Z_EN: 1
; COMPUTE_PGM_RSRC2:TIDIG_COMP_CNT: 1
; COMPUTE_PGM_RSRC3_GFX90A:ACCUM_OFFSET: 22
; COMPUTE_PGM_RSRC3_GFX90A:TG_SPLIT: 0
	.section	.text._ZL23rocblas_trmm_lNx_kernelILi32EfPKfS0_fEv13rocblas_fill_17rocblas_diagonal_iiT1_lPT2_llS6_llPT3_lli,"axG",@progbits,_ZL23rocblas_trmm_lNx_kernelILi32EfPKfS0_fEv13rocblas_fill_17rocblas_diagonal_iiT1_lPT2_llS6_llPT3_lli,comdat
	.globl	_ZL23rocblas_trmm_lNx_kernelILi32EfPKfS0_fEv13rocblas_fill_17rocblas_diagonal_iiT1_lPT2_llS6_llPT3_lli ; -- Begin function _ZL23rocblas_trmm_lNx_kernelILi32EfPKfS0_fEv13rocblas_fill_17rocblas_diagonal_iiT1_lPT2_llS6_llPT3_lli
	.p2align	8
	.type	_ZL23rocblas_trmm_lNx_kernelILi32EfPKfS0_fEv13rocblas_fill_17rocblas_diagonal_iiT1_lPT2_llS6_llPT3_lli,@function
_ZL23rocblas_trmm_lNx_kernelILi32EfPKfS0_fEv13rocblas_fill_17rocblas_diagonal_iiT1_lPT2_llS6_llPT3_lli: ; @_ZL23rocblas_trmm_lNx_kernelILi32EfPKfS0_fEv13rocblas_fill_17rocblas_diagonal_iiT1_lPT2_llS6_llPT3_lli
; %bb.0:
	s_load_dwordx16 s[4:19], s[0:1], 0x10
	s_waitcnt lgkmcnt(0)
	s_mul_i32 s7, s7, s3
	s_mul_hi_u32 s20, s6, s3
	s_add_i32 s7, s20, s7
	s_mul_i32 s6, s6, s3
	s_lshl_b64 s[6:7], s[6:7], 2
	s_add_u32 s4, s4, s6
	s_addc_u32 s5, s5, s7
	s_load_dword s24, s[4:5], 0x0
	s_waitcnt lgkmcnt(0)
	v_cmp_eq_f32_e64 s[4:5], s24, 0
	s_and_b64 vcc, exec, s[4:5]
	s_cbranch_vccnz .LBB24_15
; %bb.1:
	s_load_dwordx4 s[20:23], s[0:1], 0x0
	v_and_b32_e32 v5, 0x3ff, v0
	v_bfe_u32 v2, v0, 10, 10
	v_lshlrev_b32_e32 v3, 5, v2
	v_add_lshl_u32 v4, v3, v5, 2
	s_waitcnt lgkmcnt(0)
	v_cmp_gt_i32_e64 s[4:5], s22, v2
	v_cmp_gt_i32_e32 vcc, s22, v5
	v_mov_b32_e32 v1, 0
	s_and_b64 s[6:7], s[4:5], vcc
	v_lshlrev_b32_e32 v0, 2, v5
	ds_write2st64_b32 v4, v1, v1 offset1:16
	s_and_saveexec_b64 s[4:5], s[6:7]
	s_cbranch_execz .LBB24_3
; %bb.2:
	s_mul_i32 s6, s13, s3
	s_mul_hi_u32 s7, s12, s3
	s_add_i32 s7, s7, s6
	s_mul_i32 s6, s12, s3
	s_lshl_b64 s[6:7], s[6:7], 2
	s_add_u32 s6, s8, s6
	s_addc_u32 s7, s9, s7
	v_mad_u64_u32 v[6:7], s[8:9], s10, v2, 0
	v_mov_b32_e32 v8, v7
	v_mad_u64_u32 v[8:9], s[8:9], s11, v2, v[8:9]
	v_mov_b32_e32 v7, v8
	v_lshl_add_u64 v[6:7], v[6:7], 2, s[6:7]
	v_lshl_add_u64 v[6:7], v[6:7], 0, v[0:1]
	global_load_dword v1, v[6:7], off
	s_waitcnt vmcnt(0)
	ds_write_b32 v4, v1
.LBB24_3:
	s_or_b64 exec, exec, s[4:5]
	s_add_i32 s4, s23, -1
	s_ashr_i32 s5, s4, 31
	s_lshr_b32 s5, s5, 27
	s_add_i32 s4, s4, s5
	s_ashr_i32 s5, s4, 5
	s_andn2_b32 s4, s4, 31
	s_sub_i32 s4, s23, s4
	s_cmp_ge_i32 s2, s5
	s_cselect_b32 s4, s4, 32
	s_lshl_b32 s2, s2, 5
	v_cmp_gt_i32_e64 s[4:5], s4, v2
	s_ashr_i32 s10, s2, 31
	s_and_b64 s[4:5], vcc, s[4:5]
	s_and_saveexec_b64 s[6:7], s[4:5]
	s_cbranch_execz .LBB24_5
; %bb.4:
	s_mul_i32 s8, s19, s3
	s_mul_hi_u32 s9, s18, s3
	s_add_i32 s9, s9, s8
	s_mul_i32 s8, s18, s3
	s_lshl_b64 s[8:9], s[8:9], 2
	s_add_u32 s11, s14, s8
	s_addc_u32 s12, s15, s9
	s_mul_i32 s8, s16, s10
	s_mul_hi_u32 s9, s16, s2
	s_add_i32 s8, s9, s8
	s_mul_i32 s9, s17, s2
	s_add_i32 s9, s8, s9
	s_mul_i32 s8, s16, s2
	s_lshl_b64 s[8:9], s[8:9], 2
	s_add_u32 s8, s11, s8
	s_addc_u32 s9, s12, s9
	v_mad_u64_u32 v[6:7], s[12:13], s16, v2, 0
	v_mov_b32_e32 v8, v7
	v_mad_u64_u32 v[8:9], s[12:13], s17, v2, v[8:9]
	v_mov_b32_e32 v7, v8
	v_lshl_add_u64 v[6:7], v[6:7], 2, s[8:9]
	v_mov_b32_e32 v1, 0
	v_lshl_add_u64 v[6:7], v[6:7], 0, v[0:1]
	global_load_dword v1, v[6:7], off
	v_add_u32_e32 v6, 0x1000, v4
	s_waitcnt vmcnt(0)
	ds_write_b32 v6, v1
.LBB24_5:
	s_or_b64 exec, exec, s[6:7]
	s_cmpk_eq_i32 s21, 0x84
	s_cselect_b64 s[6:7], -1, 0
	v_cmp_eq_u32_e32 vcc, v2, v5
	s_and_b64 s[8:9], vcc, s[6:7]
	s_and_saveexec_b64 s[6:7], s[8:9]
; %bb.6:
	v_mov_b32_e32 v1, 1.0
	ds_write_b32 v4, v1
; %bb.7:
	s_or_b64 exec, exec, s[6:7]
	s_cmpk_lg_i32 s20, 0x79
	s_cbranch_scc0 .LBB24_9
; %bb.8:
	v_cmp_lt_u32_e32 vcc, v5, v2
	s_and_b64 s[6:7], vcc, exec
	s_cbranch_execz .LBB24_10
	s_branch .LBB24_11
.LBB24_9:
	s_mov_b64 s[6:7], 0
.LBB24_10:
	v_cmp_gt_u32_e32 vcc, v5, v2
	s_andn2_b64 s[6:7], s[6:7], exec
	s_and_b64 s[8:9], vcc, exec
	s_or_b64 s[6:7], s[6:7], s[8:9]
.LBB24_11:
	s_and_saveexec_b64 s[8:9], s[6:7]
; %bb.12:
	v_mov_b32_e32 v1, 0
	ds_write_b32 v4, v1
; %bb.13:
	s_or_b64 exec, exec, s[8:9]
	s_waitcnt lgkmcnt(0)
	s_barrier
	s_and_saveexec_b64 s[6:7], s[4:5]
	s_cbranch_execz .LBB24_15
; %bb.14:
	s_load_dwordx2 s[8:9], s[0:1], 0x60
	s_load_dwordx4 s[4:7], s[0:1], 0x50
	ds_read2_b32 v[20:21], v0 offset1:32
	v_lshlrev_b32_e32 v3, 2, v3
	ds_read_b128 v[4:7], v3 offset:4096
	ds_read_b128 v[8:11], v3 offset:4112
	;; [unrolled: 1-line block ×4, first 2 shown]
	ds_read2_b32 v[22:23], v0 offset0:64 offset1:96
	ds_read2_b32 v[24:25], v0 offset0:128 offset1:160
	s_waitcnt lgkmcnt(0)
	s_mul_i32 s1, s9, s3
	v_fma_f32 v20, v20, v4, 0
	v_fmac_f32_e32 v20, v21, v5
	ds_read2_b32 v[4:5], v0 offset0:192 offset1:224
	v_fmac_f32_e32 v20, v22, v6
	v_add_u32_e32 v21, 0x400, v0
	v_fmac_f32_e32 v20, v23, v7
	ds_read2_b32 v[6:7], v21 offset1:32
	v_fmac_f32_e32 v20, v24, v8
	v_fmac_f32_e32 v20, v25, v9
	ds_read2_b32 v[8:9], v21 offset0:64 offset1:96
	s_waitcnt lgkmcnt(2)
	v_fmac_f32_e32 v20, v4, v10
	v_fmac_f32_e32 v20, v5, v11
	ds_read2_b32 v[4:5], v21 offset0:128 offset1:160
	s_waitcnt lgkmcnt(2)
	v_fmac_f32_e32 v20, v6, v12
	v_fmac_f32_e32 v20, v7, v13
	s_waitcnt lgkmcnt(1)
	v_fmac_f32_e32 v20, v8, v14
	v_fmac_f32_e32 v20, v9, v15
	ds_read2_b32 v[8:9], v21 offset0:192 offset1:224
	s_waitcnt lgkmcnt(1)
	v_fmac_f32_e32 v20, v4, v16
	v_add_u32_e32 v21, 0x800, v0
	v_fmac_f32_e32 v20, v5, v17
	ds_read2_b32 v[12:13], v21 offset1:32
	ds_read_b128 v[4:7], v3 offset:4160
	s_waitcnt lgkmcnt(2)
	v_fmac_f32_e32 v20, v8, v18
	v_fmac_f32_e32 v20, v9, v19
	ds_read2_b32 v[14:15], v21 offset0:64 offset1:96
	ds_read_b128 v[8:11], v3 offset:4176
	ds_read2_b32 v[16:17], v21 offset0:128 offset1:160
	s_waitcnt lgkmcnt(3)
	v_fmac_f32_e32 v20, v12, v4
	v_fmac_f32_e32 v20, v13, v5
	ds_read2_b32 v[4:5], v21 offset0:192 offset1:224
	s_waitcnt lgkmcnt(3)
	v_fmac_f32_e32 v20, v14, v6
	v_fmac_f32_e32 v20, v15, v7
	s_waitcnt lgkmcnt(1)
	v_pk_mul_f32 v[6:7], v[16:17], v[8:9]
	v_add_u32_e32 v16, 0xc00, v0
	v_add_f32_e32 v6, v20, v6
	v_add_f32_e32 v14, v6, v7
	s_waitcnt lgkmcnt(0)
	v_pk_mul_f32 v[8:9], v[4:5], v[10:11]
	ds_read2_b32 v[12:13], v16 offset1:32
	ds_read_b128 v[4:7], v3 offset:4192
	v_add_f32_e32 v8, v14, v8
	v_add_f32_e32 v17, v8, v9
	ds_read2_b32 v[14:15], v16 offset0:64 offset1:96
	ds_read_b128 v[8:11], v3 offset:4208
	s_mul_hi_u32 s9, s8, s3
	s_waitcnt lgkmcnt(2)
	v_pk_mul_f32 v[4:5], v[12:13], v[4:5]
	ds_read2_b32 v[12:13], v16 offset0:192 offset1:224
	v_add_f32_e32 v3, v17, v4
	v_add_f32_e32 v3, v3, v5
	ds_read2_b32 v[4:5], v16 offset0:128 offset1:160
	s_waitcnt lgkmcnt(3)
	v_pk_mul_f32 v[6:7], v[14:15], v[6:7]
	s_mul_i32 s0, s8, s3
	v_add_f32_e32 v3, v3, v6
	s_add_i32 s1, s9, s1
	v_add_f32_e32 v3, v3, v7
	s_waitcnt lgkmcnt(0)
	v_pk_mul_f32 v[4:5], v[4:5], v[8:9]
	s_lshl_b64 s[0:1], s[0:1], 2
	v_add_f32_e32 v3, v3, v4
	s_mul_i32 s3, s6, s10
	s_add_u32 s4, s4, s0
	s_mul_hi_u32 s0, s6, s2
	v_add_f32_e32 v3, v3, v5
	v_pk_mul_f32 v[4:5], v[12:13], v[10:11]
	s_addc_u32 s5, s5, s1
	s_add_i32 s0, s0, s3
	s_mul_i32 s1, s7, s2
	v_add_f32_e32 v3, v3, v4
	s_add_i32 s1, s0, s1
	s_mul_i32 s0, s6, s2
	v_add_f32_e32 v3, v3, v5
	v_mad_u64_u32 v[4:5], s[2:3], s6, v2, 0
	s_lshl_b64 s[0:1], s[0:1], 2
	v_mul_f32_e32 v7, s24, v3
	v_mov_b32_e32 v6, v5
	s_add_u32 s0, s4, s0
	v_mad_u64_u32 v[2:3], s[2:3], s7, v2, v[6:7]
	s_addc_u32 s1, s5, s1
	v_mov_b32_e32 v5, v2
	v_mov_b32_e32 v1, 0
	v_lshl_add_u64 v[2:3], v[4:5], 2, s[0:1]
	v_lshl_add_u64 v[0:1], v[2:3], 0, v[0:1]
	global_store_dword v[0:1], v7, off
.LBB24_15:
	s_endpgm
	.section	.rodata,"a",@progbits
	.p2align	6, 0x0
	.amdhsa_kernel _ZL23rocblas_trmm_lNx_kernelILi32EfPKfS0_fEv13rocblas_fill_17rocblas_diagonal_iiT1_lPT2_llS6_llPT3_lli
		.amdhsa_group_segment_fixed_size 8192
		.amdhsa_private_segment_fixed_size 0
		.amdhsa_kernarg_size 108
		.amdhsa_user_sgpr_count 2
		.amdhsa_user_sgpr_dispatch_ptr 0
		.amdhsa_user_sgpr_queue_ptr 0
		.amdhsa_user_sgpr_kernarg_segment_ptr 1
		.amdhsa_user_sgpr_dispatch_id 0
		.amdhsa_user_sgpr_kernarg_preload_length 0
		.amdhsa_user_sgpr_kernarg_preload_offset 0
		.amdhsa_user_sgpr_private_segment_size 0
		.amdhsa_uses_dynamic_stack 0
		.amdhsa_enable_private_segment 0
		.amdhsa_system_sgpr_workgroup_id_x 1
		.amdhsa_system_sgpr_workgroup_id_y 0
		.amdhsa_system_sgpr_workgroup_id_z 1
		.amdhsa_system_sgpr_workgroup_info 0
		.amdhsa_system_vgpr_workitem_id 1
		.amdhsa_next_free_vgpr 26
		.amdhsa_next_free_sgpr 25
		.amdhsa_accum_offset 28
		.amdhsa_reserve_vcc 1
		.amdhsa_float_round_mode_32 0
		.amdhsa_float_round_mode_16_64 0
		.amdhsa_float_denorm_mode_32 3
		.amdhsa_float_denorm_mode_16_64 3
		.amdhsa_dx10_clamp 1
		.amdhsa_ieee_mode 1
		.amdhsa_fp16_overflow 0
		.amdhsa_tg_split 0
		.amdhsa_exception_fp_ieee_invalid_op 0
		.amdhsa_exception_fp_denorm_src 0
		.amdhsa_exception_fp_ieee_div_zero 0
		.amdhsa_exception_fp_ieee_overflow 0
		.amdhsa_exception_fp_ieee_underflow 0
		.amdhsa_exception_fp_ieee_inexact 0
		.amdhsa_exception_int_div_zero 0
	.end_amdhsa_kernel
	.section	.text._ZL23rocblas_trmm_lNx_kernelILi32EfPKfS0_fEv13rocblas_fill_17rocblas_diagonal_iiT1_lPT2_llS6_llPT3_lli,"axG",@progbits,_ZL23rocblas_trmm_lNx_kernelILi32EfPKfS0_fEv13rocblas_fill_17rocblas_diagonal_iiT1_lPT2_llS6_llPT3_lli,comdat
.Lfunc_end24:
	.size	_ZL23rocblas_trmm_lNx_kernelILi32EfPKfS0_fEv13rocblas_fill_17rocblas_diagonal_iiT1_lPT2_llS6_llPT3_lli, .Lfunc_end24-_ZL23rocblas_trmm_lNx_kernelILi32EfPKfS0_fEv13rocblas_fill_17rocblas_diagonal_iiT1_lPT2_llS6_llPT3_lli
                                        ; -- End function
	.set _ZL23rocblas_trmm_lNx_kernelILi32EfPKfS0_fEv13rocblas_fill_17rocblas_diagonal_iiT1_lPT2_llS6_llPT3_lli.num_vgpr, 26
	.set _ZL23rocblas_trmm_lNx_kernelILi32EfPKfS0_fEv13rocblas_fill_17rocblas_diagonal_iiT1_lPT2_llS6_llPT3_lli.num_agpr, 0
	.set _ZL23rocblas_trmm_lNx_kernelILi32EfPKfS0_fEv13rocblas_fill_17rocblas_diagonal_iiT1_lPT2_llS6_llPT3_lli.numbered_sgpr, 25
	.set _ZL23rocblas_trmm_lNx_kernelILi32EfPKfS0_fEv13rocblas_fill_17rocblas_diagonal_iiT1_lPT2_llS6_llPT3_lli.num_named_barrier, 0
	.set _ZL23rocblas_trmm_lNx_kernelILi32EfPKfS0_fEv13rocblas_fill_17rocblas_diagonal_iiT1_lPT2_llS6_llPT3_lli.private_seg_size, 0
	.set _ZL23rocblas_trmm_lNx_kernelILi32EfPKfS0_fEv13rocblas_fill_17rocblas_diagonal_iiT1_lPT2_llS6_llPT3_lli.uses_vcc, 1
	.set _ZL23rocblas_trmm_lNx_kernelILi32EfPKfS0_fEv13rocblas_fill_17rocblas_diagonal_iiT1_lPT2_llS6_llPT3_lli.uses_flat_scratch, 0
	.set _ZL23rocblas_trmm_lNx_kernelILi32EfPKfS0_fEv13rocblas_fill_17rocblas_diagonal_iiT1_lPT2_llS6_llPT3_lli.has_dyn_sized_stack, 0
	.set _ZL23rocblas_trmm_lNx_kernelILi32EfPKfS0_fEv13rocblas_fill_17rocblas_diagonal_iiT1_lPT2_llS6_llPT3_lli.has_recursion, 0
	.set _ZL23rocblas_trmm_lNx_kernelILi32EfPKfS0_fEv13rocblas_fill_17rocblas_diagonal_iiT1_lPT2_llS6_llPT3_lli.has_indirect_call, 0
	.section	.AMDGPU.csdata,"",@progbits
; Kernel info:
; codeLenInByte = 1152
; TotalNumSgprs: 31
; NumVgprs: 26
; NumAgprs: 0
; TotalNumVgprs: 26
; ScratchSize: 0
; MemoryBound: 0
; FloatMode: 240
; IeeeMode: 1
; LDSByteSize: 8192 bytes/workgroup (compile time only)
; SGPRBlocks: 3
; VGPRBlocks: 3
; NumSGPRsForWavesPerEU: 31
; NumVGPRsForWavesPerEU: 26
; AccumOffset: 28
; Occupancy: 8
; WaveLimiterHint : 0
; COMPUTE_PGM_RSRC2:SCRATCH_EN: 0
; COMPUTE_PGM_RSRC2:USER_SGPR: 2
; COMPUTE_PGM_RSRC2:TRAP_HANDLER: 0
; COMPUTE_PGM_RSRC2:TGID_X_EN: 1
; COMPUTE_PGM_RSRC2:TGID_Y_EN: 0
; COMPUTE_PGM_RSRC2:TGID_Z_EN: 1
; COMPUTE_PGM_RSRC2:TIDIG_COMP_CNT: 1
; COMPUTE_PGM_RSRC3_GFX90A:ACCUM_OFFSET: 6
; COMPUTE_PGM_RSRC3_GFX90A:TG_SPLIT: 0
	.section	.text._ZL23rocblas_trmm_lNx_kernelILi32EffKffEv13rocblas_fill_17rocblas_diagonal_iiT1_lPT2_llS5_llPT3_lli,"axG",@progbits,_ZL23rocblas_trmm_lNx_kernelILi32EffKffEv13rocblas_fill_17rocblas_diagonal_iiT1_lPT2_llS5_llPT3_lli,comdat
	.globl	_ZL23rocblas_trmm_lNx_kernelILi32EffKffEv13rocblas_fill_17rocblas_diagonal_iiT1_lPT2_llS5_llPT3_lli ; -- Begin function _ZL23rocblas_trmm_lNx_kernelILi32EffKffEv13rocblas_fill_17rocblas_diagonal_iiT1_lPT2_llS5_llPT3_lli
	.p2align	8
	.type	_ZL23rocblas_trmm_lNx_kernelILi32EffKffEv13rocblas_fill_17rocblas_diagonal_iiT1_lPT2_llS5_llPT3_lli,@function
_ZL23rocblas_trmm_lNx_kernelILi32EffKffEv13rocblas_fill_17rocblas_diagonal_iiT1_lPT2_llS5_llPT3_lli: ; @_ZL23rocblas_trmm_lNx_kernelILi32EffKffEv13rocblas_fill_17rocblas_diagonal_iiT1_lPT2_llS5_llPT3_lli
; %bb.0:
	s_load_dword s28, s[0:1], 0x10
	s_waitcnt lgkmcnt(0)
	v_cmp_eq_f32_e64 s[4:5], s28, 0
	s_and_b64 vcc, exec, s[4:5]
	s_cbranch_vccnz .LBB25_15
; %bb.1:
	s_load_dwordx4 s[24:27], s[0:1], 0x0
	s_load_dwordx16 s[8:23], s[0:1], 0x20
	v_and_b32_e32 v5, 0x3ff, v0
	v_bfe_u32 v2, v0, 10, 10
	v_lshlrev_b32_e32 v3, 5, v2
	s_waitcnt lgkmcnt(0)
	v_cmp_gt_i32_e64 s[4:5], s26, v2
	v_cmp_gt_i32_e32 vcc, s26, v5
	v_add_lshl_u32 v4, v3, v5, 2
	v_mov_b32_e32 v1, 0
	s_and_b64 s[6:7], s[4:5], vcc
	v_lshlrev_b32_e32 v0, 2, v5
	ds_write2st64_b32 v4, v1, v1 offset1:16
	s_and_saveexec_b64 s[4:5], s[6:7]
	s_cbranch_execz .LBB25_3
; %bb.2:
	s_mul_i32 s6, s13, s3
	s_mul_hi_u32 s7, s12, s3
	s_add_i32 s7, s7, s6
	s_mul_i32 s6, s12, s3
	s_lshl_b64 s[6:7], s[6:7], 2
	s_add_u32 s6, s8, s6
	s_addc_u32 s7, s9, s7
	v_mad_u64_u32 v[6:7], s[8:9], s10, v2, 0
	v_mov_b32_e32 v8, v7
	v_mad_u64_u32 v[8:9], s[8:9], s11, v2, v[8:9]
	v_mov_b32_e32 v7, v8
	v_lshl_add_u64 v[6:7], v[6:7], 2, s[6:7]
	v_lshl_add_u64 v[6:7], v[6:7], 0, v[0:1]
	global_load_dword v1, v[6:7], off
	s_waitcnt vmcnt(0)
	ds_write_b32 v4, v1
.LBB25_3:
	s_or_b64 exec, exec, s[4:5]
	s_add_i32 s4, s27, -1
	s_ashr_i32 s5, s4, 31
	s_lshr_b32 s5, s5, 27
	s_add_i32 s4, s4, s5
	s_ashr_i32 s5, s4, 5
	s_andn2_b32 s4, s4, 31
	s_sub_i32 s4, s27, s4
	s_cmp_ge_i32 s2, s5
	s_cselect_b32 s4, s4, 32
	s_lshl_b32 s2, s2, 5
	v_cmp_gt_i32_e64 s[4:5], s4, v2
	s_ashr_i32 s10, s2, 31
	s_and_b64 s[4:5], vcc, s[4:5]
	s_and_saveexec_b64 s[6:7], s[4:5]
	s_cbranch_execz .LBB25_5
; %bb.4:
	s_mul_i32 s8, s19, s3
	s_mul_hi_u32 s9, s18, s3
	s_add_i32 s9, s9, s8
	s_mul_i32 s8, s18, s3
	s_lshl_b64 s[8:9], s[8:9], 2
	s_add_u32 s11, s14, s8
	s_addc_u32 s12, s15, s9
	s_mul_i32 s8, s16, s10
	s_mul_hi_u32 s9, s16, s2
	s_add_i32 s8, s9, s8
	s_mul_i32 s9, s17, s2
	s_add_i32 s9, s8, s9
	s_mul_i32 s8, s16, s2
	s_lshl_b64 s[8:9], s[8:9], 2
	s_add_u32 s8, s11, s8
	s_addc_u32 s9, s12, s9
	v_mad_u64_u32 v[6:7], s[12:13], s16, v2, 0
	v_mov_b32_e32 v8, v7
	v_mad_u64_u32 v[8:9], s[12:13], s17, v2, v[8:9]
	v_mov_b32_e32 v7, v8
	v_lshl_add_u64 v[6:7], v[6:7], 2, s[8:9]
	v_mov_b32_e32 v1, 0
	v_lshl_add_u64 v[6:7], v[6:7], 0, v[0:1]
	global_load_dword v1, v[6:7], off
	v_add_u32_e32 v6, 0x1000, v4
	s_waitcnt vmcnt(0)
	ds_write_b32 v6, v1
.LBB25_5:
	s_or_b64 exec, exec, s[6:7]
	s_cmpk_eq_i32 s25, 0x84
	s_cselect_b64 s[6:7], -1, 0
	v_cmp_eq_u32_e32 vcc, v2, v5
	s_and_b64 s[8:9], vcc, s[6:7]
	s_and_saveexec_b64 s[6:7], s[8:9]
; %bb.6:
	v_mov_b32_e32 v1, 1.0
	ds_write_b32 v4, v1
; %bb.7:
	s_or_b64 exec, exec, s[6:7]
	s_cmpk_lg_i32 s24, 0x79
	s_cbranch_scc0 .LBB25_9
; %bb.8:
	v_cmp_lt_u32_e32 vcc, v5, v2
	s_and_b64 s[6:7], vcc, exec
	s_cbranch_execz .LBB25_10
	s_branch .LBB25_11
.LBB25_9:
	s_mov_b64 s[6:7], 0
.LBB25_10:
	v_cmp_gt_u32_e32 vcc, v5, v2
	s_andn2_b64 s[6:7], s[6:7], exec
	s_and_b64 s[8:9], vcc, exec
	s_or_b64 s[6:7], s[6:7], s[8:9]
.LBB25_11:
	s_and_saveexec_b64 s[8:9], s[6:7]
; %bb.12:
	v_mov_b32_e32 v1, 0
	ds_write_b32 v4, v1
; %bb.13:
	s_or_b64 exec, exec, s[8:9]
	s_waitcnt lgkmcnt(0)
	s_barrier
	s_and_saveexec_b64 s[6:7], s[4:5]
	s_cbranch_execz .LBB25_15
; %bb.14:
	ds_read2_b32 v[20:21], v0 offset1:32
	v_lshlrev_b32_e32 v3, 2, v3
	ds_read_b128 v[4:7], v3 offset:4096
	ds_read_b128 v[8:11], v3 offset:4112
	;; [unrolled: 1-line block ×4, first 2 shown]
	ds_read2_b32 v[22:23], v0 offset0:64 offset1:96
	ds_read2_b32 v[24:25], v0 offset0:128 offset1:160
	s_load_dwordx2 s[0:1], s[0:1], 0x60
	s_waitcnt lgkmcnt(0)
	v_fma_f32 v20, v20, v4, 0
	v_fmac_f32_e32 v20, v21, v5
	ds_read2_b32 v[4:5], v0 offset0:192 offset1:224
	v_fmac_f32_e32 v20, v22, v6
	v_add_u32_e32 v21, 0x400, v0
	v_fmac_f32_e32 v20, v23, v7
	ds_read2_b32 v[6:7], v21 offset1:32
	v_fmac_f32_e32 v20, v24, v8
	v_fmac_f32_e32 v20, v25, v9
	ds_read2_b32 v[8:9], v21 offset0:64 offset1:96
	s_waitcnt lgkmcnt(2)
	v_fmac_f32_e32 v20, v4, v10
	v_fmac_f32_e32 v20, v5, v11
	ds_read2_b32 v[4:5], v21 offset0:128 offset1:160
	s_waitcnt lgkmcnt(2)
	v_fmac_f32_e32 v20, v6, v12
	v_fmac_f32_e32 v20, v7, v13
	s_waitcnt lgkmcnt(1)
	v_fmac_f32_e32 v20, v8, v14
	v_fmac_f32_e32 v20, v9, v15
	ds_read2_b32 v[8:9], v21 offset0:192 offset1:224
	s_waitcnt lgkmcnt(1)
	v_fmac_f32_e32 v20, v4, v16
	v_add_u32_e32 v21, 0x800, v0
	v_fmac_f32_e32 v20, v5, v17
	ds_read2_b32 v[12:13], v21 offset1:32
	ds_read_b128 v[4:7], v3 offset:4160
	s_waitcnt lgkmcnt(2)
	v_fmac_f32_e32 v20, v8, v18
	v_fmac_f32_e32 v20, v9, v19
	ds_read2_b32 v[14:15], v21 offset0:64 offset1:96
	ds_read_b128 v[8:11], v3 offset:4176
	ds_read2_b32 v[16:17], v21 offset0:128 offset1:160
	s_waitcnt lgkmcnt(3)
	v_fmac_f32_e32 v20, v12, v4
	v_fmac_f32_e32 v20, v13, v5
	ds_read2_b32 v[4:5], v21 offset0:192 offset1:224
	s_waitcnt lgkmcnt(3)
	v_fmac_f32_e32 v20, v14, v6
	v_fmac_f32_e32 v20, v15, v7
	s_waitcnt lgkmcnt(1)
	v_pk_mul_f32 v[6:7], v[16:17], v[8:9]
	v_add_u32_e32 v16, 0xc00, v0
	v_add_f32_e32 v6, v20, v6
	v_add_f32_e32 v14, v6, v7
	s_waitcnt lgkmcnt(0)
	v_pk_mul_f32 v[8:9], v[4:5], v[10:11]
	ds_read2_b32 v[12:13], v16 offset1:32
	ds_read_b128 v[4:7], v3 offset:4192
	v_add_f32_e32 v8, v14, v8
	v_add_f32_e32 v17, v8, v9
	ds_read2_b32 v[14:15], v16 offset0:64 offset1:96
	ds_read_b128 v[8:11], v3 offset:4208
	s_mul_i32 s1, s1, s3
	s_waitcnt lgkmcnt(2)
	v_pk_mul_f32 v[4:5], v[12:13], v[4:5]
	s_mul_hi_u32 s6, s0, s3
	v_add_f32_e32 v3, v17, v4
	v_add_f32_e32 v3, v3, v5
	ds_read2_b32 v[4:5], v16 offset0:128 offset1:160
	ds_read2_b32 v[12:13], v16 offset0:192 offset1:224
	s_mul_i32 s0, s0, s3
	s_add_i32 s1, s6, s1
	s_waitcnt lgkmcnt(3)
	v_pk_mul_f32 v[6:7], v[14:15], v[6:7]
	s_lshl_b64 s[0:1], s[0:1], 2
	v_add_f32_e32 v3, v3, v6
	s_mul_i32 s4, s22, s10
	s_mul_hi_u32 s5, s22, s2
	s_add_u32 s3, s20, s0
	v_add_f32_e32 v3, v3, v7
	s_waitcnt lgkmcnt(1)
	v_pk_mul_f32 v[4:5], v[4:5], v[8:9]
	s_addc_u32 s6, s21, s1
	s_add_i32 s0, s5, s4
	s_mul_i32 s1, s23, s2
	v_add_f32_e32 v3, v3, v4
	s_add_i32 s1, s0, s1
	s_mul_i32 s0, s22, s2
	v_add_f32_e32 v3, v3, v5
	s_waitcnt lgkmcnt(0)
	v_pk_mul_f32 v[4:5], v[12:13], v[10:11]
	s_lshl_b64 s[0:1], s[0:1], 2
	v_add_f32_e32 v3, v3, v4
	s_add_u32 s0, s3, s0
	v_add_f32_e32 v3, v3, v5
	v_mad_u64_u32 v[4:5], s[2:3], s22, v2, 0
	v_mul_f32_e32 v7, s28, v3
	v_mov_b32_e32 v6, v5
	v_mad_u64_u32 v[2:3], s[2:3], s23, v2, v[6:7]
	s_addc_u32 s1, s6, s1
	v_mov_b32_e32 v5, v2
	v_mov_b32_e32 v1, 0
	v_lshl_add_u64 v[2:3], v[4:5], 2, s[0:1]
	v_lshl_add_u64 v[0:1], v[2:3], 0, v[0:1]
	global_store_dword v[0:1], v7, off
.LBB25_15:
	s_endpgm
	.section	.rodata,"a",@progbits
	.p2align	6, 0x0
	.amdhsa_kernel _ZL23rocblas_trmm_lNx_kernelILi32EffKffEv13rocblas_fill_17rocblas_diagonal_iiT1_lPT2_llS5_llPT3_lli
		.amdhsa_group_segment_fixed_size 8192
		.amdhsa_private_segment_fixed_size 0
		.amdhsa_kernarg_size 108
		.amdhsa_user_sgpr_count 2
		.amdhsa_user_sgpr_dispatch_ptr 0
		.amdhsa_user_sgpr_queue_ptr 0
		.amdhsa_user_sgpr_kernarg_segment_ptr 1
		.amdhsa_user_sgpr_dispatch_id 0
		.amdhsa_user_sgpr_kernarg_preload_length 0
		.amdhsa_user_sgpr_kernarg_preload_offset 0
		.amdhsa_user_sgpr_private_segment_size 0
		.amdhsa_uses_dynamic_stack 0
		.amdhsa_enable_private_segment 0
		.amdhsa_system_sgpr_workgroup_id_x 1
		.amdhsa_system_sgpr_workgroup_id_y 0
		.amdhsa_system_sgpr_workgroup_id_z 1
		.amdhsa_system_sgpr_workgroup_info 0
		.amdhsa_system_vgpr_workitem_id 1
		.amdhsa_next_free_vgpr 26
		.amdhsa_next_free_sgpr 29
		.amdhsa_accum_offset 28
		.amdhsa_reserve_vcc 1
		.amdhsa_float_round_mode_32 0
		.amdhsa_float_round_mode_16_64 0
		.amdhsa_float_denorm_mode_32 3
		.amdhsa_float_denorm_mode_16_64 3
		.amdhsa_dx10_clamp 1
		.amdhsa_ieee_mode 1
		.amdhsa_fp16_overflow 0
		.amdhsa_tg_split 0
		.amdhsa_exception_fp_ieee_invalid_op 0
		.amdhsa_exception_fp_denorm_src 0
		.amdhsa_exception_fp_ieee_div_zero 0
		.amdhsa_exception_fp_ieee_overflow 0
		.amdhsa_exception_fp_ieee_underflow 0
		.amdhsa_exception_fp_ieee_inexact 0
		.amdhsa_exception_int_div_zero 0
	.end_amdhsa_kernel
	.section	.text._ZL23rocblas_trmm_lNx_kernelILi32EffKffEv13rocblas_fill_17rocblas_diagonal_iiT1_lPT2_llS5_llPT3_lli,"axG",@progbits,_ZL23rocblas_trmm_lNx_kernelILi32EffKffEv13rocblas_fill_17rocblas_diagonal_iiT1_lPT2_llS5_llPT3_lli,comdat
.Lfunc_end25:
	.size	_ZL23rocblas_trmm_lNx_kernelILi32EffKffEv13rocblas_fill_17rocblas_diagonal_iiT1_lPT2_llS5_llPT3_lli, .Lfunc_end25-_ZL23rocblas_trmm_lNx_kernelILi32EffKffEv13rocblas_fill_17rocblas_diagonal_iiT1_lPT2_llS5_llPT3_lli
                                        ; -- End function
	.set _ZL23rocblas_trmm_lNx_kernelILi32EffKffEv13rocblas_fill_17rocblas_diagonal_iiT1_lPT2_llS5_llPT3_lli.num_vgpr, 26
	.set _ZL23rocblas_trmm_lNx_kernelILi32EffKffEv13rocblas_fill_17rocblas_diagonal_iiT1_lPT2_llS5_llPT3_lli.num_agpr, 0
	.set _ZL23rocblas_trmm_lNx_kernelILi32EffKffEv13rocblas_fill_17rocblas_diagonal_iiT1_lPT2_llS5_llPT3_lli.numbered_sgpr, 29
	.set _ZL23rocblas_trmm_lNx_kernelILi32EffKffEv13rocblas_fill_17rocblas_diagonal_iiT1_lPT2_llS5_llPT3_lli.num_named_barrier, 0
	.set _ZL23rocblas_trmm_lNx_kernelILi32EffKffEv13rocblas_fill_17rocblas_diagonal_iiT1_lPT2_llS5_llPT3_lli.private_seg_size, 0
	.set _ZL23rocblas_trmm_lNx_kernelILi32EffKffEv13rocblas_fill_17rocblas_diagonal_iiT1_lPT2_llS5_llPT3_lli.uses_vcc, 1
	.set _ZL23rocblas_trmm_lNx_kernelILi32EffKffEv13rocblas_fill_17rocblas_diagonal_iiT1_lPT2_llS5_llPT3_lli.uses_flat_scratch, 0
	.set _ZL23rocblas_trmm_lNx_kernelILi32EffKffEv13rocblas_fill_17rocblas_diagonal_iiT1_lPT2_llS5_llPT3_lli.has_dyn_sized_stack, 0
	.set _ZL23rocblas_trmm_lNx_kernelILi32EffKffEv13rocblas_fill_17rocblas_diagonal_iiT1_lPT2_llS5_llPT3_lli.has_recursion, 0
	.set _ZL23rocblas_trmm_lNx_kernelILi32EffKffEv13rocblas_fill_17rocblas_diagonal_iiT1_lPT2_llS5_llPT3_lli.has_indirect_call, 0
	.section	.AMDGPU.csdata,"",@progbits
; Kernel info:
; codeLenInByte = 1116
; TotalNumSgprs: 35
; NumVgprs: 26
; NumAgprs: 0
; TotalNumVgprs: 26
; ScratchSize: 0
; MemoryBound: 0
; FloatMode: 240
; IeeeMode: 1
; LDSByteSize: 8192 bytes/workgroup (compile time only)
; SGPRBlocks: 4
; VGPRBlocks: 3
; NumSGPRsForWavesPerEU: 35
; NumVGPRsForWavesPerEU: 26
; AccumOffset: 28
; Occupancy: 8
; WaveLimiterHint : 0
; COMPUTE_PGM_RSRC2:SCRATCH_EN: 0
; COMPUTE_PGM_RSRC2:USER_SGPR: 2
; COMPUTE_PGM_RSRC2:TRAP_HANDLER: 0
; COMPUTE_PGM_RSRC2:TGID_X_EN: 1
; COMPUTE_PGM_RSRC2:TGID_Y_EN: 0
; COMPUTE_PGM_RSRC2:TGID_Z_EN: 1
; COMPUTE_PGM_RSRC2:TIDIG_COMP_CNT: 1
; COMPUTE_PGM_RSRC3_GFX90A:ACCUM_OFFSET: 6
; COMPUTE_PGM_RSRC3_GFX90A:TG_SPLIT: 0
	.section	.text._ZL23rocblas_trmm_lTx_kernelILi32ELb0EfPKfS0_fEv13rocblas_fill_17rocblas_diagonal_iiT2_lPT3_llS6_llPT4_lli,"axG",@progbits,_ZL23rocblas_trmm_lTx_kernelILi32ELb0EfPKfS0_fEv13rocblas_fill_17rocblas_diagonal_iiT2_lPT3_llS6_llPT4_lli,comdat
	.globl	_ZL23rocblas_trmm_lTx_kernelILi32ELb0EfPKfS0_fEv13rocblas_fill_17rocblas_diagonal_iiT2_lPT3_llS6_llPT4_lli ; -- Begin function _ZL23rocblas_trmm_lTx_kernelILi32ELb0EfPKfS0_fEv13rocblas_fill_17rocblas_diagonal_iiT2_lPT3_llS6_llPT4_lli
	.p2align	8
	.type	_ZL23rocblas_trmm_lTx_kernelILi32ELb0EfPKfS0_fEv13rocblas_fill_17rocblas_diagonal_iiT2_lPT3_llS6_llPT4_lli,@function
_ZL23rocblas_trmm_lTx_kernelILi32ELb0EfPKfS0_fEv13rocblas_fill_17rocblas_diagonal_iiT2_lPT3_llS6_llPT4_lli: ; @_ZL23rocblas_trmm_lTx_kernelILi32ELb0EfPKfS0_fEv13rocblas_fill_17rocblas_diagonal_iiT2_lPT3_llS6_llPT4_lli
; %bb.0:
	s_load_dwordx16 s[4:19], s[0:1], 0x10
	s_waitcnt lgkmcnt(0)
	s_mul_i32 s7, s7, s3
	s_mul_hi_u32 s20, s6, s3
	s_add_i32 s7, s20, s7
	s_mul_i32 s6, s6, s3
	s_lshl_b64 s[6:7], s[6:7], 2
	s_add_u32 s4, s4, s6
	s_addc_u32 s5, s5, s7
	s_load_dword s24, s[4:5], 0x0
	s_waitcnt lgkmcnt(0)
	v_cmp_eq_f32_e64 s[4:5], s24, 0
	s_and_b64 vcc, exec, s[4:5]
	s_cbranch_vccnz .LBB26_15
; %bb.1:
	s_load_dwordx4 s[20:23], s[0:1], 0x0
	v_and_b32_e32 v5, 0x3ff, v0
	v_bfe_u32 v2, v0, 10, 10
	v_lshlrev_b32_e32 v3, 5, v2
	v_add_lshl_u32 v4, v3, v5, 2
	s_waitcnt lgkmcnt(0)
	v_cmp_gt_i32_e64 s[4:5], s22, v2
	v_cmp_gt_i32_e32 vcc, s22, v5
	v_mov_b32_e32 v1, 0
	s_and_b64 s[6:7], s[4:5], vcc
	v_lshlrev_b32_e32 v0, 2, v5
	ds_write2st64_b32 v4, v1, v1 offset1:16
	s_waitcnt lgkmcnt(0)
	s_barrier
	s_and_saveexec_b64 s[4:5], s[6:7]
	s_cbranch_execz .LBB26_3
; %bb.2:
	s_mul_i32 s6, s13, s3
	s_mul_hi_u32 s7, s12, s3
	s_add_i32 s7, s7, s6
	s_mul_i32 s6, s12, s3
	s_lshl_b64 s[6:7], s[6:7], 2
	s_add_u32 s6, s8, s6
	s_addc_u32 s7, s9, s7
	v_mad_u64_u32 v[6:7], s[8:9], s10, v2, 0
	v_mov_b32_e32 v8, v7
	v_mad_u64_u32 v[8:9], s[8:9], s11, v2, v[8:9]
	v_mov_b32_e32 v7, v8
	v_lshl_add_u64 v[6:7], v[6:7], 2, s[6:7]
	v_lshl_add_u64 v[6:7], v[6:7], 0, v[0:1]
	global_load_dword v1, v[6:7], off
	v_lshlrev_b32_e32 v6, 2, v2
	v_lshl_add_u32 v6, v5, 7, v6
	s_waitcnt vmcnt(0)
	ds_write_b32 v6, v1
.LBB26_3:
	s_or_b64 exec, exec, s[4:5]
	s_add_i32 s4, s23, -1
	s_ashr_i32 s5, s4, 31
	s_lshr_b32 s5, s5, 27
	s_add_i32 s4, s4, s5
	s_ashr_i32 s5, s4, 5
	s_andn2_b32 s4, s4, 31
	s_sub_i32 s4, s23, s4
	s_cmp_ge_i32 s2, s5
	s_cselect_b32 s4, s4, 32
	s_lshl_b32 s2, s2, 5
	v_cmp_gt_i32_e64 s[4:5], s4, v2
	s_ashr_i32 s10, s2, 31
	s_and_b64 s[4:5], vcc, s[4:5]
	s_and_saveexec_b64 s[6:7], s[4:5]
	s_cbranch_execz .LBB26_5
; %bb.4:
	s_mul_i32 s8, s19, s3
	s_mul_hi_u32 s9, s18, s3
	s_add_i32 s9, s9, s8
	s_mul_i32 s8, s18, s3
	s_lshl_b64 s[8:9], s[8:9], 2
	s_add_u32 s11, s14, s8
	s_addc_u32 s12, s15, s9
	s_mul_i32 s8, s16, s10
	s_mul_hi_u32 s9, s16, s2
	s_add_i32 s8, s9, s8
	s_mul_i32 s9, s17, s2
	s_add_i32 s9, s8, s9
	s_mul_i32 s8, s16, s2
	s_lshl_b64 s[8:9], s[8:9], 2
	s_add_u32 s8, s11, s8
	s_addc_u32 s9, s12, s9
	v_mad_u64_u32 v[6:7], s[12:13], s16, v2, 0
	v_mov_b32_e32 v8, v7
	v_mad_u64_u32 v[8:9], s[12:13], s17, v2, v[8:9]
	v_mov_b32_e32 v7, v8
	v_lshl_add_u64 v[6:7], v[6:7], 2, s[8:9]
	v_mov_b32_e32 v1, 0
	v_lshl_add_u64 v[6:7], v[6:7], 0, v[0:1]
	global_load_dword v1, v[6:7], off
	v_add_u32_e32 v6, 0x1000, v4
	s_waitcnt vmcnt(0)
	ds_write_b32 v6, v1
.LBB26_5:
	s_or_b64 exec, exec, s[6:7]
	s_cmpk_eq_i32 s21, 0x84
	s_cselect_b64 s[6:7], -1, 0
	v_cmp_eq_u32_e32 vcc, v2, v5
	s_and_b64 s[8:9], vcc, s[6:7]
	s_and_saveexec_b64 s[6:7], s[8:9]
; %bb.6:
	v_mov_b32_e32 v1, 1.0
	ds_write_b32 v4, v1
; %bb.7:
	s_or_b64 exec, exec, s[6:7]
	s_cmpk_lg_i32 s20, 0x7a
	s_waitcnt lgkmcnt(0)
	s_barrier
	s_cbranch_scc0 .LBB26_9
; %bb.8:
	v_cmp_lt_u32_e32 vcc, v5, v2
	s_and_b64 s[6:7], vcc, exec
	s_cbranch_execz .LBB26_10
	s_branch .LBB26_11
.LBB26_9:
	s_mov_b64 s[6:7], 0
.LBB26_10:
	v_cmp_gt_u32_e32 vcc, v5, v2
	s_andn2_b64 s[6:7], s[6:7], exec
	s_and_b64 s[8:9], vcc, exec
	s_or_b64 s[6:7], s[6:7], s[8:9]
.LBB26_11:
	s_and_saveexec_b64 s[8:9], s[6:7]
; %bb.12:
	v_mov_b32_e32 v1, 0
	ds_write_b32 v4, v1
; %bb.13:
	s_or_b64 exec, exec, s[8:9]
	s_waitcnt lgkmcnt(0)
	s_barrier
	s_and_saveexec_b64 s[6:7], s[4:5]
	s_cbranch_execz .LBB26_15
; %bb.14:
	s_load_dwordx2 s[8:9], s[0:1], 0x60
	s_load_dwordx4 s[4:7], s[0:1], 0x50
	ds_read2_b32 v[20:21], v0 offset1:32
	v_lshlrev_b32_e32 v3, 2, v3
	ds_read_b128 v[4:7], v3 offset:4096
	ds_read_b128 v[8:11], v3 offset:4112
	;; [unrolled: 1-line block ×4, first 2 shown]
	ds_read2_b32 v[22:23], v0 offset0:64 offset1:96
	ds_read2_b32 v[24:25], v0 offset0:128 offset1:160
	s_waitcnt lgkmcnt(0)
	s_mul_i32 s1, s9, s3
	v_fma_f32 v20, v20, v4, 0
	v_fmac_f32_e32 v20, v21, v5
	ds_read2_b32 v[4:5], v0 offset0:192 offset1:224
	v_fmac_f32_e32 v20, v22, v6
	v_add_u32_e32 v21, 0x400, v0
	v_fmac_f32_e32 v20, v23, v7
	ds_read2_b32 v[6:7], v21 offset1:32
	v_fmac_f32_e32 v20, v24, v8
	v_fmac_f32_e32 v20, v25, v9
	ds_read2_b32 v[8:9], v21 offset0:64 offset1:96
	s_waitcnt lgkmcnt(2)
	v_fmac_f32_e32 v20, v4, v10
	v_fmac_f32_e32 v20, v5, v11
	ds_read2_b32 v[4:5], v21 offset0:128 offset1:160
	s_waitcnt lgkmcnt(2)
	v_fmac_f32_e32 v20, v6, v12
	v_fmac_f32_e32 v20, v7, v13
	s_waitcnt lgkmcnt(1)
	v_fmac_f32_e32 v20, v8, v14
	v_fmac_f32_e32 v20, v9, v15
	ds_read2_b32 v[8:9], v21 offset0:192 offset1:224
	s_waitcnt lgkmcnt(1)
	v_fmac_f32_e32 v20, v4, v16
	v_add_u32_e32 v21, 0x800, v0
	v_fmac_f32_e32 v20, v5, v17
	ds_read2_b32 v[12:13], v21 offset1:32
	ds_read_b128 v[4:7], v3 offset:4160
	s_waitcnt lgkmcnt(2)
	v_fmac_f32_e32 v20, v8, v18
	v_fmac_f32_e32 v20, v9, v19
	ds_read2_b32 v[14:15], v21 offset0:64 offset1:96
	ds_read_b128 v[8:11], v3 offset:4176
	ds_read2_b32 v[16:17], v21 offset0:128 offset1:160
	s_waitcnt lgkmcnt(3)
	v_fmac_f32_e32 v20, v12, v4
	v_fmac_f32_e32 v20, v13, v5
	ds_read2_b32 v[4:5], v21 offset0:192 offset1:224
	s_waitcnt lgkmcnt(3)
	v_fmac_f32_e32 v20, v14, v6
	v_fmac_f32_e32 v20, v15, v7
	s_waitcnt lgkmcnt(1)
	v_pk_mul_f32 v[6:7], v[16:17], v[8:9]
	v_add_u32_e32 v16, 0xc00, v0
	v_add_f32_e32 v6, v20, v6
	v_add_f32_e32 v14, v6, v7
	s_waitcnt lgkmcnt(0)
	v_pk_mul_f32 v[8:9], v[4:5], v[10:11]
	ds_read2_b32 v[12:13], v16 offset1:32
	ds_read_b128 v[4:7], v3 offset:4192
	v_add_f32_e32 v8, v14, v8
	v_add_f32_e32 v17, v8, v9
	ds_read2_b32 v[14:15], v16 offset0:64 offset1:96
	ds_read_b128 v[8:11], v3 offset:4208
	s_mul_hi_u32 s9, s8, s3
	s_waitcnt lgkmcnt(2)
	v_pk_mul_f32 v[4:5], v[12:13], v[4:5]
	ds_read2_b32 v[12:13], v16 offset0:192 offset1:224
	v_add_f32_e32 v3, v17, v4
	v_add_f32_e32 v3, v3, v5
	ds_read2_b32 v[4:5], v16 offset0:128 offset1:160
	s_waitcnt lgkmcnt(3)
	v_pk_mul_f32 v[6:7], v[14:15], v[6:7]
	s_mul_i32 s0, s8, s3
	v_add_f32_e32 v3, v3, v6
	s_add_i32 s1, s9, s1
	v_add_f32_e32 v3, v3, v7
	s_waitcnt lgkmcnt(0)
	v_pk_mul_f32 v[4:5], v[4:5], v[8:9]
	s_lshl_b64 s[0:1], s[0:1], 2
	v_add_f32_e32 v3, v3, v4
	s_mul_i32 s3, s6, s10
	s_add_u32 s4, s4, s0
	s_mul_hi_u32 s0, s6, s2
	v_add_f32_e32 v3, v3, v5
	v_pk_mul_f32 v[4:5], v[12:13], v[10:11]
	s_addc_u32 s5, s5, s1
	s_add_i32 s0, s0, s3
	s_mul_i32 s1, s7, s2
	v_add_f32_e32 v3, v3, v4
	s_add_i32 s1, s0, s1
	s_mul_i32 s0, s6, s2
	v_add_f32_e32 v3, v3, v5
	v_mad_u64_u32 v[4:5], s[2:3], s6, v2, 0
	s_lshl_b64 s[0:1], s[0:1], 2
	v_mul_f32_e32 v7, s24, v3
	v_mov_b32_e32 v6, v5
	s_add_u32 s0, s4, s0
	v_mad_u64_u32 v[2:3], s[2:3], s7, v2, v[6:7]
	s_addc_u32 s1, s5, s1
	v_mov_b32_e32 v5, v2
	v_mov_b32_e32 v1, 0
	v_lshl_add_u64 v[2:3], v[4:5], 2, s[0:1]
	v_lshl_add_u64 v[0:1], v[2:3], 0, v[0:1]
	global_store_dword v[0:1], v7, off
.LBB26_15:
	s_endpgm
	.section	.rodata,"a",@progbits
	.p2align	6, 0x0
	.amdhsa_kernel _ZL23rocblas_trmm_lTx_kernelILi32ELb0EfPKfS0_fEv13rocblas_fill_17rocblas_diagonal_iiT2_lPT3_llS6_llPT4_lli
		.amdhsa_group_segment_fixed_size 8192
		.amdhsa_private_segment_fixed_size 0
		.amdhsa_kernarg_size 108
		.amdhsa_user_sgpr_count 2
		.amdhsa_user_sgpr_dispatch_ptr 0
		.amdhsa_user_sgpr_queue_ptr 0
		.amdhsa_user_sgpr_kernarg_segment_ptr 1
		.amdhsa_user_sgpr_dispatch_id 0
		.amdhsa_user_sgpr_kernarg_preload_length 0
		.amdhsa_user_sgpr_kernarg_preload_offset 0
		.amdhsa_user_sgpr_private_segment_size 0
		.amdhsa_uses_dynamic_stack 0
		.amdhsa_enable_private_segment 0
		.amdhsa_system_sgpr_workgroup_id_x 1
		.amdhsa_system_sgpr_workgroup_id_y 0
		.amdhsa_system_sgpr_workgroup_id_z 1
		.amdhsa_system_sgpr_workgroup_info 0
		.amdhsa_system_vgpr_workitem_id 1
		.amdhsa_next_free_vgpr 26
		.amdhsa_next_free_sgpr 25
		.amdhsa_accum_offset 28
		.amdhsa_reserve_vcc 1
		.amdhsa_float_round_mode_32 0
		.amdhsa_float_round_mode_16_64 0
		.amdhsa_float_denorm_mode_32 3
		.amdhsa_float_denorm_mode_16_64 3
		.amdhsa_dx10_clamp 1
		.amdhsa_ieee_mode 1
		.amdhsa_fp16_overflow 0
		.amdhsa_tg_split 0
		.amdhsa_exception_fp_ieee_invalid_op 0
		.amdhsa_exception_fp_denorm_src 0
		.amdhsa_exception_fp_ieee_div_zero 0
		.amdhsa_exception_fp_ieee_overflow 0
		.amdhsa_exception_fp_ieee_underflow 0
		.amdhsa_exception_fp_ieee_inexact 0
		.amdhsa_exception_int_div_zero 0
	.end_amdhsa_kernel
	.section	.text._ZL23rocblas_trmm_lTx_kernelILi32ELb0EfPKfS0_fEv13rocblas_fill_17rocblas_diagonal_iiT2_lPT3_llS6_llPT4_lli,"axG",@progbits,_ZL23rocblas_trmm_lTx_kernelILi32ELb0EfPKfS0_fEv13rocblas_fill_17rocblas_diagonal_iiT2_lPT3_llS6_llPT4_lli,comdat
.Lfunc_end26:
	.size	_ZL23rocblas_trmm_lTx_kernelILi32ELb0EfPKfS0_fEv13rocblas_fill_17rocblas_diagonal_iiT2_lPT3_llS6_llPT4_lli, .Lfunc_end26-_ZL23rocblas_trmm_lTx_kernelILi32ELb0EfPKfS0_fEv13rocblas_fill_17rocblas_diagonal_iiT2_lPT3_llS6_llPT4_lli
                                        ; -- End function
	.set _ZL23rocblas_trmm_lTx_kernelILi32ELb0EfPKfS0_fEv13rocblas_fill_17rocblas_diagonal_iiT2_lPT3_llS6_llPT4_lli.num_vgpr, 26
	.set _ZL23rocblas_trmm_lTx_kernelILi32ELb0EfPKfS0_fEv13rocblas_fill_17rocblas_diagonal_iiT2_lPT3_llS6_llPT4_lli.num_agpr, 0
	.set _ZL23rocblas_trmm_lTx_kernelILi32ELb0EfPKfS0_fEv13rocblas_fill_17rocblas_diagonal_iiT2_lPT3_llS6_llPT4_lli.numbered_sgpr, 25
	.set _ZL23rocblas_trmm_lTx_kernelILi32ELb0EfPKfS0_fEv13rocblas_fill_17rocblas_diagonal_iiT2_lPT3_llS6_llPT4_lli.num_named_barrier, 0
	.set _ZL23rocblas_trmm_lTx_kernelILi32ELb0EfPKfS0_fEv13rocblas_fill_17rocblas_diagonal_iiT2_lPT3_llS6_llPT4_lli.private_seg_size, 0
	.set _ZL23rocblas_trmm_lTx_kernelILi32ELb0EfPKfS0_fEv13rocblas_fill_17rocblas_diagonal_iiT2_lPT3_llS6_llPT4_lli.uses_vcc, 1
	.set _ZL23rocblas_trmm_lTx_kernelILi32ELb0EfPKfS0_fEv13rocblas_fill_17rocblas_diagonal_iiT2_lPT3_llS6_llPT4_lli.uses_flat_scratch, 0
	.set _ZL23rocblas_trmm_lTx_kernelILi32ELb0EfPKfS0_fEv13rocblas_fill_17rocblas_diagonal_iiT2_lPT3_llS6_llPT4_lli.has_dyn_sized_stack, 0
	.set _ZL23rocblas_trmm_lTx_kernelILi32ELb0EfPKfS0_fEv13rocblas_fill_17rocblas_diagonal_iiT2_lPT3_llS6_llPT4_lli.has_recursion, 0
	.set _ZL23rocblas_trmm_lTx_kernelILi32ELb0EfPKfS0_fEv13rocblas_fill_17rocblas_diagonal_iiT2_lPT3_llS6_llPT4_lli.has_indirect_call, 0
	.section	.AMDGPU.csdata,"",@progbits
; Kernel info:
; codeLenInByte = 1180
; TotalNumSgprs: 31
; NumVgprs: 26
; NumAgprs: 0
; TotalNumVgprs: 26
; ScratchSize: 0
; MemoryBound: 0
; FloatMode: 240
; IeeeMode: 1
; LDSByteSize: 8192 bytes/workgroup (compile time only)
; SGPRBlocks: 3
; VGPRBlocks: 3
; NumSGPRsForWavesPerEU: 31
; NumVGPRsForWavesPerEU: 26
; AccumOffset: 28
; Occupancy: 8
; WaveLimiterHint : 0
; COMPUTE_PGM_RSRC2:SCRATCH_EN: 0
; COMPUTE_PGM_RSRC2:USER_SGPR: 2
; COMPUTE_PGM_RSRC2:TRAP_HANDLER: 0
; COMPUTE_PGM_RSRC2:TGID_X_EN: 1
; COMPUTE_PGM_RSRC2:TGID_Y_EN: 0
; COMPUTE_PGM_RSRC2:TGID_Z_EN: 1
; COMPUTE_PGM_RSRC2:TIDIG_COMP_CNT: 1
; COMPUTE_PGM_RSRC3_GFX90A:ACCUM_OFFSET: 6
; COMPUTE_PGM_RSRC3_GFX90A:TG_SPLIT: 0
	.section	.text._ZL23rocblas_trmm_lTx_kernelILi32ELb0EffKffEv13rocblas_fill_17rocblas_diagonal_iiT2_lPT3_llS5_llPT4_lli,"axG",@progbits,_ZL23rocblas_trmm_lTx_kernelILi32ELb0EffKffEv13rocblas_fill_17rocblas_diagonal_iiT2_lPT3_llS5_llPT4_lli,comdat
	.globl	_ZL23rocblas_trmm_lTx_kernelILi32ELb0EffKffEv13rocblas_fill_17rocblas_diagonal_iiT2_lPT3_llS5_llPT4_lli ; -- Begin function _ZL23rocblas_trmm_lTx_kernelILi32ELb0EffKffEv13rocblas_fill_17rocblas_diagonal_iiT2_lPT3_llS5_llPT4_lli
	.p2align	8
	.type	_ZL23rocblas_trmm_lTx_kernelILi32ELb0EffKffEv13rocblas_fill_17rocblas_diagonal_iiT2_lPT3_llS5_llPT4_lli,@function
_ZL23rocblas_trmm_lTx_kernelILi32ELb0EffKffEv13rocblas_fill_17rocblas_diagonal_iiT2_lPT3_llS5_llPT4_lli: ; @_ZL23rocblas_trmm_lTx_kernelILi32ELb0EffKffEv13rocblas_fill_17rocblas_diagonal_iiT2_lPT3_llS5_llPT4_lli
; %bb.0:
	s_load_dword s28, s[0:1], 0x10
	s_waitcnt lgkmcnt(0)
	v_cmp_eq_f32_e64 s[4:5], s28, 0
	s_and_b64 vcc, exec, s[4:5]
	s_cbranch_vccnz .LBB27_15
; %bb.1:
	s_load_dwordx4 s[24:27], s[0:1], 0x0
	s_load_dwordx16 s[8:23], s[0:1], 0x20
	v_and_b32_e32 v5, 0x3ff, v0
	v_bfe_u32 v2, v0, 10, 10
	v_lshlrev_b32_e32 v3, 5, v2
	s_waitcnt lgkmcnt(0)
	v_cmp_gt_i32_e64 s[4:5], s26, v2
	v_cmp_gt_i32_e32 vcc, s26, v5
	v_add_lshl_u32 v4, v3, v5, 2
	v_mov_b32_e32 v1, 0
	s_and_b64 s[6:7], s[4:5], vcc
	v_lshlrev_b32_e32 v0, 2, v5
	ds_write2st64_b32 v4, v1, v1 offset1:16
	s_waitcnt lgkmcnt(0)
	s_barrier
	s_and_saveexec_b64 s[4:5], s[6:7]
	s_cbranch_execz .LBB27_3
; %bb.2:
	s_mul_i32 s6, s13, s3
	s_mul_hi_u32 s7, s12, s3
	s_add_i32 s7, s7, s6
	s_mul_i32 s6, s12, s3
	s_lshl_b64 s[6:7], s[6:7], 2
	s_add_u32 s6, s8, s6
	s_addc_u32 s7, s9, s7
	v_mad_u64_u32 v[6:7], s[8:9], s10, v2, 0
	v_mov_b32_e32 v8, v7
	v_mad_u64_u32 v[8:9], s[8:9], s11, v2, v[8:9]
	v_mov_b32_e32 v7, v8
	v_lshl_add_u64 v[6:7], v[6:7], 2, s[6:7]
	v_lshl_add_u64 v[6:7], v[6:7], 0, v[0:1]
	global_load_dword v1, v[6:7], off
	v_lshlrev_b32_e32 v6, 2, v2
	v_lshl_add_u32 v6, v5, 7, v6
	s_waitcnt vmcnt(0)
	ds_write_b32 v6, v1
.LBB27_3:
	s_or_b64 exec, exec, s[4:5]
	s_add_i32 s4, s27, -1
	s_ashr_i32 s5, s4, 31
	s_lshr_b32 s5, s5, 27
	s_add_i32 s4, s4, s5
	s_ashr_i32 s5, s4, 5
	s_andn2_b32 s4, s4, 31
	s_sub_i32 s4, s27, s4
	s_cmp_ge_i32 s2, s5
	s_cselect_b32 s4, s4, 32
	s_lshl_b32 s2, s2, 5
	v_cmp_gt_i32_e64 s[4:5], s4, v2
	s_ashr_i32 s10, s2, 31
	s_and_b64 s[4:5], vcc, s[4:5]
	s_and_saveexec_b64 s[6:7], s[4:5]
	s_cbranch_execz .LBB27_5
; %bb.4:
	s_mul_i32 s8, s19, s3
	s_mul_hi_u32 s9, s18, s3
	s_add_i32 s9, s9, s8
	s_mul_i32 s8, s18, s3
	s_lshl_b64 s[8:9], s[8:9], 2
	s_add_u32 s11, s14, s8
	s_addc_u32 s12, s15, s9
	s_mul_i32 s8, s16, s10
	s_mul_hi_u32 s9, s16, s2
	s_add_i32 s8, s9, s8
	s_mul_i32 s9, s17, s2
	s_add_i32 s9, s8, s9
	s_mul_i32 s8, s16, s2
	s_lshl_b64 s[8:9], s[8:9], 2
	s_add_u32 s8, s11, s8
	s_addc_u32 s9, s12, s9
	v_mad_u64_u32 v[6:7], s[12:13], s16, v2, 0
	v_mov_b32_e32 v8, v7
	v_mad_u64_u32 v[8:9], s[12:13], s17, v2, v[8:9]
	v_mov_b32_e32 v7, v8
	v_lshl_add_u64 v[6:7], v[6:7], 2, s[8:9]
	v_mov_b32_e32 v1, 0
	v_lshl_add_u64 v[6:7], v[6:7], 0, v[0:1]
	global_load_dword v1, v[6:7], off
	v_add_u32_e32 v6, 0x1000, v4
	s_waitcnt vmcnt(0)
	ds_write_b32 v6, v1
.LBB27_5:
	s_or_b64 exec, exec, s[6:7]
	s_cmpk_eq_i32 s25, 0x84
	s_cselect_b64 s[6:7], -1, 0
	v_cmp_eq_u32_e32 vcc, v2, v5
	s_and_b64 s[8:9], vcc, s[6:7]
	s_and_saveexec_b64 s[6:7], s[8:9]
; %bb.6:
	v_mov_b32_e32 v1, 1.0
	ds_write_b32 v4, v1
; %bb.7:
	s_or_b64 exec, exec, s[6:7]
	s_cmpk_lg_i32 s24, 0x7a
	s_waitcnt lgkmcnt(0)
	s_barrier
	s_cbranch_scc0 .LBB27_9
; %bb.8:
	v_cmp_lt_u32_e32 vcc, v5, v2
	s_and_b64 s[6:7], vcc, exec
	s_cbranch_execz .LBB27_10
	s_branch .LBB27_11
.LBB27_9:
	s_mov_b64 s[6:7], 0
.LBB27_10:
	v_cmp_gt_u32_e32 vcc, v5, v2
	s_andn2_b64 s[6:7], s[6:7], exec
	s_and_b64 s[8:9], vcc, exec
	s_or_b64 s[6:7], s[6:7], s[8:9]
.LBB27_11:
	s_and_saveexec_b64 s[8:9], s[6:7]
; %bb.12:
	v_mov_b32_e32 v1, 0
	ds_write_b32 v4, v1
; %bb.13:
	s_or_b64 exec, exec, s[8:9]
	s_waitcnt lgkmcnt(0)
	s_barrier
	s_and_saveexec_b64 s[6:7], s[4:5]
	s_cbranch_execz .LBB27_15
; %bb.14:
	ds_read2_b32 v[20:21], v0 offset1:32
	v_lshlrev_b32_e32 v3, 2, v3
	ds_read_b128 v[4:7], v3 offset:4096
	ds_read_b128 v[8:11], v3 offset:4112
	;; [unrolled: 1-line block ×4, first 2 shown]
	ds_read2_b32 v[22:23], v0 offset0:64 offset1:96
	ds_read2_b32 v[24:25], v0 offset0:128 offset1:160
	s_load_dwordx2 s[0:1], s[0:1], 0x60
	s_waitcnt lgkmcnt(0)
	v_fma_f32 v20, v20, v4, 0
	v_fmac_f32_e32 v20, v21, v5
	ds_read2_b32 v[4:5], v0 offset0:192 offset1:224
	v_fmac_f32_e32 v20, v22, v6
	v_add_u32_e32 v21, 0x400, v0
	v_fmac_f32_e32 v20, v23, v7
	ds_read2_b32 v[6:7], v21 offset1:32
	v_fmac_f32_e32 v20, v24, v8
	v_fmac_f32_e32 v20, v25, v9
	ds_read2_b32 v[8:9], v21 offset0:64 offset1:96
	s_waitcnt lgkmcnt(2)
	v_fmac_f32_e32 v20, v4, v10
	v_fmac_f32_e32 v20, v5, v11
	ds_read2_b32 v[4:5], v21 offset0:128 offset1:160
	s_waitcnt lgkmcnt(2)
	v_fmac_f32_e32 v20, v6, v12
	v_fmac_f32_e32 v20, v7, v13
	s_waitcnt lgkmcnt(1)
	v_fmac_f32_e32 v20, v8, v14
	v_fmac_f32_e32 v20, v9, v15
	ds_read2_b32 v[8:9], v21 offset0:192 offset1:224
	s_waitcnt lgkmcnt(1)
	v_fmac_f32_e32 v20, v4, v16
	v_add_u32_e32 v21, 0x800, v0
	v_fmac_f32_e32 v20, v5, v17
	ds_read2_b32 v[12:13], v21 offset1:32
	ds_read_b128 v[4:7], v3 offset:4160
	s_waitcnt lgkmcnt(2)
	v_fmac_f32_e32 v20, v8, v18
	v_fmac_f32_e32 v20, v9, v19
	ds_read2_b32 v[14:15], v21 offset0:64 offset1:96
	ds_read_b128 v[8:11], v3 offset:4176
	ds_read2_b32 v[16:17], v21 offset0:128 offset1:160
	s_waitcnt lgkmcnt(3)
	v_fmac_f32_e32 v20, v12, v4
	v_fmac_f32_e32 v20, v13, v5
	ds_read2_b32 v[4:5], v21 offset0:192 offset1:224
	s_waitcnt lgkmcnt(3)
	v_fmac_f32_e32 v20, v14, v6
	v_fmac_f32_e32 v20, v15, v7
	s_waitcnt lgkmcnt(1)
	v_pk_mul_f32 v[6:7], v[16:17], v[8:9]
	v_add_u32_e32 v16, 0xc00, v0
	v_add_f32_e32 v6, v20, v6
	v_add_f32_e32 v14, v6, v7
	s_waitcnt lgkmcnt(0)
	v_pk_mul_f32 v[8:9], v[4:5], v[10:11]
	ds_read2_b32 v[12:13], v16 offset1:32
	ds_read_b128 v[4:7], v3 offset:4192
	v_add_f32_e32 v8, v14, v8
	v_add_f32_e32 v17, v8, v9
	ds_read2_b32 v[14:15], v16 offset0:64 offset1:96
	ds_read_b128 v[8:11], v3 offset:4208
	s_mul_i32 s1, s1, s3
	s_waitcnt lgkmcnt(2)
	v_pk_mul_f32 v[4:5], v[12:13], v[4:5]
	s_mul_hi_u32 s6, s0, s3
	v_add_f32_e32 v3, v17, v4
	v_add_f32_e32 v3, v3, v5
	ds_read2_b32 v[4:5], v16 offset0:128 offset1:160
	ds_read2_b32 v[12:13], v16 offset0:192 offset1:224
	s_mul_i32 s0, s0, s3
	s_add_i32 s1, s6, s1
	s_waitcnt lgkmcnt(3)
	v_pk_mul_f32 v[6:7], v[14:15], v[6:7]
	s_lshl_b64 s[0:1], s[0:1], 2
	v_add_f32_e32 v3, v3, v6
	s_mul_i32 s4, s22, s10
	s_mul_hi_u32 s5, s22, s2
	s_add_u32 s3, s20, s0
	v_add_f32_e32 v3, v3, v7
	s_waitcnt lgkmcnt(1)
	v_pk_mul_f32 v[4:5], v[4:5], v[8:9]
	s_addc_u32 s6, s21, s1
	s_add_i32 s0, s5, s4
	s_mul_i32 s1, s23, s2
	v_add_f32_e32 v3, v3, v4
	s_add_i32 s1, s0, s1
	s_mul_i32 s0, s22, s2
	v_add_f32_e32 v3, v3, v5
	s_waitcnt lgkmcnt(0)
	v_pk_mul_f32 v[4:5], v[12:13], v[10:11]
	s_lshl_b64 s[0:1], s[0:1], 2
	v_add_f32_e32 v3, v3, v4
	s_add_u32 s0, s3, s0
	v_add_f32_e32 v3, v3, v5
	v_mad_u64_u32 v[4:5], s[2:3], s22, v2, 0
	v_mul_f32_e32 v7, s28, v3
	v_mov_b32_e32 v6, v5
	v_mad_u64_u32 v[2:3], s[2:3], s23, v2, v[6:7]
	s_addc_u32 s1, s6, s1
	v_mov_b32_e32 v5, v2
	v_mov_b32_e32 v1, 0
	v_lshl_add_u64 v[2:3], v[4:5], 2, s[0:1]
	v_lshl_add_u64 v[0:1], v[2:3], 0, v[0:1]
	global_store_dword v[0:1], v7, off
.LBB27_15:
	s_endpgm
	.section	.rodata,"a",@progbits
	.p2align	6, 0x0
	.amdhsa_kernel _ZL23rocblas_trmm_lTx_kernelILi32ELb0EffKffEv13rocblas_fill_17rocblas_diagonal_iiT2_lPT3_llS5_llPT4_lli
		.amdhsa_group_segment_fixed_size 8192
		.amdhsa_private_segment_fixed_size 0
		.amdhsa_kernarg_size 108
		.amdhsa_user_sgpr_count 2
		.amdhsa_user_sgpr_dispatch_ptr 0
		.amdhsa_user_sgpr_queue_ptr 0
		.amdhsa_user_sgpr_kernarg_segment_ptr 1
		.amdhsa_user_sgpr_dispatch_id 0
		.amdhsa_user_sgpr_kernarg_preload_length 0
		.amdhsa_user_sgpr_kernarg_preload_offset 0
		.amdhsa_user_sgpr_private_segment_size 0
		.amdhsa_uses_dynamic_stack 0
		.amdhsa_enable_private_segment 0
		.amdhsa_system_sgpr_workgroup_id_x 1
		.amdhsa_system_sgpr_workgroup_id_y 0
		.amdhsa_system_sgpr_workgroup_id_z 1
		.amdhsa_system_sgpr_workgroup_info 0
		.amdhsa_system_vgpr_workitem_id 1
		.amdhsa_next_free_vgpr 26
		.amdhsa_next_free_sgpr 29
		.amdhsa_accum_offset 28
		.amdhsa_reserve_vcc 1
		.amdhsa_float_round_mode_32 0
		.amdhsa_float_round_mode_16_64 0
		.amdhsa_float_denorm_mode_32 3
		.amdhsa_float_denorm_mode_16_64 3
		.amdhsa_dx10_clamp 1
		.amdhsa_ieee_mode 1
		.amdhsa_fp16_overflow 0
		.amdhsa_tg_split 0
		.amdhsa_exception_fp_ieee_invalid_op 0
		.amdhsa_exception_fp_denorm_src 0
		.amdhsa_exception_fp_ieee_div_zero 0
		.amdhsa_exception_fp_ieee_overflow 0
		.amdhsa_exception_fp_ieee_underflow 0
		.amdhsa_exception_fp_ieee_inexact 0
		.amdhsa_exception_int_div_zero 0
	.end_amdhsa_kernel
	.section	.text._ZL23rocblas_trmm_lTx_kernelILi32ELb0EffKffEv13rocblas_fill_17rocblas_diagonal_iiT2_lPT3_llS5_llPT4_lli,"axG",@progbits,_ZL23rocblas_trmm_lTx_kernelILi32ELb0EffKffEv13rocblas_fill_17rocblas_diagonal_iiT2_lPT3_llS5_llPT4_lli,comdat
.Lfunc_end27:
	.size	_ZL23rocblas_trmm_lTx_kernelILi32ELb0EffKffEv13rocblas_fill_17rocblas_diagonal_iiT2_lPT3_llS5_llPT4_lli, .Lfunc_end27-_ZL23rocblas_trmm_lTx_kernelILi32ELb0EffKffEv13rocblas_fill_17rocblas_diagonal_iiT2_lPT3_llS5_llPT4_lli
                                        ; -- End function
	.set _ZL23rocblas_trmm_lTx_kernelILi32ELb0EffKffEv13rocblas_fill_17rocblas_diagonal_iiT2_lPT3_llS5_llPT4_lli.num_vgpr, 26
	.set _ZL23rocblas_trmm_lTx_kernelILi32ELb0EffKffEv13rocblas_fill_17rocblas_diagonal_iiT2_lPT3_llS5_llPT4_lli.num_agpr, 0
	.set _ZL23rocblas_trmm_lTx_kernelILi32ELb0EffKffEv13rocblas_fill_17rocblas_diagonal_iiT2_lPT3_llS5_llPT4_lli.numbered_sgpr, 29
	.set _ZL23rocblas_trmm_lTx_kernelILi32ELb0EffKffEv13rocblas_fill_17rocblas_diagonal_iiT2_lPT3_llS5_llPT4_lli.num_named_barrier, 0
	.set _ZL23rocblas_trmm_lTx_kernelILi32ELb0EffKffEv13rocblas_fill_17rocblas_diagonal_iiT2_lPT3_llS5_llPT4_lli.private_seg_size, 0
	.set _ZL23rocblas_trmm_lTx_kernelILi32ELb0EffKffEv13rocblas_fill_17rocblas_diagonal_iiT2_lPT3_llS5_llPT4_lli.uses_vcc, 1
	.set _ZL23rocblas_trmm_lTx_kernelILi32ELb0EffKffEv13rocblas_fill_17rocblas_diagonal_iiT2_lPT3_llS5_llPT4_lli.uses_flat_scratch, 0
	.set _ZL23rocblas_trmm_lTx_kernelILi32ELb0EffKffEv13rocblas_fill_17rocblas_diagonal_iiT2_lPT3_llS5_llPT4_lli.has_dyn_sized_stack, 0
	.set _ZL23rocblas_trmm_lTx_kernelILi32ELb0EffKffEv13rocblas_fill_17rocblas_diagonal_iiT2_lPT3_llS5_llPT4_lli.has_recursion, 0
	.set _ZL23rocblas_trmm_lTx_kernelILi32ELb0EffKffEv13rocblas_fill_17rocblas_diagonal_iiT2_lPT3_llS5_llPT4_lli.has_indirect_call, 0
	.section	.AMDGPU.csdata,"",@progbits
; Kernel info:
; codeLenInByte = 1144
; TotalNumSgprs: 35
; NumVgprs: 26
; NumAgprs: 0
; TotalNumVgprs: 26
; ScratchSize: 0
; MemoryBound: 0
; FloatMode: 240
; IeeeMode: 1
; LDSByteSize: 8192 bytes/workgroup (compile time only)
; SGPRBlocks: 4
; VGPRBlocks: 3
; NumSGPRsForWavesPerEU: 35
; NumVGPRsForWavesPerEU: 26
; AccumOffset: 28
; Occupancy: 8
; WaveLimiterHint : 0
; COMPUTE_PGM_RSRC2:SCRATCH_EN: 0
; COMPUTE_PGM_RSRC2:USER_SGPR: 2
; COMPUTE_PGM_RSRC2:TRAP_HANDLER: 0
; COMPUTE_PGM_RSRC2:TGID_X_EN: 1
; COMPUTE_PGM_RSRC2:TGID_Y_EN: 0
; COMPUTE_PGM_RSRC2:TGID_Z_EN: 1
; COMPUTE_PGM_RSRC2:TIDIG_COMP_CNT: 1
; COMPUTE_PGM_RSRC3_GFX90A:ACCUM_OFFSET: 6
; COMPUTE_PGM_RSRC3_GFX90A:TG_SPLIT: 0
	.section	.text._ZL23rocblas_trmm_lTx_kernelILi32ELb1EfPKfS0_fEv13rocblas_fill_17rocblas_diagonal_iiT2_lPT3_llS6_llPT4_lli,"axG",@progbits,_ZL23rocblas_trmm_lTx_kernelILi32ELb1EfPKfS0_fEv13rocblas_fill_17rocblas_diagonal_iiT2_lPT3_llS6_llPT4_lli,comdat
	.globl	_ZL23rocblas_trmm_lTx_kernelILi32ELb1EfPKfS0_fEv13rocblas_fill_17rocblas_diagonal_iiT2_lPT3_llS6_llPT4_lli ; -- Begin function _ZL23rocblas_trmm_lTx_kernelILi32ELb1EfPKfS0_fEv13rocblas_fill_17rocblas_diagonal_iiT2_lPT3_llS6_llPT4_lli
	.p2align	8
	.type	_ZL23rocblas_trmm_lTx_kernelILi32ELb1EfPKfS0_fEv13rocblas_fill_17rocblas_diagonal_iiT2_lPT3_llS6_llPT4_lli,@function
_ZL23rocblas_trmm_lTx_kernelILi32ELb1EfPKfS0_fEv13rocblas_fill_17rocblas_diagonal_iiT2_lPT3_llS6_llPT4_lli: ; @_ZL23rocblas_trmm_lTx_kernelILi32ELb1EfPKfS0_fEv13rocblas_fill_17rocblas_diagonal_iiT2_lPT3_llS6_llPT4_lli
; %bb.0:
	s_load_dwordx16 s[4:19], s[0:1], 0x10
	s_waitcnt lgkmcnt(0)
	s_mul_i32 s7, s7, s3
	s_mul_hi_u32 s20, s6, s3
	s_add_i32 s7, s20, s7
	s_mul_i32 s6, s6, s3
	s_lshl_b64 s[6:7], s[6:7], 2
	s_add_u32 s4, s4, s6
	s_addc_u32 s5, s5, s7
	s_load_dword s24, s[4:5], 0x0
	s_waitcnt lgkmcnt(0)
	v_cmp_eq_f32_e64 s[4:5], s24, 0
	s_and_b64 vcc, exec, s[4:5]
	s_cbranch_vccnz .LBB28_15
; %bb.1:
	s_load_dwordx4 s[20:23], s[0:1], 0x0
	v_and_b32_e32 v5, 0x3ff, v0
	v_bfe_u32 v2, v0, 10, 10
	v_lshlrev_b32_e32 v3, 5, v2
	v_add_lshl_u32 v4, v3, v5, 2
	s_waitcnt lgkmcnt(0)
	v_cmp_gt_i32_e64 s[4:5], s22, v2
	v_cmp_gt_i32_e32 vcc, s22, v5
	v_mov_b32_e32 v1, 0
	s_and_b64 s[6:7], s[4:5], vcc
	v_lshlrev_b32_e32 v0, 2, v5
	ds_write2st64_b32 v4, v1, v1 offset1:16
	s_waitcnt lgkmcnt(0)
	s_barrier
	s_and_saveexec_b64 s[4:5], s[6:7]
	s_cbranch_execz .LBB28_3
; %bb.2:
	s_mul_i32 s6, s13, s3
	s_mul_hi_u32 s7, s12, s3
	s_add_i32 s7, s7, s6
	s_mul_i32 s6, s12, s3
	s_lshl_b64 s[6:7], s[6:7], 2
	s_add_u32 s6, s8, s6
	s_addc_u32 s7, s9, s7
	v_mad_u64_u32 v[6:7], s[8:9], s10, v2, 0
	v_mov_b32_e32 v8, v7
	v_mad_u64_u32 v[8:9], s[8:9], s11, v2, v[8:9]
	v_mov_b32_e32 v7, v8
	v_lshl_add_u64 v[6:7], v[6:7], 2, s[6:7]
	v_lshl_add_u64 v[6:7], v[6:7], 0, v[0:1]
	global_load_dword v1, v[6:7], off
	v_lshlrev_b32_e32 v6, 2, v2
	v_lshl_add_u32 v6, v5, 7, v6
	s_waitcnt vmcnt(0)
	ds_write_b32 v6, v1
.LBB28_3:
	s_or_b64 exec, exec, s[4:5]
	s_add_i32 s4, s23, -1
	s_ashr_i32 s5, s4, 31
	s_lshr_b32 s5, s5, 27
	s_add_i32 s4, s4, s5
	s_ashr_i32 s5, s4, 5
	s_andn2_b32 s4, s4, 31
	s_sub_i32 s4, s23, s4
	s_cmp_ge_i32 s2, s5
	s_cselect_b32 s4, s4, 32
	s_lshl_b32 s2, s2, 5
	v_cmp_gt_i32_e64 s[4:5], s4, v2
	s_ashr_i32 s10, s2, 31
	s_and_b64 s[4:5], vcc, s[4:5]
	s_and_saveexec_b64 s[6:7], s[4:5]
	s_cbranch_execz .LBB28_5
; %bb.4:
	s_mul_i32 s8, s19, s3
	s_mul_hi_u32 s9, s18, s3
	s_add_i32 s9, s9, s8
	s_mul_i32 s8, s18, s3
	s_lshl_b64 s[8:9], s[8:9], 2
	s_add_u32 s11, s14, s8
	s_addc_u32 s12, s15, s9
	s_mul_i32 s8, s16, s10
	s_mul_hi_u32 s9, s16, s2
	s_add_i32 s8, s9, s8
	s_mul_i32 s9, s17, s2
	s_add_i32 s9, s8, s9
	s_mul_i32 s8, s16, s2
	s_lshl_b64 s[8:9], s[8:9], 2
	s_add_u32 s8, s11, s8
	s_addc_u32 s9, s12, s9
	v_mad_u64_u32 v[6:7], s[12:13], s16, v2, 0
	v_mov_b32_e32 v8, v7
	v_mad_u64_u32 v[8:9], s[12:13], s17, v2, v[8:9]
	v_mov_b32_e32 v7, v8
	v_lshl_add_u64 v[6:7], v[6:7], 2, s[8:9]
	v_mov_b32_e32 v1, 0
	v_lshl_add_u64 v[6:7], v[6:7], 0, v[0:1]
	global_load_dword v1, v[6:7], off
	v_add_u32_e32 v6, 0x1000, v4
	s_waitcnt vmcnt(0)
	ds_write_b32 v6, v1
.LBB28_5:
	s_or_b64 exec, exec, s[6:7]
	s_cmpk_eq_i32 s21, 0x84
	s_cselect_b64 s[6:7], -1, 0
	v_cmp_eq_u32_e32 vcc, v2, v5
	s_and_b64 s[8:9], vcc, s[6:7]
	s_and_saveexec_b64 s[6:7], s[8:9]
; %bb.6:
	v_mov_b32_e32 v1, 1.0
	ds_write_b32 v4, v1
; %bb.7:
	s_or_b64 exec, exec, s[6:7]
	s_cmpk_lg_i32 s20, 0x7a
	s_waitcnt lgkmcnt(0)
	s_barrier
	s_cbranch_scc0 .LBB28_9
; %bb.8:
	v_cmp_lt_u32_e32 vcc, v5, v2
	s_and_b64 s[6:7], vcc, exec
	s_cbranch_execz .LBB28_10
	s_branch .LBB28_11
.LBB28_9:
	s_mov_b64 s[6:7], 0
.LBB28_10:
	v_cmp_gt_u32_e32 vcc, v5, v2
	s_andn2_b64 s[6:7], s[6:7], exec
	s_and_b64 s[8:9], vcc, exec
	s_or_b64 s[6:7], s[6:7], s[8:9]
.LBB28_11:
	s_and_saveexec_b64 s[8:9], s[6:7]
; %bb.12:
	v_mov_b32_e32 v1, 0
	ds_write_b32 v4, v1
; %bb.13:
	s_or_b64 exec, exec, s[8:9]
	s_waitcnt lgkmcnt(0)
	s_barrier
	s_and_saveexec_b64 s[6:7], s[4:5]
	s_cbranch_execz .LBB28_15
; %bb.14:
	s_load_dwordx2 s[8:9], s[0:1], 0x60
	s_load_dwordx4 s[4:7], s[0:1], 0x50
	ds_read2_b32 v[20:21], v0 offset1:32
	v_lshlrev_b32_e32 v3, 2, v3
	ds_read_b128 v[4:7], v3 offset:4096
	ds_read_b128 v[8:11], v3 offset:4112
	ds_read_b128 v[12:15], v3 offset:4128
	ds_read_b128 v[16:19], v3 offset:4144
	ds_read2_b32 v[22:23], v0 offset0:64 offset1:96
	ds_read2_b32 v[24:25], v0 offset0:128 offset1:160
	s_waitcnt lgkmcnt(0)
	s_mul_i32 s1, s9, s3
	v_fma_f32 v20, v20, v4, 0
	v_fmac_f32_e32 v20, v21, v5
	ds_read2_b32 v[4:5], v0 offset0:192 offset1:224
	v_fmac_f32_e32 v20, v22, v6
	v_add_u32_e32 v21, 0x400, v0
	v_fmac_f32_e32 v20, v23, v7
	ds_read2_b32 v[6:7], v21 offset1:32
	v_fmac_f32_e32 v20, v24, v8
	v_fmac_f32_e32 v20, v25, v9
	ds_read2_b32 v[8:9], v21 offset0:64 offset1:96
	s_waitcnt lgkmcnt(2)
	v_fmac_f32_e32 v20, v4, v10
	v_fmac_f32_e32 v20, v5, v11
	ds_read2_b32 v[4:5], v21 offset0:128 offset1:160
	s_waitcnt lgkmcnt(2)
	v_fmac_f32_e32 v20, v6, v12
	v_fmac_f32_e32 v20, v7, v13
	s_waitcnt lgkmcnt(1)
	v_fmac_f32_e32 v20, v8, v14
	v_fmac_f32_e32 v20, v9, v15
	ds_read2_b32 v[8:9], v21 offset0:192 offset1:224
	s_waitcnt lgkmcnt(1)
	v_fmac_f32_e32 v20, v4, v16
	v_add_u32_e32 v21, 0x800, v0
	v_fmac_f32_e32 v20, v5, v17
	ds_read2_b32 v[12:13], v21 offset1:32
	ds_read_b128 v[4:7], v3 offset:4160
	s_waitcnt lgkmcnt(2)
	v_fmac_f32_e32 v20, v8, v18
	v_fmac_f32_e32 v20, v9, v19
	ds_read2_b32 v[14:15], v21 offset0:64 offset1:96
	ds_read_b128 v[8:11], v3 offset:4176
	ds_read2_b32 v[16:17], v21 offset0:128 offset1:160
	s_waitcnt lgkmcnt(3)
	v_fmac_f32_e32 v20, v12, v4
	v_fmac_f32_e32 v20, v13, v5
	ds_read2_b32 v[4:5], v21 offset0:192 offset1:224
	s_waitcnt lgkmcnt(3)
	v_fmac_f32_e32 v20, v14, v6
	v_fmac_f32_e32 v20, v15, v7
	s_waitcnt lgkmcnt(1)
	v_pk_mul_f32 v[6:7], v[16:17], v[8:9]
	v_add_u32_e32 v16, 0xc00, v0
	v_add_f32_e32 v6, v20, v6
	v_add_f32_e32 v14, v6, v7
	s_waitcnt lgkmcnt(0)
	v_pk_mul_f32 v[8:9], v[4:5], v[10:11]
	ds_read2_b32 v[12:13], v16 offset1:32
	ds_read_b128 v[4:7], v3 offset:4192
	v_add_f32_e32 v8, v14, v8
	v_add_f32_e32 v17, v8, v9
	ds_read2_b32 v[14:15], v16 offset0:64 offset1:96
	ds_read_b128 v[8:11], v3 offset:4208
	s_mul_hi_u32 s9, s8, s3
	s_waitcnt lgkmcnt(2)
	v_pk_mul_f32 v[4:5], v[12:13], v[4:5]
	ds_read2_b32 v[12:13], v16 offset0:192 offset1:224
	v_add_f32_e32 v3, v17, v4
	v_add_f32_e32 v3, v3, v5
	ds_read2_b32 v[4:5], v16 offset0:128 offset1:160
	s_waitcnt lgkmcnt(3)
	v_pk_mul_f32 v[6:7], v[14:15], v[6:7]
	s_mul_i32 s0, s8, s3
	v_add_f32_e32 v3, v3, v6
	s_add_i32 s1, s9, s1
	v_add_f32_e32 v3, v3, v7
	s_waitcnt lgkmcnt(0)
	v_pk_mul_f32 v[4:5], v[4:5], v[8:9]
	s_lshl_b64 s[0:1], s[0:1], 2
	v_add_f32_e32 v3, v3, v4
	s_mul_i32 s3, s6, s10
	s_add_u32 s4, s4, s0
	s_mul_hi_u32 s0, s6, s2
	v_add_f32_e32 v3, v3, v5
	v_pk_mul_f32 v[4:5], v[12:13], v[10:11]
	s_addc_u32 s5, s5, s1
	s_add_i32 s0, s0, s3
	s_mul_i32 s1, s7, s2
	v_add_f32_e32 v3, v3, v4
	s_add_i32 s1, s0, s1
	s_mul_i32 s0, s6, s2
	v_add_f32_e32 v3, v3, v5
	v_mad_u64_u32 v[4:5], s[2:3], s6, v2, 0
	s_lshl_b64 s[0:1], s[0:1], 2
	v_mul_f32_e32 v7, s24, v3
	v_mov_b32_e32 v6, v5
	s_add_u32 s0, s4, s0
	v_mad_u64_u32 v[2:3], s[2:3], s7, v2, v[6:7]
	s_addc_u32 s1, s5, s1
	v_mov_b32_e32 v5, v2
	v_mov_b32_e32 v1, 0
	v_lshl_add_u64 v[2:3], v[4:5], 2, s[0:1]
	v_lshl_add_u64 v[0:1], v[2:3], 0, v[0:1]
	global_store_dword v[0:1], v7, off
.LBB28_15:
	s_endpgm
	.section	.rodata,"a",@progbits
	.p2align	6, 0x0
	.amdhsa_kernel _ZL23rocblas_trmm_lTx_kernelILi32ELb1EfPKfS0_fEv13rocblas_fill_17rocblas_diagonal_iiT2_lPT3_llS6_llPT4_lli
		.amdhsa_group_segment_fixed_size 8192
		.amdhsa_private_segment_fixed_size 0
		.amdhsa_kernarg_size 108
		.amdhsa_user_sgpr_count 2
		.amdhsa_user_sgpr_dispatch_ptr 0
		.amdhsa_user_sgpr_queue_ptr 0
		.amdhsa_user_sgpr_kernarg_segment_ptr 1
		.amdhsa_user_sgpr_dispatch_id 0
		.amdhsa_user_sgpr_kernarg_preload_length 0
		.amdhsa_user_sgpr_kernarg_preload_offset 0
		.amdhsa_user_sgpr_private_segment_size 0
		.amdhsa_uses_dynamic_stack 0
		.amdhsa_enable_private_segment 0
		.amdhsa_system_sgpr_workgroup_id_x 1
		.amdhsa_system_sgpr_workgroup_id_y 0
		.amdhsa_system_sgpr_workgroup_id_z 1
		.amdhsa_system_sgpr_workgroup_info 0
		.amdhsa_system_vgpr_workitem_id 1
		.amdhsa_next_free_vgpr 26
		.amdhsa_next_free_sgpr 25
		.amdhsa_accum_offset 28
		.amdhsa_reserve_vcc 1
		.amdhsa_float_round_mode_32 0
		.amdhsa_float_round_mode_16_64 0
		.amdhsa_float_denorm_mode_32 3
		.amdhsa_float_denorm_mode_16_64 3
		.amdhsa_dx10_clamp 1
		.amdhsa_ieee_mode 1
		.amdhsa_fp16_overflow 0
		.amdhsa_tg_split 0
		.amdhsa_exception_fp_ieee_invalid_op 0
		.amdhsa_exception_fp_denorm_src 0
		.amdhsa_exception_fp_ieee_div_zero 0
		.amdhsa_exception_fp_ieee_overflow 0
		.amdhsa_exception_fp_ieee_underflow 0
		.amdhsa_exception_fp_ieee_inexact 0
		.amdhsa_exception_int_div_zero 0
	.end_amdhsa_kernel
	.section	.text._ZL23rocblas_trmm_lTx_kernelILi32ELb1EfPKfS0_fEv13rocblas_fill_17rocblas_diagonal_iiT2_lPT3_llS6_llPT4_lli,"axG",@progbits,_ZL23rocblas_trmm_lTx_kernelILi32ELb1EfPKfS0_fEv13rocblas_fill_17rocblas_diagonal_iiT2_lPT3_llS6_llPT4_lli,comdat
.Lfunc_end28:
	.size	_ZL23rocblas_trmm_lTx_kernelILi32ELb1EfPKfS0_fEv13rocblas_fill_17rocblas_diagonal_iiT2_lPT3_llS6_llPT4_lli, .Lfunc_end28-_ZL23rocblas_trmm_lTx_kernelILi32ELb1EfPKfS0_fEv13rocblas_fill_17rocblas_diagonal_iiT2_lPT3_llS6_llPT4_lli
                                        ; -- End function
	.set _ZL23rocblas_trmm_lTx_kernelILi32ELb1EfPKfS0_fEv13rocblas_fill_17rocblas_diagonal_iiT2_lPT3_llS6_llPT4_lli.num_vgpr, 26
	.set _ZL23rocblas_trmm_lTx_kernelILi32ELb1EfPKfS0_fEv13rocblas_fill_17rocblas_diagonal_iiT2_lPT3_llS6_llPT4_lli.num_agpr, 0
	.set _ZL23rocblas_trmm_lTx_kernelILi32ELb1EfPKfS0_fEv13rocblas_fill_17rocblas_diagonal_iiT2_lPT3_llS6_llPT4_lli.numbered_sgpr, 25
	.set _ZL23rocblas_trmm_lTx_kernelILi32ELb1EfPKfS0_fEv13rocblas_fill_17rocblas_diagonal_iiT2_lPT3_llS6_llPT4_lli.num_named_barrier, 0
	.set _ZL23rocblas_trmm_lTx_kernelILi32ELb1EfPKfS0_fEv13rocblas_fill_17rocblas_diagonal_iiT2_lPT3_llS6_llPT4_lli.private_seg_size, 0
	.set _ZL23rocblas_trmm_lTx_kernelILi32ELb1EfPKfS0_fEv13rocblas_fill_17rocblas_diagonal_iiT2_lPT3_llS6_llPT4_lli.uses_vcc, 1
	.set _ZL23rocblas_trmm_lTx_kernelILi32ELb1EfPKfS0_fEv13rocblas_fill_17rocblas_diagonal_iiT2_lPT3_llS6_llPT4_lli.uses_flat_scratch, 0
	.set _ZL23rocblas_trmm_lTx_kernelILi32ELb1EfPKfS0_fEv13rocblas_fill_17rocblas_diagonal_iiT2_lPT3_llS6_llPT4_lli.has_dyn_sized_stack, 0
	.set _ZL23rocblas_trmm_lTx_kernelILi32ELb1EfPKfS0_fEv13rocblas_fill_17rocblas_diagonal_iiT2_lPT3_llS6_llPT4_lli.has_recursion, 0
	.set _ZL23rocblas_trmm_lTx_kernelILi32ELb1EfPKfS0_fEv13rocblas_fill_17rocblas_diagonal_iiT2_lPT3_llS6_llPT4_lli.has_indirect_call, 0
	.section	.AMDGPU.csdata,"",@progbits
; Kernel info:
; codeLenInByte = 1180
; TotalNumSgprs: 31
; NumVgprs: 26
; NumAgprs: 0
; TotalNumVgprs: 26
; ScratchSize: 0
; MemoryBound: 0
; FloatMode: 240
; IeeeMode: 1
; LDSByteSize: 8192 bytes/workgroup (compile time only)
; SGPRBlocks: 3
; VGPRBlocks: 3
; NumSGPRsForWavesPerEU: 31
; NumVGPRsForWavesPerEU: 26
; AccumOffset: 28
; Occupancy: 8
; WaveLimiterHint : 0
; COMPUTE_PGM_RSRC2:SCRATCH_EN: 0
; COMPUTE_PGM_RSRC2:USER_SGPR: 2
; COMPUTE_PGM_RSRC2:TRAP_HANDLER: 0
; COMPUTE_PGM_RSRC2:TGID_X_EN: 1
; COMPUTE_PGM_RSRC2:TGID_Y_EN: 0
; COMPUTE_PGM_RSRC2:TGID_Z_EN: 1
; COMPUTE_PGM_RSRC2:TIDIG_COMP_CNT: 1
; COMPUTE_PGM_RSRC3_GFX90A:ACCUM_OFFSET: 6
; COMPUTE_PGM_RSRC3_GFX90A:TG_SPLIT: 0
	.section	.text._ZL23rocblas_trmm_lTx_kernelILi32ELb1EffKffEv13rocblas_fill_17rocblas_diagonal_iiT2_lPT3_llS5_llPT4_lli,"axG",@progbits,_ZL23rocblas_trmm_lTx_kernelILi32ELb1EffKffEv13rocblas_fill_17rocblas_diagonal_iiT2_lPT3_llS5_llPT4_lli,comdat
	.globl	_ZL23rocblas_trmm_lTx_kernelILi32ELb1EffKffEv13rocblas_fill_17rocblas_diagonal_iiT2_lPT3_llS5_llPT4_lli ; -- Begin function _ZL23rocblas_trmm_lTx_kernelILi32ELb1EffKffEv13rocblas_fill_17rocblas_diagonal_iiT2_lPT3_llS5_llPT4_lli
	.p2align	8
	.type	_ZL23rocblas_trmm_lTx_kernelILi32ELb1EffKffEv13rocblas_fill_17rocblas_diagonal_iiT2_lPT3_llS5_llPT4_lli,@function
_ZL23rocblas_trmm_lTx_kernelILi32ELb1EffKffEv13rocblas_fill_17rocblas_diagonal_iiT2_lPT3_llS5_llPT4_lli: ; @_ZL23rocblas_trmm_lTx_kernelILi32ELb1EffKffEv13rocblas_fill_17rocblas_diagonal_iiT2_lPT3_llS5_llPT4_lli
; %bb.0:
	s_load_dword s28, s[0:1], 0x10
	s_waitcnt lgkmcnt(0)
	v_cmp_eq_f32_e64 s[4:5], s28, 0
	s_and_b64 vcc, exec, s[4:5]
	s_cbranch_vccnz .LBB29_15
; %bb.1:
	s_load_dwordx4 s[24:27], s[0:1], 0x0
	s_load_dwordx16 s[8:23], s[0:1], 0x20
	v_and_b32_e32 v5, 0x3ff, v0
	v_bfe_u32 v2, v0, 10, 10
	v_lshlrev_b32_e32 v3, 5, v2
	s_waitcnt lgkmcnt(0)
	v_cmp_gt_i32_e64 s[4:5], s26, v2
	v_cmp_gt_i32_e32 vcc, s26, v5
	v_add_lshl_u32 v4, v3, v5, 2
	v_mov_b32_e32 v1, 0
	s_and_b64 s[6:7], s[4:5], vcc
	v_lshlrev_b32_e32 v0, 2, v5
	ds_write2st64_b32 v4, v1, v1 offset1:16
	s_waitcnt lgkmcnt(0)
	s_barrier
	s_and_saveexec_b64 s[4:5], s[6:7]
	s_cbranch_execz .LBB29_3
; %bb.2:
	s_mul_i32 s6, s13, s3
	s_mul_hi_u32 s7, s12, s3
	s_add_i32 s7, s7, s6
	s_mul_i32 s6, s12, s3
	s_lshl_b64 s[6:7], s[6:7], 2
	s_add_u32 s6, s8, s6
	s_addc_u32 s7, s9, s7
	v_mad_u64_u32 v[6:7], s[8:9], s10, v2, 0
	v_mov_b32_e32 v8, v7
	v_mad_u64_u32 v[8:9], s[8:9], s11, v2, v[8:9]
	v_mov_b32_e32 v7, v8
	v_lshl_add_u64 v[6:7], v[6:7], 2, s[6:7]
	v_lshl_add_u64 v[6:7], v[6:7], 0, v[0:1]
	global_load_dword v1, v[6:7], off
	v_lshlrev_b32_e32 v6, 2, v2
	v_lshl_add_u32 v6, v5, 7, v6
	s_waitcnt vmcnt(0)
	ds_write_b32 v6, v1
.LBB29_3:
	s_or_b64 exec, exec, s[4:5]
	s_add_i32 s4, s27, -1
	s_ashr_i32 s5, s4, 31
	s_lshr_b32 s5, s5, 27
	s_add_i32 s4, s4, s5
	s_ashr_i32 s5, s4, 5
	s_andn2_b32 s4, s4, 31
	s_sub_i32 s4, s27, s4
	s_cmp_ge_i32 s2, s5
	s_cselect_b32 s4, s4, 32
	s_lshl_b32 s2, s2, 5
	v_cmp_gt_i32_e64 s[4:5], s4, v2
	s_ashr_i32 s10, s2, 31
	s_and_b64 s[4:5], vcc, s[4:5]
	s_and_saveexec_b64 s[6:7], s[4:5]
	s_cbranch_execz .LBB29_5
; %bb.4:
	s_mul_i32 s8, s19, s3
	s_mul_hi_u32 s9, s18, s3
	s_add_i32 s9, s9, s8
	s_mul_i32 s8, s18, s3
	s_lshl_b64 s[8:9], s[8:9], 2
	s_add_u32 s11, s14, s8
	s_addc_u32 s12, s15, s9
	s_mul_i32 s8, s16, s10
	s_mul_hi_u32 s9, s16, s2
	s_add_i32 s8, s9, s8
	s_mul_i32 s9, s17, s2
	s_add_i32 s9, s8, s9
	s_mul_i32 s8, s16, s2
	s_lshl_b64 s[8:9], s[8:9], 2
	s_add_u32 s8, s11, s8
	s_addc_u32 s9, s12, s9
	v_mad_u64_u32 v[6:7], s[12:13], s16, v2, 0
	v_mov_b32_e32 v8, v7
	v_mad_u64_u32 v[8:9], s[12:13], s17, v2, v[8:9]
	v_mov_b32_e32 v7, v8
	v_lshl_add_u64 v[6:7], v[6:7], 2, s[8:9]
	v_mov_b32_e32 v1, 0
	v_lshl_add_u64 v[6:7], v[6:7], 0, v[0:1]
	global_load_dword v1, v[6:7], off
	v_add_u32_e32 v6, 0x1000, v4
	s_waitcnt vmcnt(0)
	ds_write_b32 v6, v1
.LBB29_5:
	s_or_b64 exec, exec, s[6:7]
	s_cmpk_eq_i32 s25, 0x84
	s_cselect_b64 s[6:7], -1, 0
	v_cmp_eq_u32_e32 vcc, v2, v5
	s_and_b64 s[8:9], vcc, s[6:7]
	s_and_saveexec_b64 s[6:7], s[8:9]
; %bb.6:
	v_mov_b32_e32 v1, 1.0
	ds_write_b32 v4, v1
; %bb.7:
	s_or_b64 exec, exec, s[6:7]
	s_cmpk_lg_i32 s24, 0x7a
	s_waitcnt lgkmcnt(0)
	s_barrier
	s_cbranch_scc0 .LBB29_9
; %bb.8:
	v_cmp_lt_u32_e32 vcc, v5, v2
	s_and_b64 s[6:7], vcc, exec
	s_cbranch_execz .LBB29_10
	s_branch .LBB29_11
.LBB29_9:
	s_mov_b64 s[6:7], 0
.LBB29_10:
	v_cmp_gt_u32_e32 vcc, v5, v2
	s_andn2_b64 s[6:7], s[6:7], exec
	s_and_b64 s[8:9], vcc, exec
	s_or_b64 s[6:7], s[6:7], s[8:9]
.LBB29_11:
	s_and_saveexec_b64 s[8:9], s[6:7]
; %bb.12:
	v_mov_b32_e32 v1, 0
	ds_write_b32 v4, v1
; %bb.13:
	s_or_b64 exec, exec, s[8:9]
	s_waitcnt lgkmcnt(0)
	s_barrier
	s_and_saveexec_b64 s[6:7], s[4:5]
	s_cbranch_execz .LBB29_15
; %bb.14:
	ds_read2_b32 v[20:21], v0 offset1:32
	v_lshlrev_b32_e32 v3, 2, v3
	ds_read_b128 v[4:7], v3 offset:4096
	ds_read_b128 v[8:11], v3 offset:4112
	;; [unrolled: 1-line block ×4, first 2 shown]
	ds_read2_b32 v[22:23], v0 offset0:64 offset1:96
	ds_read2_b32 v[24:25], v0 offset0:128 offset1:160
	s_load_dwordx2 s[0:1], s[0:1], 0x60
	s_waitcnt lgkmcnt(0)
	v_fma_f32 v20, v20, v4, 0
	v_fmac_f32_e32 v20, v21, v5
	ds_read2_b32 v[4:5], v0 offset0:192 offset1:224
	v_fmac_f32_e32 v20, v22, v6
	v_add_u32_e32 v21, 0x400, v0
	v_fmac_f32_e32 v20, v23, v7
	ds_read2_b32 v[6:7], v21 offset1:32
	v_fmac_f32_e32 v20, v24, v8
	v_fmac_f32_e32 v20, v25, v9
	ds_read2_b32 v[8:9], v21 offset0:64 offset1:96
	s_waitcnt lgkmcnt(2)
	v_fmac_f32_e32 v20, v4, v10
	v_fmac_f32_e32 v20, v5, v11
	ds_read2_b32 v[4:5], v21 offset0:128 offset1:160
	s_waitcnt lgkmcnt(2)
	v_fmac_f32_e32 v20, v6, v12
	v_fmac_f32_e32 v20, v7, v13
	s_waitcnt lgkmcnt(1)
	v_fmac_f32_e32 v20, v8, v14
	v_fmac_f32_e32 v20, v9, v15
	ds_read2_b32 v[8:9], v21 offset0:192 offset1:224
	s_waitcnt lgkmcnt(1)
	v_fmac_f32_e32 v20, v4, v16
	v_add_u32_e32 v21, 0x800, v0
	v_fmac_f32_e32 v20, v5, v17
	ds_read2_b32 v[12:13], v21 offset1:32
	ds_read_b128 v[4:7], v3 offset:4160
	s_waitcnt lgkmcnt(2)
	v_fmac_f32_e32 v20, v8, v18
	v_fmac_f32_e32 v20, v9, v19
	ds_read2_b32 v[14:15], v21 offset0:64 offset1:96
	ds_read_b128 v[8:11], v3 offset:4176
	ds_read2_b32 v[16:17], v21 offset0:128 offset1:160
	s_waitcnt lgkmcnt(3)
	v_fmac_f32_e32 v20, v12, v4
	v_fmac_f32_e32 v20, v13, v5
	ds_read2_b32 v[4:5], v21 offset0:192 offset1:224
	s_waitcnt lgkmcnt(3)
	v_fmac_f32_e32 v20, v14, v6
	v_fmac_f32_e32 v20, v15, v7
	s_waitcnt lgkmcnt(1)
	v_pk_mul_f32 v[6:7], v[16:17], v[8:9]
	v_add_u32_e32 v16, 0xc00, v0
	v_add_f32_e32 v6, v20, v6
	v_add_f32_e32 v14, v6, v7
	s_waitcnt lgkmcnt(0)
	v_pk_mul_f32 v[8:9], v[4:5], v[10:11]
	ds_read2_b32 v[12:13], v16 offset1:32
	ds_read_b128 v[4:7], v3 offset:4192
	v_add_f32_e32 v8, v14, v8
	v_add_f32_e32 v17, v8, v9
	ds_read2_b32 v[14:15], v16 offset0:64 offset1:96
	ds_read_b128 v[8:11], v3 offset:4208
	s_mul_i32 s1, s1, s3
	s_waitcnt lgkmcnt(2)
	v_pk_mul_f32 v[4:5], v[12:13], v[4:5]
	s_mul_hi_u32 s6, s0, s3
	v_add_f32_e32 v3, v17, v4
	v_add_f32_e32 v3, v3, v5
	ds_read2_b32 v[4:5], v16 offset0:128 offset1:160
	ds_read2_b32 v[12:13], v16 offset0:192 offset1:224
	s_mul_i32 s0, s0, s3
	s_add_i32 s1, s6, s1
	s_waitcnt lgkmcnt(3)
	v_pk_mul_f32 v[6:7], v[14:15], v[6:7]
	s_lshl_b64 s[0:1], s[0:1], 2
	v_add_f32_e32 v3, v3, v6
	s_mul_i32 s4, s22, s10
	s_mul_hi_u32 s5, s22, s2
	s_add_u32 s3, s20, s0
	v_add_f32_e32 v3, v3, v7
	s_waitcnt lgkmcnt(1)
	v_pk_mul_f32 v[4:5], v[4:5], v[8:9]
	s_addc_u32 s6, s21, s1
	s_add_i32 s0, s5, s4
	s_mul_i32 s1, s23, s2
	v_add_f32_e32 v3, v3, v4
	s_add_i32 s1, s0, s1
	s_mul_i32 s0, s22, s2
	v_add_f32_e32 v3, v3, v5
	s_waitcnt lgkmcnt(0)
	v_pk_mul_f32 v[4:5], v[12:13], v[10:11]
	s_lshl_b64 s[0:1], s[0:1], 2
	v_add_f32_e32 v3, v3, v4
	s_add_u32 s0, s3, s0
	v_add_f32_e32 v3, v3, v5
	v_mad_u64_u32 v[4:5], s[2:3], s22, v2, 0
	v_mul_f32_e32 v7, s28, v3
	v_mov_b32_e32 v6, v5
	v_mad_u64_u32 v[2:3], s[2:3], s23, v2, v[6:7]
	s_addc_u32 s1, s6, s1
	v_mov_b32_e32 v5, v2
	v_mov_b32_e32 v1, 0
	v_lshl_add_u64 v[2:3], v[4:5], 2, s[0:1]
	v_lshl_add_u64 v[0:1], v[2:3], 0, v[0:1]
	global_store_dword v[0:1], v7, off
.LBB29_15:
	s_endpgm
	.section	.rodata,"a",@progbits
	.p2align	6, 0x0
	.amdhsa_kernel _ZL23rocblas_trmm_lTx_kernelILi32ELb1EffKffEv13rocblas_fill_17rocblas_diagonal_iiT2_lPT3_llS5_llPT4_lli
		.amdhsa_group_segment_fixed_size 8192
		.amdhsa_private_segment_fixed_size 0
		.amdhsa_kernarg_size 108
		.amdhsa_user_sgpr_count 2
		.amdhsa_user_sgpr_dispatch_ptr 0
		.amdhsa_user_sgpr_queue_ptr 0
		.amdhsa_user_sgpr_kernarg_segment_ptr 1
		.amdhsa_user_sgpr_dispatch_id 0
		.amdhsa_user_sgpr_kernarg_preload_length 0
		.amdhsa_user_sgpr_kernarg_preload_offset 0
		.amdhsa_user_sgpr_private_segment_size 0
		.amdhsa_uses_dynamic_stack 0
		.amdhsa_enable_private_segment 0
		.amdhsa_system_sgpr_workgroup_id_x 1
		.amdhsa_system_sgpr_workgroup_id_y 0
		.amdhsa_system_sgpr_workgroup_id_z 1
		.amdhsa_system_sgpr_workgroup_info 0
		.amdhsa_system_vgpr_workitem_id 1
		.amdhsa_next_free_vgpr 26
		.amdhsa_next_free_sgpr 29
		.amdhsa_accum_offset 28
		.amdhsa_reserve_vcc 1
		.amdhsa_float_round_mode_32 0
		.amdhsa_float_round_mode_16_64 0
		.amdhsa_float_denorm_mode_32 3
		.amdhsa_float_denorm_mode_16_64 3
		.amdhsa_dx10_clamp 1
		.amdhsa_ieee_mode 1
		.amdhsa_fp16_overflow 0
		.amdhsa_tg_split 0
		.amdhsa_exception_fp_ieee_invalid_op 0
		.amdhsa_exception_fp_denorm_src 0
		.amdhsa_exception_fp_ieee_div_zero 0
		.amdhsa_exception_fp_ieee_overflow 0
		.amdhsa_exception_fp_ieee_underflow 0
		.amdhsa_exception_fp_ieee_inexact 0
		.amdhsa_exception_int_div_zero 0
	.end_amdhsa_kernel
	.section	.text._ZL23rocblas_trmm_lTx_kernelILi32ELb1EffKffEv13rocblas_fill_17rocblas_diagonal_iiT2_lPT3_llS5_llPT4_lli,"axG",@progbits,_ZL23rocblas_trmm_lTx_kernelILi32ELb1EffKffEv13rocblas_fill_17rocblas_diagonal_iiT2_lPT3_llS5_llPT4_lli,comdat
.Lfunc_end29:
	.size	_ZL23rocblas_trmm_lTx_kernelILi32ELb1EffKffEv13rocblas_fill_17rocblas_diagonal_iiT2_lPT3_llS5_llPT4_lli, .Lfunc_end29-_ZL23rocblas_trmm_lTx_kernelILi32ELb1EffKffEv13rocblas_fill_17rocblas_diagonal_iiT2_lPT3_llS5_llPT4_lli
                                        ; -- End function
	.set _ZL23rocblas_trmm_lTx_kernelILi32ELb1EffKffEv13rocblas_fill_17rocblas_diagonal_iiT2_lPT3_llS5_llPT4_lli.num_vgpr, 26
	.set _ZL23rocblas_trmm_lTx_kernelILi32ELb1EffKffEv13rocblas_fill_17rocblas_diagonal_iiT2_lPT3_llS5_llPT4_lli.num_agpr, 0
	.set _ZL23rocblas_trmm_lTx_kernelILi32ELb1EffKffEv13rocblas_fill_17rocblas_diagonal_iiT2_lPT3_llS5_llPT4_lli.numbered_sgpr, 29
	.set _ZL23rocblas_trmm_lTx_kernelILi32ELb1EffKffEv13rocblas_fill_17rocblas_diagonal_iiT2_lPT3_llS5_llPT4_lli.num_named_barrier, 0
	.set _ZL23rocblas_trmm_lTx_kernelILi32ELb1EffKffEv13rocblas_fill_17rocblas_diagonal_iiT2_lPT3_llS5_llPT4_lli.private_seg_size, 0
	.set _ZL23rocblas_trmm_lTx_kernelILi32ELb1EffKffEv13rocblas_fill_17rocblas_diagonal_iiT2_lPT3_llS5_llPT4_lli.uses_vcc, 1
	.set _ZL23rocblas_trmm_lTx_kernelILi32ELb1EffKffEv13rocblas_fill_17rocblas_diagonal_iiT2_lPT3_llS5_llPT4_lli.uses_flat_scratch, 0
	.set _ZL23rocblas_trmm_lTx_kernelILi32ELb1EffKffEv13rocblas_fill_17rocblas_diagonal_iiT2_lPT3_llS5_llPT4_lli.has_dyn_sized_stack, 0
	.set _ZL23rocblas_trmm_lTx_kernelILi32ELb1EffKffEv13rocblas_fill_17rocblas_diagonal_iiT2_lPT3_llS5_llPT4_lli.has_recursion, 0
	.set _ZL23rocblas_trmm_lTx_kernelILi32ELb1EffKffEv13rocblas_fill_17rocblas_diagonal_iiT2_lPT3_llS5_llPT4_lli.has_indirect_call, 0
	.section	.AMDGPU.csdata,"",@progbits
; Kernel info:
; codeLenInByte = 1144
; TotalNumSgprs: 35
; NumVgprs: 26
; NumAgprs: 0
; TotalNumVgprs: 26
; ScratchSize: 0
; MemoryBound: 0
; FloatMode: 240
; IeeeMode: 1
; LDSByteSize: 8192 bytes/workgroup (compile time only)
; SGPRBlocks: 4
; VGPRBlocks: 3
; NumSGPRsForWavesPerEU: 35
; NumVGPRsForWavesPerEU: 26
; AccumOffset: 28
; Occupancy: 8
; WaveLimiterHint : 0
; COMPUTE_PGM_RSRC2:SCRATCH_EN: 0
; COMPUTE_PGM_RSRC2:USER_SGPR: 2
; COMPUTE_PGM_RSRC2:TRAP_HANDLER: 0
; COMPUTE_PGM_RSRC2:TGID_X_EN: 1
; COMPUTE_PGM_RSRC2:TGID_Y_EN: 0
; COMPUTE_PGM_RSRC2:TGID_Z_EN: 1
; COMPUTE_PGM_RSRC2:TIDIG_COMP_CNT: 1
; COMPUTE_PGM_RSRC3_GFX90A:ACCUM_OFFSET: 6
; COMPUTE_PGM_RSRC3_GFX90A:TG_SPLIT: 0
	.section	.text._ZL23rocblas_trmm_rNx_kernelILi32EfPKfS0_fEv13rocblas_fill_17rocblas_diagonal_iiT1_lPT2_llS6_llPT3_lli,"axG",@progbits,_ZL23rocblas_trmm_rNx_kernelILi32EfPKfS0_fEv13rocblas_fill_17rocblas_diagonal_iiT1_lPT2_llS6_llPT3_lli,comdat
	.globl	_ZL23rocblas_trmm_rNx_kernelILi32EfPKfS0_fEv13rocblas_fill_17rocblas_diagonal_iiT1_lPT2_llS6_llPT3_lli ; -- Begin function _ZL23rocblas_trmm_rNx_kernelILi32EfPKfS0_fEv13rocblas_fill_17rocblas_diagonal_iiT1_lPT2_llS6_llPT3_lli
	.p2align	8
	.type	_ZL23rocblas_trmm_rNx_kernelILi32EfPKfS0_fEv13rocblas_fill_17rocblas_diagonal_iiT1_lPT2_llS6_llPT3_lli,@function
_ZL23rocblas_trmm_rNx_kernelILi32EfPKfS0_fEv13rocblas_fill_17rocblas_diagonal_iiT1_lPT2_llS6_llPT3_lli: ; @_ZL23rocblas_trmm_rNx_kernelILi32EfPKfS0_fEv13rocblas_fill_17rocblas_diagonal_iiT1_lPT2_llS6_llPT3_lli
; %bb.0:
	s_load_dwordx16 s[4:19], s[0:1], 0x10
	s_waitcnt lgkmcnt(0)
	s_mul_i32 s7, s7, s3
	s_mul_hi_u32 s20, s6, s3
	s_add_i32 s7, s20, s7
	s_mul_i32 s6, s6, s3
	s_lshl_b64 s[6:7], s[6:7], 2
	s_add_u32 s4, s4, s6
	s_addc_u32 s5, s5, s7
	s_load_dword s24, s[4:5], 0x0
	s_waitcnt lgkmcnt(0)
	v_cmp_eq_f32_e64 s[4:5], s24, 0
	s_and_b64 vcc, exec, s[4:5]
	s_cbranch_vccnz .LBB30_15
; %bb.1:
	s_load_dwordx4 s[20:23], s[0:1], 0x0
	v_and_b32_e32 v5, 0x3ff, v0
	v_bfe_u32 v2, v0, 10, 10
	v_lshlrev_b32_e32 v3, 5, v2
	v_add_lshl_u32 v4, v3, v5, 2
	s_waitcnt lgkmcnt(0)
	v_cmp_gt_i32_e32 vcc, s23, v2
	v_cmp_gt_i32_e64 s[4:5], s23, v5
	v_mov_b32_e32 v1, 0
	s_and_b64 s[6:7], vcc, s[4:5]
	v_lshlrev_b32_e32 v0, 2, v5
	ds_write2st64_b32 v4, v1, v1 offset1:16
	s_and_saveexec_b64 s[4:5], s[6:7]
	s_cbranch_execz .LBB30_3
; %bb.2:
	s_mul_i32 s6, s13, s3
	s_mul_hi_u32 s7, s12, s3
	s_add_i32 s7, s7, s6
	s_mul_i32 s6, s12, s3
	s_lshl_b64 s[6:7], s[6:7], 2
	s_add_u32 s6, s8, s6
	s_addc_u32 s7, s9, s7
	v_mad_u64_u32 v[6:7], s[8:9], s10, v2, 0
	v_mov_b32_e32 v8, v7
	v_mad_u64_u32 v[8:9], s[8:9], s11, v2, v[8:9]
	v_mov_b32_e32 v7, v8
	v_lshl_add_u64 v[6:7], v[6:7], 2, s[6:7]
	v_lshl_add_u64 v[6:7], v[6:7], 0, v[0:1]
	global_load_dword v1, v[6:7], off
	s_waitcnt vmcnt(0)
	ds_write_b32 v4, v1
.LBB30_3:
	s_or_b64 exec, exec, s[4:5]
	s_add_i32 s4, s22, -1
	s_ashr_i32 s5, s4, 31
	s_lshr_b32 s5, s5, 27
	s_add_i32 s4, s4, s5
	s_ashr_i32 s5, s4, 5
	s_andn2_b32 s4, s4, 31
	s_sub_i32 s4, s22, s4
	s_cmp_ge_i32 s2, s5
	s_cselect_b32 s4, s4, 32
	s_lshl_b32 s8, s2, 5
	v_cmp_gt_i32_e64 s[4:5], s4, v5
	s_ashr_i32 s9, s8, 31
	s_and_b64 s[4:5], vcc, s[4:5]
	s_and_saveexec_b64 s[6:7], s[4:5]
	s_cbranch_execz .LBB30_5
; %bb.4:
	s_mul_i32 s2, s19, s3
	s_mul_hi_u32 s10, s18, s3
	s_add_i32 s11, s10, s2
	s_mul_i32 s10, s18, s3
	s_lshl_b64 s[10:11], s[10:11], 2
	s_add_u32 s2, s14, s10
	s_addc_u32 s12, s15, s11
	s_lshl_b64 s[10:11], s[8:9], 2
	s_add_u32 s10, s2, s10
	s_addc_u32 s11, s12, s11
	v_mad_u64_u32 v[6:7], s[12:13], s16, v2, 0
	v_mov_b32_e32 v8, v7
	v_mad_u64_u32 v[8:9], s[12:13], s17, v2, v[8:9]
	v_mov_b32_e32 v7, v8
	v_lshl_add_u64 v[6:7], v[6:7], 2, s[10:11]
	v_mov_b32_e32 v1, 0
	v_lshl_add_u64 v[6:7], v[6:7], 0, v[0:1]
	global_load_dword v1, v[6:7], off
	v_add_u32_e32 v6, 0x1000, v4
	s_waitcnt vmcnt(0)
	ds_write_b32 v6, v1
.LBB30_5:
	s_or_b64 exec, exec, s[6:7]
	s_cmpk_eq_i32 s21, 0x84
	s_cselect_b64 s[6:7], -1, 0
	v_cmp_eq_u32_e32 vcc, v2, v5
	s_and_b64 s[10:11], vcc, s[6:7]
	s_and_saveexec_b64 s[6:7], s[10:11]
; %bb.6:
	v_mov_b32_e32 v1, 1.0
	ds_write_b32 v4, v1
; %bb.7:
	s_or_b64 exec, exec, s[6:7]
	s_cmpk_lg_i32 s20, 0x79
	s_cbranch_scc0 .LBB30_9
; %bb.8:
	v_cmp_lt_u32_e32 vcc, v5, v2
	s_and_b64 s[6:7], vcc, exec
	s_cbranch_execz .LBB30_10
	s_branch .LBB30_11
.LBB30_9:
	s_mov_b64 s[6:7], 0
.LBB30_10:
	v_cmp_gt_u32_e32 vcc, v5, v2
	s_andn2_b64 s[6:7], s[6:7], exec
	s_and_b64 s[10:11], vcc, exec
	s_or_b64 s[6:7], s[6:7], s[10:11]
.LBB30_11:
	s_and_saveexec_b64 s[10:11], s[6:7]
; %bb.12:
	v_mov_b32_e32 v1, 0
	ds_write_b32 v4, v1
; %bb.13:
	s_or_b64 exec, exec, s[10:11]
	s_waitcnt lgkmcnt(0)
	s_barrier
	s_and_saveexec_b64 s[6:7], s[4:5]
	s_cbranch_execz .LBB30_15
; %bb.14:
	v_add_u32_e32 v26, 0x1000, v0
	s_load_dwordx2 s[10:11], s[0:1], 0x60
	s_load_dwordx4 s[4:7], s[0:1], 0x50
	ds_read2_b32 v[20:21], v26 offset1:32
	v_lshlrev_b32_e32 v3, 2, v3
	ds_read_b128 v[4:7], v3
	ds_read_b128 v[8:11], v3 offset:16
	ds_read_b128 v[12:15], v3 offset:32
	;; [unrolled: 1-line block ×3, first 2 shown]
	ds_read2_b32 v[22:23], v26 offset0:64 offset1:96
	ds_read2_b32 v[24:25], v26 offset0:128 offset1:160
	s_waitcnt lgkmcnt(0)
	s_mul_i32 s1, s11, s3
	v_fma_f32 v20, v20, v4, 0
	v_fmac_f32_e32 v20, v21, v5
	ds_read2_b32 v[4:5], v26 offset0:192 offset1:224
	v_fmac_f32_e32 v20, v22, v6
	v_add_u32_e32 v21, 0x1400, v0
	v_fmac_f32_e32 v20, v23, v7
	ds_read2_b32 v[6:7], v21 offset1:32
	v_fmac_f32_e32 v20, v24, v8
	v_fmac_f32_e32 v20, v25, v9
	ds_read2_b32 v[8:9], v21 offset0:64 offset1:96
	s_waitcnt lgkmcnt(2)
	v_fmac_f32_e32 v20, v4, v10
	v_fmac_f32_e32 v20, v5, v11
	ds_read2_b32 v[4:5], v21 offset0:128 offset1:160
	s_waitcnt lgkmcnt(2)
	v_fmac_f32_e32 v20, v6, v12
	v_fmac_f32_e32 v20, v7, v13
	s_waitcnt lgkmcnt(1)
	v_fmac_f32_e32 v20, v8, v14
	v_fmac_f32_e32 v20, v9, v15
	ds_read2_b32 v[8:9], v21 offset0:192 offset1:224
	s_waitcnt lgkmcnt(1)
	v_fmac_f32_e32 v20, v4, v16
	v_add_u32_e32 v21, 0x1800, v0
	v_fmac_f32_e32 v20, v5, v17
	ds_read2_b32 v[12:13], v21 offset1:32
	ds_read_b128 v[4:7], v3 offset:64
	s_waitcnt lgkmcnt(2)
	v_fmac_f32_e32 v20, v8, v18
	v_fmac_f32_e32 v20, v9, v19
	ds_read2_b32 v[14:15], v21 offset0:64 offset1:96
	ds_read_b128 v[8:11], v3 offset:80
	ds_read2_b32 v[16:17], v21 offset0:128 offset1:160
	s_waitcnt lgkmcnt(3)
	v_fmac_f32_e32 v20, v12, v4
	v_fmac_f32_e32 v20, v13, v5
	ds_read2_b32 v[4:5], v21 offset0:192 offset1:224
	s_waitcnt lgkmcnt(3)
	v_fmac_f32_e32 v20, v14, v6
	v_fmac_f32_e32 v20, v15, v7
	s_waitcnt lgkmcnt(1)
	v_pk_mul_f32 v[6:7], v[16:17], v[8:9]
	v_add_u32_e32 v16, 0x1c00, v0
	v_add_f32_e32 v6, v20, v6
	v_add_f32_e32 v14, v6, v7
	s_waitcnt lgkmcnt(0)
	v_pk_mul_f32 v[8:9], v[4:5], v[10:11]
	ds_read2_b32 v[12:13], v16 offset1:32
	ds_read_b128 v[4:7], v3 offset:96
	v_add_f32_e32 v8, v14, v8
	v_add_f32_e32 v17, v8, v9
	ds_read2_b32 v[14:15], v16 offset0:64 offset1:96
	ds_read_b128 v[8:11], v3 offset:112
	s_mul_hi_u32 s2, s10, s3
	s_waitcnt lgkmcnt(2)
	v_pk_mul_f32 v[4:5], v[12:13], v[4:5]
	ds_read2_b32 v[12:13], v16 offset0:192 offset1:224
	v_add_f32_e32 v3, v17, v4
	v_add_f32_e32 v3, v3, v5
	ds_read2_b32 v[4:5], v16 offset0:128 offset1:160
	s_waitcnt lgkmcnt(3)
	v_pk_mul_f32 v[6:7], v[14:15], v[6:7]
	s_mul_i32 s0, s10, s3
	s_add_i32 s1, s2, s1
	v_add_f32_e32 v3, v3, v6
	s_lshl_b64 s[0:1], s[0:1], 2
	v_add_f32_e32 v3, v3, v7
	s_waitcnt lgkmcnt(0)
	v_pk_mul_f32 v[4:5], v[4:5], v[8:9]
	s_add_u32 s2, s4, s0
	v_add_f32_e32 v3, v3, v4
	s_addc_u32 s3, s5, s1
	s_lshl_b64 s[0:1], s[8:9], 2
	v_add_f32_e32 v3, v3, v5
	v_pk_mul_f32 v[4:5], v[12:13], v[10:11]
	s_add_u32 s0, s2, s0
	v_add_f32_e32 v3, v3, v4
	s_addc_u32 s1, s3, s1
	v_add_f32_e32 v3, v3, v5
	v_mad_u64_u32 v[4:5], s[2:3], s6, v2, 0
	v_mul_f32_e32 v7, s24, v3
	v_mov_b32_e32 v6, v5
	v_mad_u64_u32 v[2:3], s[2:3], s7, v2, v[6:7]
	v_mov_b32_e32 v5, v2
	v_mov_b32_e32 v1, 0
	v_lshl_add_u64 v[2:3], v[4:5], 2, s[0:1]
	v_lshl_add_u64 v[0:1], v[2:3], 0, v[0:1]
	global_store_dword v[0:1], v7, off
.LBB30_15:
	s_endpgm
	.section	.rodata,"a",@progbits
	.p2align	6, 0x0
	.amdhsa_kernel _ZL23rocblas_trmm_rNx_kernelILi32EfPKfS0_fEv13rocblas_fill_17rocblas_diagonal_iiT1_lPT2_llS6_llPT3_lli
		.amdhsa_group_segment_fixed_size 8192
		.amdhsa_private_segment_fixed_size 0
		.amdhsa_kernarg_size 108
		.amdhsa_user_sgpr_count 2
		.amdhsa_user_sgpr_dispatch_ptr 0
		.amdhsa_user_sgpr_queue_ptr 0
		.amdhsa_user_sgpr_kernarg_segment_ptr 1
		.amdhsa_user_sgpr_dispatch_id 0
		.amdhsa_user_sgpr_kernarg_preload_length 0
		.amdhsa_user_sgpr_kernarg_preload_offset 0
		.amdhsa_user_sgpr_private_segment_size 0
		.amdhsa_uses_dynamic_stack 0
		.amdhsa_enable_private_segment 0
		.amdhsa_system_sgpr_workgroup_id_x 1
		.amdhsa_system_sgpr_workgroup_id_y 0
		.amdhsa_system_sgpr_workgroup_id_z 1
		.amdhsa_system_sgpr_workgroup_info 0
		.amdhsa_system_vgpr_workitem_id 1
		.amdhsa_next_free_vgpr 27
		.amdhsa_next_free_sgpr 25
		.amdhsa_accum_offset 28
		.amdhsa_reserve_vcc 1
		.amdhsa_float_round_mode_32 0
		.amdhsa_float_round_mode_16_64 0
		.amdhsa_float_denorm_mode_32 3
		.amdhsa_float_denorm_mode_16_64 3
		.amdhsa_dx10_clamp 1
		.amdhsa_ieee_mode 1
		.amdhsa_fp16_overflow 0
		.amdhsa_tg_split 0
		.amdhsa_exception_fp_ieee_invalid_op 0
		.amdhsa_exception_fp_denorm_src 0
		.amdhsa_exception_fp_ieee_div_zero 0
		.amdhsa_exception_fp_ieee_overflow 0
		.amdhsa_exception_fp_ieee_underflow 0
		.amdhsa_exception_fp_ieee_inexact 0
		.amdhsa_exception_int_div_zero 0
	.end_amdhsa_kernel
	.section	.text._ZL23rocblas_trmm_rNx_kernelILi32EfPKfS0_fEv13rocblas_fill_17rocblas_diagonal_iiT1_lPT2_llS6_llPT3_lli,"axG",@progbits,_ZL23rocblas_trmm_rNx_kernelILi32EfPKfS0_fEv13rocblas_fill_17rocblas_diagonal_iiT1_lPT2_llS6_llPT3_lli,comdat
.Lfunc_end30:
	.size	_ZL23rocblas_trmm_rNx_kernelILi32EfPKfS0_fEv13rocblas_fill_17rocblas_diagonal_iiT1_lPT2_llS6_llPT3_lli, .Lfunc_end30-_ZL23rocblas_trmm_rNx_kernelILi32EfPKfS0_fEv13rocblas_fill_17rocblas_diagonal_iiT1_lPT2_llS6_llPT3_lli
                                        ; -- End function
	.set _ZL23rocblas_trmm_rNx_kernelILi32EfPKfS0_fEv13rocblas_fill_17rocblas_diagonal_iiT1_lPT2_llS6_llPT3_lli.num_vgpr, 27
	.set _ZL23rocblas_trmm_rNx_kernelILi32EfPKfS0_fEv13rocblas_fill_17rocblas_diagonal_iiT1_lPT2_llS6_llPT3_lli.num_agpr, 0
	.set _ZL23rocblas_trmm_rNx_kernelILi32EfPKfS0_fEv13rocblas_fill_17rocblas_diagonal_iiT1_lPT2_llS6_llPT3_lli.numbered_sgpr, 25
	.set _ZL23rocblas_trmm_rNx_kernelILi32EfPKfS0_fEv13rocblas_fill_17rocblas_diagonal_iiT1_lPT2_llS6_llPT3_lli.num_named_barrier, 0
	.set _ZL23rocblas_trmm_rNx_kernelILi32EfPKfS0_fEv13rocblas_fill_17rocblas_diagonal_iiT1_lPT2_llS6_llPT3_lli.private_seg_size, 0
	.set _ZL23rocblas_trmm_rNx_kernelILi32EfPKfS0_fEv13rocblas_fill_17rocblas_diagonal_iiT1_lPT2_llS6_llPT3_lli.uses_vcc, 1
	.set _ZL23rocblas_trmm_rNx_kernelILi32EfPKfS0_fEv13rocblas_fill_17rocblas_diagonal_iiT1_lPT2_llS6_llPT3_lli.uses_flat_scratch, 0
	.set _ZL23rocblas_trmm_rNx_kernelILi32EfPKfS0_fEv13rocblas_fill_17rocblas_diagonal_iiT1_lPT2_llS6_llPT3_lli.has_dyn_sized_stack, 0
	.set _ZL23rocblas_trmm_rNx_kernelILi32EfPKfS0_fEv13rocblas_fill_17rocblas_diagonal_iiT1_lPT2_llS6_llPT3_lli.has_recursion, 0
	.set _ZL23rocblas_trmm_rNx_kernelILi32EfPKfS0_fEv13rocblas_fill_17rocblas_diagonal_iiT1_lPT2_llS6_llPT3_lli.has_indirect_call, 0
	.section	.AMDGPU.csdata,"",@progbits
; Kernel info:
; codeLenInByte = 1112
; TotalNumSgprs: 31
; NumVgprs: 27
; NumAgprs: 0
; TotalNumVgprs: 27
; ScratchSize: 0
; MemoryBound: 0
; FloatMode: 240
; IeeeMode: 1
; LDSByteSize: 8192 bytes/workgroup (compile time only)
; SGPRBlocks: 3
; VGPRBlocks: 3
; NumSGPRsForWavesPerEU: 31
; NumVGPRsForWavesPerEU: 27
; AccumOffset: 28
; Occupancy: 8
; WaveLimiterHint : 0
; COMPUTE_PGM_RSRC2:SCRATCH_EN: 0
; COMPUTE_PGM_RSRC2:USER_SGPR: 2
; COMPUTE_PGM_RSRC2:TRAP_HANDLER: 0
; COMPUTE_PGM_RSRC2:TGID_X_EN: 1
; COMPUTE_PGM_RSRC2:TGID_Y_EN: 0
; COMPUTE_PGM_RSRC2:TGID_Z_EN: 1
; COMPUTE_PGM_RSRC2:TIDIG_COMP_CNT: 1
; COMPUTE_PGM_RSRC3_GFX90A:ACCUM_OFFSET: 6
; COMPUTE_PGM_RSRC3_GFX90A:TG_SPLIT: 0
	.section	.text._ZL23rocblas_trmm_rNx_kernelILi32EffKffEv13rocblas_fill_17rocblas_diagonal_iiT1_lPT2_llS5_llPT3_lli,"axG",@progbits,_ZL23rocblas_trmm_rNx_kernelILi32EffKffEv13rocblas_fill_17rocblas_diagonal_iiT1_lPT2_llS5_llPT3_lli,comdat
	.globl	_ZL23rocblas_trmm_rNx_kernelILi32EffKffEv13rocblas_fill_17rocblas_diagonal_iiT1_lPT2_llS5_llPT3_lli ; -- Begin function _ZL23rocblas_trmm_rNx_kernelILi32EffKffEv13rocblas_fill_17rocblas_diagonal_iiT1_lPT2_llS5_llPT3_lli
	.p2align	8
	.type	_ZL23rocblas_trmm_rNx_kernelILi32EffKffEv13rocblas_fill_17rocblas_diagonal_iiT1_lPT2_llS5_llPT3_lli,@function
_ZL23rocblas_trmm_rNx_kernelILi32EffKffEv13rocblas_fill_17rocblas_diagonal_iiT1_lPT2_llS5_llPT3_lli: ; @_ZL23rocblas_trmm_rNx_kernelILi32EffKffEv13rocblas_fill_17rocblas_diagonal_iiT1_lPT2_llS5_llPT3_lli
; %bb.0:
	s_load_dword s28, s[0:1], 0x10
	s_waitcnt lgkmcnt(0)
	v_cmp_eq_f32_e64 s[4:5], s28, 0
	s_and_b64 vcc, exec, s[4:5]
	s_cbranch_vccnz .LBB31_15
; %bb.1:
	s_load_dwordx4 s[24:27], s[0:1], 0x0
	s_load_dwordx16 s[8:23], s[0:1], 0x20
	v_and_b32_e32 v5, 0x3ff, v0
	v_bfe_u32 v2, v0, 10, 10
	v_lshlrev_b32_e32 v3, 5, v2
	s_waitcnt lgkmcnt(0)
	v_cmp_gt_i32_e32 vcc, s27, v2
	v_cmp_gt_i32_e64 s[4:5], s27, v5
	v_add_lshl_u32 v4, v3, v5, 2
	v_mov_b32_e32 v1, 0
	s_and_b64 s[6:7], vcc, s[4:5]
	v_lshlrev_b32_e32 v0, 2, v5
	ds_write2st64_b32 v4, v1, v1 offset1:16
	s_and_saveexec_b64 s[4:5], s[6:7]
	s_cbranch_execz .LBB31_3
; %bb.2:
	s_mul_i32 s6, s13, s3
	s_mul_hi_u32 s7, s12, s3
	s_add_i32 s7, s7, s6
	s_mul_i32 s6, s12, s3
	s_lshl_b64 s[6:7], s[6:7], 2
	s_add_u32 s6, s8, s6
	s_addc_u32 s7, s9, s7
	v_mad_u64_u32 v[6:7], s[8:9], s10, v2, 0
	v_mov_b32_e32 v8, v7
	v_mad_u64_u32 v[8:9], s[8:9], s11, v2, v[8:9]
	v_mov_b32_e32 v7, v8
	v_lshl_add_u64 v[6:7], v[6:7], 2, s[6:7]
	v_lshl_add_u64 v[6:7], v[6:7], 0, v[0:1]
	global_load_dword v1, v[6:7], off
	s_waitcnt vmcnt(0)
	ds_write_b32 v4, v1
.LBB31_3:
	s_or_b64 exec, exec, s[4:5]
	s_add_i32 s4, s26, -1
	s_ashr_i32 s5, s4, 31
	s_lshr_b32 s5, s5, 27
	s_add_i32 s4, s4, s5
	s_ashr_i32 s5, s4, 5
	s_andn2_b32 s4, s4, 31
	s_sub_i32 s4, s26, s4
	s_cmp_ge_i32 s2, s5
	s_cselect_b32 s4, s4, 32
	s_lshl_b32 s6, s2, 5
	v_cmp_gt_i32_e64 s[4:5], s4, v5
	s_ashr_i32 s7, s6, 31
	s_and_b64 s[4:5], vcc, s[4:5]
	s_and_saveexec_b64 s[8:9], s[4:5]
	s_cbranch_execz .LBB31_5
; %bb.4:
	s_mul_i32 s2, s19, s3
	s_mul_hi_u32 s10, s18, s3
	s_add_i32 s11, s10, s2
	s_mul_i32 s10, s18, s3
	s_lshl_b64 s[10:11], s[10:11], 2
	s_add_u32 s2, s14, s10
	s_addc_u32 s12, s15, s11
	s_lshl_b64 s[10:11], s[6:7], 2
	s_add_u32 s10, s2, s10
	s_addc_u32 s11, s12, s11
	v_mad_u64_u32 v[6:7], s[12:13], s16, v2, 0
	v_mov_b32_e32 v8, v7
	v_mad_u64_u32 v[8:9], s[12:13], s17, v2, v[8:9]
	v_mov_b32_e32 v7, v8
	v_lshl_add_u64 v[6:7], v[6:7], 2, s[10:11]
	v_mov_b32_e32 v1, 0
	v_lshl_add_u64 v[6:7], v[6:7], 0, v[0:1]
	global_load_dword v1, v[6:7], off
	v_add_u32_e32 v6, 0x1000, v4
	s_waitcnt vmcnt(0)
	ds_write_b32 v6, v1
.LBB31_5:
	s_or_b64 exec, exec, s[8:9]
	s_cmpk_eq_i32 s25, 0x84
	s_cselect_b64 s[8:9], -1, 0
	v_cmp_eq_u32_e32 vcc, v2, v5
	s_and_b64 s[10:11], vcc, s[8:9]
	s_and_saveexec_b64 s[8:9], s[10:11]
; %bb.6:
	v_mov_b32_e32 v1, 1.0
	ds_write_b32 v4, v1
; %bb.7:
	s_or_b64 exec, exec, s[8:9]
	s_cmpk_lg_i32 s24, 0x79
	s_cbranch_scc0 .LBB31_9
; %bb.8:
	v_cmp_lt_u32_e32 vcc, v5, v2
	s_and_b64 s[8:9], vcc, exec
	s_cbranch_execz .LBB31_10
	s_branch .LBB31_11
.LBB31_9:
	s_mov_b64 s[8:9], 0
.LBB31_10:
	v_cmp_gt_u32_e32 vcc, v5, v2
	s_andn2_b64 s[8:9], s[8:9], exec
	s_and_b64 s[10:11], vcc, exec
	s_or_b64 s[8:9], s[8:9], s[10:11]
.LBB31_11:
	s_and_saveexec_b64 s[10:11], s[8:9]
; %bb.12:
	v_mov_b32_e32 v1, 0
	ds_write_b32 v4, v1
; %bb.13:
	s_or_b64 exec, exec, s[10:11]
	s_waitcnt lgkmcnt(0)
	s_barrier
	s_and_saveexec_b64 s[8:9], s[4:5]
	s_cbranch_execz .LBB31_15
; %bb.14:
	v_add_u32_e32 v26, 0x1000, v0
	ds_read2_b32 v[20:21], v26 offset1:32
	v_lshlrev_b32_e32 v3, 2, v3
	ds_read_b128 v[4:7], v3
	ds_read_b128 v[8:11], v3 offset:16
	ds_read_b128 v[12:15], v3 offset:32
	;; [unrolled: 1-line block ×3, first 2 shown]
	ds_read2_b32 v[22:23], v26 offset0:64 offset1:96
	ds_read2_b32 v[24:25], v26 offset0:128 offset1:160
	s_load_dwordx2 s[0:1], s[0:1], 0x60
	s_waitcnt lgkmcnt(0)
	v_fma_f32 v20, v20, v4, 0
	v_fmac_f32_e32 v20, v21, v5
	ds_read2_b32 v[4:5], v26 offset0:192 offset1:224
	v_fmac_f32_e32 v20, v22, v6
	v_add_u32_e32 v21, 0x1400, v0
	v_fmac_f32_e32 v20, v23, v7
	ds_read2_b32 v[6:7], v21 offset1:32
	v_fmac_f32_e32 v20, v24, v8
	v_fmac_f32_e32 v20, v25, v9
	ds_read2_b32 v[8:9], v21 offset0:64 offset1:96
	s_waitcnt lgkmcnt(2)
	v_fmac_f32_e32 v20, v4, v10
	v_fmac_f32_e32 v20, v5, v11
	ds_read2_b32 v[4:5], v21 offset0:128 offset1:160
	s_waitcnt lgkmcnt(2)
	v_fmac_f32_e32 v20, v6, v12
	v_fmac_f32_e32 v20, v7, v13
	s_waitcnt lgkmcnt(1)
	v_fmac_f32_e32 v20, v8, v14
	v_fmac_f32_e32 v20, v9, v15
	ds_read2_b32 v[8:9], v21 offset0:192 offset1:224
	s_waitcnt lgkmcnt(1)
	v_fmac_f32_e32 v20, v4, v16
	v_add_u32_e32 v21, 0x1800, v0
	v_fmac_f32_e32 v20, v5, v17
	ds_read2_b32 v[12:13], v21 offset1:32
	ds_read_b128 v[4:7], v3 offset:64
	s_waitcnt lgkmcnt(2)
	v_fmac_f32_e32 v20, v8, v18
	v_fmac_f32_e32 v20, v9, v19
	ds_read2_b32 v[14:15], v21 offset0:64 offset1:96
	ds_read_b128 v[8:11], v3 offset:80
	ds_read2_b32 v[16:17], v21 offset0:128 offset1:160
	s_waitcnt lgkmcnt(3)
	v_fmac_f32_e32 v20, v12, v4
	v_fmac_f32_e32 v20, v13, v5
	ds_read2_b32 v[4:5], v21 offset0:192 offset1:224
	s_waitcnt lgkmcnt(3)
	v_fmac_f32_e32 v20, v14, v6
	v_fmac_f32_e32 v20, v15, v7
	s_waitcnt lgkmcnt(1)
	v_pk_mul_f32 v[6:7], v[16:17], v[8:9]
	v_add_u32_e32 v16, 0x1c00, v0
	v_add_f32_e32 v6, v20, v6
	v_add_f32_e32 v14, v6, v7
	s_waitcnt lgkmcnt(0)
	v_pk_mul_f32 v[8:9], v[4:5], v[10:11]
	ds_read2_b32 v[12:13], v16 offset1:32
	ds_read_b128 v[4:7], v3 offset:96
	v_add_f32_e32 v8, v14, v8
	v_add_f32_e32 v17, v8, v9
	ds_read2_b32 v[14:15], v16 offset0:64 offset1:96
	ds_read_b128 v[8:11], v3 offset:112
	s_mul_i32 s1, s1, s3
	s_waitcnt lgkmcnt(2)
	v_pk_mul_f32 v[4:5], v[12:13], v[4:5]
	ds_read2_b32 v[12:13], v16 offset0:192 offset1:224
	v_add_f32_e32 v3, v17, v4
	v_add_f32_e32 v3, v3, v5
	ds_read2_b32 v[4:5], v16 offset0:128 offset1:160
	s_mul_hi_u32 s2, s0, s3
	s_waitcnt lgkmcnt(3)
	v_pk_mul_f32 v[6:7], v[14:15], v[6:7]
	s_mul_i32 s0, s0, s3
	s_add_i32 s1, s2, s1
	v_add_f32_e32 v3, v3, v6
	s_lshl_b64 s[0:1], s[0:1], 2
	v_add_f32_e32 v3, v3, v7
	s_waitcnt lgkmcnt(0)
	v_pk_mul_f32 v[4:5], v[4:5], v[8:9]
	s_add_u32 s2, s20, s0
	v_add_f32_e32 v3, v3, v4
	s_addc_u32 s3, s21, s1
	s_lshl_b64 s[0:1], s[6:7], 2
	v_add_f32_e32 v3, v3, v5
	v_pk_mul_f32 v[4:5], v[12:13], v[10:11]
	s_add_u32 s0, s2, s0
	v_add_f32_e32 v3, v3, v4
	s_addc_u32 s1, s3, s1
	v_add_f32_e32 v3, v3, v5
	v_mad_u64_u32 v[4:5], s[2:3], s22, v2, 0
	v_mul_f32_e32 v7, s28, v3
	v_mov_b32_e32 v6, v5
	v_mad_u64_u32 v[2:3], s[2:3], s23, v2, v[6:7]
	v_mov_b32_e32 v5, v2
	v_mov_b32_e32 v1, 0
	v_lshl_add_u64 v[2:3], v[4:5], 2, s[0:1]
	v_lshl_add_u64 v[0:1], v[2:3], 0, v[0:1]
	global_store_dword v[0:1], v7, off
.LBB31_15:
	s_endpgm
	.section	.rodata,"a",@progbits
	.p2align	6, 0x0
	.amdhsa_kernel _ZL23rocblas_trmm_rNx_kernelILi32EffKffEv13rocblas_fill_17rocblas_diagonal_iiT1_lPT2_llS5_llPT3_lli
		.amdhsa_group_segment_fixed_size 8192
		.amdhsa_private_segment_fixed_size 0
		.amdhsa_kernarg_size 108
		.amdhsa_user_sgpr_count 2
		.amdhsa_user_sgpr_dispatch_ptr 0
		.amdhsa_user_sgpr_queue_ptr 0
		.amdhsa_user_sgpr_kernarg_segment_ptr 1
		.amdhsa_user_sgpr_dispatch_id 0
		.amdhsa_user_sgpr_kernarg_preload_length 0
		.amdhsa_user_sgpr_kernarg_preload_offset 0
		.amdhsa_user_sgpr_private_segment_size 0
		.amdhsa_uses_dynamic_stack 0
		.amdhsa_enable_private_segment 0
		.amdhsa_system_sgpr_workgroup_id_x 1
		.amdhsa_system_sgpr_workgroup_id_y 0
		.amdhsa_system_sgpr_workgroup_id_z 1
		.amdhsa_system_sgpr_workgroup_info 0
		.amdhsa_system_vgpr_workitem_id 1
		.amdhsa_next_free_vgpr 27
		.amdhsa_next_free_sgpr 29
		.amdhsa_accum_offset 28
		.amdhsa_reserve_vcc 1
		.amdhsa_float_round_mode_32 0
		.amdhsa_float_round_mode_16_64 0
		.amdhsa_float_denorm_mode_32 3
		.amdhsa_float_denorm_mode_16_64 3
		.amdhsa_dx10_clamp 1
		.amdhsa_ieee_mode 1
		.amdhsa_fp16_overflow 0
		.amdhsa_tg_split 0
		.amdhsa_exception_fp_ieee_invalid_op 0
		.amdhsa_exception_fp_denorm_src 0
		.amdhsa_exception_fp_ieee_div_zero 0
		.amdhsa_exception_fp_ieee_overflow 0
		.amdhsa_exception_fp_ieee_underflow 0
		.amdhsa_exception_fp_ieee_inexact 0
		.amdhsa_exception_int_div_zero 0
	.end_amdhsa_kernel
	.section	.text._ZL23rocblas_trmm_rNx_kernelILi32EffKffEv13rocblas_fill_17rocblas_diagonal_iiT1_lPT2_llS5_llPT3_lli,"axG",@progbits,_ZL23rocblas_trmm_rNx_kernelILi32EffKffEv13rocblas_fill_17rocblas_diagonal_iiT1_lPT2_llS5_llPT3_lli,comdat
.Lfunc_end31:
	.size	_ZL23rocblas_trmm_rNx_kernelILi32EffKffEv13rocblas_fill_17rocblas_diagonal_iiT1_lPT2_llS5_llPT3_lli, .Lfunc_end31-_ZL23rocblas_trmm_rNx_kernelILi32EffKffEv13rocblas_fill_17rocblas_diagonal_iiT1_lPT2_llS5_llPT3_lli
                                        ; -- End function
	.set _ZL23rocblas_trmm_rNx_kernelILi32EffKffEv13rocblas_fill_17rocblas_diagonal_iiT1_lPT2_llS5_llPT3_lli.num_vgpr, 27
	.set _ZL23rocblas_trmm_rNx_kernelILi32EffKffEv13rocblas_fill_17rocblas_diagonal_iiT1_lPT2_llS5_llPT3_lli.num_agpr, 0
	.set _ZL23rocblas_trmm_rNx_kernelILi32EffKffEv13rocblas_fill_17rocblas_diagonal_iiT1_lPT2_llS5_llPT3_lli.numbered_sgpr, 29
	.set _ZL23rocblas_trmm_rNx_kernelILi32EffKffEv13rocblas_fill_17rocblas_diagonal_iiT1_lPT2_llS5_llPT3_lli.num_named_barrier, 0
	.set _ZL23rocblas_trmm_rNx_kernelILi32EffKffEv13rocblas_fill_17rocblas_diagonal_iiT1_lPT2_llS5_llPT3_lli.private_seg_size, 0
	.set _ZL23rocblas_trmm_rNx_kernelILi32EffKffEv13rocblas_fill_17rocblas_diagonal_iiT1_lPT2_llS5_llPT3_lli.uses_vcc, 1
	.set _ZL23rocblas_trmm_rNx_kernelILi32EffKffEv13rocblas_fill_17rocblas_diagonal_iiT1_lPT2_llS5_llPT3_lli.uses_flat_scratch, 0
	.set _ZL23rocblas_trmm_rNx_kernelILi32EffKffEv13rocblas_fill_17rocblas_diagonal_iiT1_lPT2_llS5_llPT3_lli.has_dyn_sized_stack, 0
	.set _ZL23rocblas_trmm_rNx_kernelILi32EffKffEv13rocblas_fill_17rocblas_diagonal_iiT1_lPT2_llS5_llPT3_lli.has_recursion, 0
	.set _ZL23rocblas_trmm_rNx_kernelILi32EffKffEv13rocblas_fill_17rocblas_diagonal_iiT1_lPT2_llS5_llPT3_lli.has_indirect_call, 0
	.section	.AMDGPU.csdata,"",@progbits
; Kernel info:
; codeLenInByte = 1072
; TotalNumSgprs: 35
; NumVgprs: 27
; NumAgprs: 0
; TotalNumVgprs: 27
; ScratchSize: 0
; MemoryBound: 0
; FloatMode: 240
; IeeeMode: 1
; LDSByteSize: 8192 bytes/workgroup (compile time only)
; SGPRBlocks: 4
; VGPRBlocks: 3
; NumSGPRsForWavesPerEU: 35
; NumVGPRsForWavesPerEU: 27
; AccumOffset: 28
; Occupancy: 8
; WaveLimiterHint : 0
; COMPUTE_PGM_RSRC2:SCRATCH_EN: 0
; COMPUTE_PGM_RSRC2:USER_SGPR: 2
; COMPUTE_PGM_RSRC2:TRAP_HANDLER: 0
; COMPUTE_PGM_RSRC2:TGID_X_EN: 1
; COMPUTE_PGM_RSRC2:TGID_Y_EN: 0
; COMPUTE_PGM_RSRC2:TGID_Z_EN: 1
; COMPUTE_PGM_RSRC2:TIDIG_COMP_CNT: 1
; COMPUTE_PGM_RSRC3_GFX90A:ACCUM_OFFSET: 6
; COMPUTE_PGM_RSRC3_GFX90A:TG_SPLIT: 0
	.section	.text._ZL23rocblas_trmm_rTx_kernelILi32ELb0EfPKfS0_fEv13rocblas_fill_17rocblas_diagonal_iiT2_lPT3_llS6_llPT4_lli,"axG",@progbits,_ZL23rocblas_trmm_rTx_kernelILi32ELb0EfPKfS0_fEv13rocblas_fill_17rocblas_diagonal_iiT2_lPT3_llS6_llPT4_lli,comdat
	.globl	_ZL23rocblas_trmm_rTx_kernelILi32ELb0EfPKfS0_fEv13rocblas_fill_17rocblas_diagonal_iiT2_lPT3_llS6_llPT4_lli ; -- Begin function _ZL23rocblas_trmm_rTx_kernelILi32ELb0EfPKfS0_fEv13rocblas_fill_17rocblas_diagonal_iiT2_lPT3_llS6_llPT4_lli
	.p2align	8
	.type	_ZL23rocblas_trmm_rTx_kernelILi32ELb0EfPKfS0_fEv13rocblas_fill_17rocblas_diagonal_iiT2_lPT3_llS6_llPT4_lli,@function
_ZL23rocblas_trmm_rTx_kernelILi32ELb0EfPKfS0_fEv13rocblas_fill_17rocblas_diagonal_iiT2_lPT3_llS6_llPT4_lli: ; @_ZL23rocblas_trmm_rTx_kernelILi32ELb0EfPKfS0_fEv13rocblas_fill_17rocblas_diagonal_iiT2_lPT3_llS6_llPT4_lli
; %bb.0:
	s_load_dwordx16 s[4:19], s[0:1], 0x10
	s_waitcnt lgkmcnt(0)
	s_mul_i32 s7, s7, s3
	s_mul_hi_u32 s20, s6, s3
	s_add_i32 s7, s20, s7
	s_mul_i32 s6, s6, s3
	s_lshl_b64 s[6:7], s[6:7], 2
	s_add_u32 s4, s4, s6
	s_addc_u32 s5, s5, s7
	s_load_dword s24, s[4:5], 0x0
	s_waitcnt lgkmcnt(0)
	v_cmp_eq_f32_e64 s[4:5], s24, 0
	s_and_b64 vcc, exec, s[4:5]
	s_cbranch_vccnz .LBB32_15
; %bb.1:
	s_load_dwordx4 s[20:23], s[0:1], 0x0
	v_and_b32_e32 v4, 0x3ff, v0
	v_bfe_u32 v2, v0, 10, 10
	v_lshlrev_b32_e32 v0, 5, v2
	v_add_lshl_u32 v3, v0, v4, 2
	s_waitcnt lgkmcnt(0)
	v_cmp_gt_i32_e32 vcc, s23, v2
	v_cmp_gt_i32_e64 s[4:5], s23, v4
	v_mov_b32_e32 v1, 0
	s_and_b64 s[6:7], vcc, s[4:5]
	v_lshlrev_b32_e32 v0, 2, v4
	ds_write2st64_b32 v3, v1, v1 offset1:16
	s_and_saveexec_b64 s[4:5], s[6:7]
	s_cbranch_execz .LBB32_3
; %bb.2:
	s_mul_i32 s6, s13, s3
	s_mul_hi_u32 s7, s12, s3
	s_add_i32 s7, s7, s6
	s_mul_i32 s6, s12, s3
	s_lshl_b64 s[6:7], s[6:7], 2
	s_add_u32 s6, s8, s6
	s_addc_u32 s7, s9, s7
	v_mad_u64_u32 v[6:7], s[8:9], s10, v2, 0
	v_mov_b32_e32 v8, v7
	v_mad_u64_u32 v[8:9], s[8:9], s11, v2, v[8:9]
	v_mov_b32_e32 v7, v8
	v_lshl_add_u64 v[6:7], v[6:7], 2, s[6:7]
	v_lshl_add_u64 v[6:7], v[6:7], 0, v[0:1]
	global_load_dword v1, v[6:7], off
	s_waitcnt vmcnt(0)
	ds_write_b32 v3, v1
.LBB32_3:
	s_or_b64 exec, exec, s[4:5]
	s_add_i32 s4, s22, -1
	s_ashr_i32 s5, s4, 31
	s_lshr_b32 s5, s5, 27
	s_add_i32 s4, s4, s5
	s_ashr_i32 s5, s4, 5
	s_andn2_b32 s4, s4, 31
	s_sub_i32 s4, s22, s4
	s_cmp_ge_i32 s2, s5
	s_cselect_b32 s4, s4, 32
	s_lshl_b32 s8, s2, 5
	v_cmp_gt_i32_e64 s[4:5], s4, v4
	s_ashr_i32 s9, s8, 31
	s_and_b64 s[4:5], vcc, s[4:5]
	s_and_saveexec_b64 s[6:7], s[4:5]
	s_cbranch_execz .LBB32_5
; %bb.4:
	s_mul_i32 s2, s19, s3
	s_mul_hi_u32 s10, s18, s3
	s_add_i32 s11, s10, s2
	s_mul_i32 s10, s18, s3
	s_lshl_b64 s[10:11], s[10:11], 2
	s_add_u32 s2, s14, s10
	s_addc_u32 s12, s15, s11
	s_lshl_b64 s[10:11], s[8:9], 2
	s_add_u32 s10, s2, s10
	s_addc_u32 s11, s12, s11
	v_mad_u64_u32 v[6:7], s[12:13], s16, v2, 0
	v_mov_b32_e32 v8, v7
	v_mad_u64_u32 v[8:9], s[12:13], s17, v2, v[8:9]
	v_mov_b32_e32 v7, v8
	v_lshl_add_u64 v[6:7], v[6:7], 2, s[10:11]
	v_mov_b32_e32 v1, 0
	v_lshl_add_u64 v[6:7], v[6:7], 0, v[0:1]
	global_load_dword v1, v[6:7], off
	v_add_u32_e32 v5, 0x1000, v3
	s_waitcnt vmcnt(0)
	ds_write_b32 v5, v1
.LBB32_5:
	s_or_b64 exec, exec, s[6:7]
	s_cmpk_eq_i32 s21, 0x84
	s_cselect_b64 s[6:7], -1, 0
	v_cmp_eq_u32_e32 vcc, v2, v4
	s_and_b64 s[10:11], vcc, s[6:7]
	s_and_saveexec_b64 s[6:7], s[10:11]
; %bb.6:
	v_mov_b32_e32 v1, 1.0
	ds_write_b32 v3, v1
; %bb.7:
	s_or_b64 exec, exec, s[6:7]
	s_cmpk_lg_i32 s20, 0x79
	s_cbranch_scc0 .LBB32_9
; %bb.8:
	v_cmp_lt_u32_e32 vcc, v4, v2
	s_and_b64 s[6:7], vcc, exec
	s_cbranch_execz .LBB32_10
	s_branch .LBB32_11
.LBB32_9:
	s_mov_b64 s[6:7], 0
.LBB32_10:
	v_cmp_gt_u32_e32 vcc, v4, v2
	s_andn2_b64 s[6:7], s[6:7], exec
	s_and_b64 s[10:11], vcc, exec
	s_or_b64 s[6:7], s[6:7], s[10:11]
.LBB32_11:
	s_and_saveexec_b64 s[10:11], s[6:7]
; %bb.12:
	v_mov_b32_e32 v1, 0
	ds_write_b32 v3, v1
; %bb.13:
	s_or_b64 exec, exec, s[10:11]
	s_waitcnt lgkmcnt(0)
	s_barrier
	s_and_saveexec_b64 s[6:7], s[4:5]
	s_cbranch_execz .LBB32_15
; %bb.14:
	v_add_u32_e32 v3, 0x1000, v0
	v_lshlrev_b32_e32 v16, 2, v2
	s_load_dwordx2 s[10:11], s[0:1], 0x60
	s_load_dwordx4 s[4:7], s[0:1], 0x50
	ds_read2_b32 v[4:5], v3 offset1:32
	ds_read2_b32 v[6:7], v16 offset1:32
	v_add_u32_e32 v18, 0x400, v16
	s_waitcnt lgkmcnt(0)
	s_mul_i32 s1, s11, s3
	s_mul_hi_u32 s2, s10, s3
	s_mul_i32 s0, s10, s3
	v_fma_f32 v17, v4, v6, 0
	v_fmac_f32_e32 v17, v5, v7
	ds_read2_b32 v[4:5], v3 offset0:64 offset1:96
	ds_read2_b32 v[6:7], v16 offset0:64 offset1:96
	;; [unrolled: 1-line block ×6, first 2 shown]
	s_waitcnt lgkmcnt(4)
	v_fmac_f32_e32 v17, v4, v6
	v_add_u32_e32 v3, 0x1400, v0
	v_fmac_f32_e32 v17, v5, v7
	ds_read2_b32 v[4:5], v3 offset1:32
	s_waitcnt lgkmcnt(3)
	v_fmac_f32_e32 v17, v8, v10
	v_fmac_f32_e32 v17, v9, v11
	s_waitcnt lgkmcnt(1)
	v_fmac_f32_e32 v17, v12, v14
	v_fmac_f32_e32 v17, v13, v15
	ds_read2_b32 v[6:7], v18 offset1:32
	ds_read2_b32 v[8:9], v3 offset0:64 offset1:96
	ds_read2_b32 v[10:11], v18 offset0:64 offset1:96
	;; [unrolled: 1-line block ×4, first 2 shown]
	s_waitcnt lgkmcnt(4)
	v_fmac_f32_e32 v17, v4, v6
	v_fmac_f32_e32 v17, v5, v7
	s_waitcnt lgkmcnt(2)
	v_fmac_f32_e32 v17, v8, v10
	v_fmac_f32_e32 v17, v9, v11
	ds_read2_b32 v[4:5], v3 offset0:192 offset1:224
	ds_read2_b32 v[6:7], v18 offset0:192 offset1:224
	s_waitcnt lgkmcnt(2)
	v_fmac_f32_e32 v17, v12, v14
	v_add_u32_e32 v3, 0x1800, v0
	v_add_u32_e32 v14, 0x800, v16
	ds_read2_b32 v[8:9], v3 offset1:32
	ds_read2_b32 v[10:11], v14 offset1:32
	v_fmac_f32_e32 v17, v13, v15
	s_waitcnt lgkmcnt(2)
	v_fmac_f32_e32 v17, v4, v6
	v_fmac_f32_e32 v17, v5, v7
	ds_read2_b32 v[4:5], v3 offset0:64 offset1:96
	ds_read2_b32 v[6:7], v14 offset0:64 offset1:96
	s_waitcnt lgkmcnt(2)
	v_fmac_f32_e32 v17, v8, v10
	v_fmac_f32_e32 v17, v9, v11
	ds_read2_b32 v[8:9], v3 offset0:128 offset1:160
	ds_read2_b32 v[10:11], v14 offset0:128 offset1:160
	;; [unrolled: 1-line block ×4, first 2 shown]
	s_waitcnt lgkmcnt(4)
	v_fmac_f32_e32 v17, v4, v6
	v_fmac_f32_e32 v17, v5, v7
	s_add_i32 s1, s2, s1
	s_waitcnt lgkmcnt(2)
	v_pk_mul_f32 v[4:5], v[8:9], v[10:11]
	s_lshl_b64 s[0:1], s[0:1], 2
	v_add_f32_e32 v3, v17, v4
	v_add_f32_e32 v3, v3, v5
	s_waitcnt lgkmcnt(0)
	v_pk_mul_f32 v[4:5], v[12:13], v[14:15]
	v_add_u32_e32 v14, 0x1c00, v0
	v_add_u32_e32 v15, 0xc00, v16
	ds_read2_b32 v[6:7], v14 offset1:32
	ds_read2_b32 v[8:9], v15 offset1:32
	ds_read2_b32 v[10:11], v14 offset0:64 offset1:96
	ds_read2_b32 v[12:13], v15 offset0:64 offset1:96
	v_add_f32_e32 v3, v3, v4
	v_add_f32_e32 v3, v3, v5
	s_add_u32 s2, s4, s0
	s_waitcnt lgkmcnt(2)
	v_pk_mul_f32 v[4:5], v[6:7], v[8:9]
	ds_read2_b32 v[6:7], v14 offset0:128 offset1:160
	ds_read2_b32 v[8:9], v15 offset0:128 offset1:160
	v_add_f32_e32 v3, v3, v4
	v_add_f32_e32 v3, v3, v5
	s_waitcnt lgkmcnt(2)
	v_pk_mul_f32 v[4:5], v[10:11], v[12:13]
	ds_read2_b32 v[10:11], v14 offset0:192 offset1:224
	ds_read2_b32 v[12:13], v15 offset0:192 offset1:224
	v_add_f32_e32 v3, v3, v4
	v_add_f32_e32 v3, v3, v5
	s_waitcnt lgkmcnt(2)
	v_pk_mul_f32 v[4:5], v[6:7], v[8:9]
	s_addc_u32 s3, s5, s1
	v_add_f32_e32 v3, v3, v4
	s_lshl_b64 s[0:1], s[8:9], 2
	v_add_f32_e32 v3, v3, v5
	s_waitcnt lgkmcnt(0)
	v_pk_mul_f32 v[4:5], v[10:11], v[12:13]
	s_add_u32 s0, s2, s0
	v_add_f32_e32 v3, v3, v4
	s_addc_u32 s1, s3, s1
	v_add_f32_e32 v3, v3, v5
	v_mad_u64_u32 v[4:5], s[2:3], s6, v2, 0
	v_mul_f32_e32 v7, s24, v3
	v_mov_b32_e32 v6, v5
	v_mad_u64_u32 v[2:3], s[2:3], s7, v2, v[6:7]
	v_mov_b32_e32 v5, v2
	v_mov_b32_e32 v1, 0
	v_lshl_add_u64 v[2:3], v[4:5], 2, s[0:1]
	v_lshl_add_u64 v[0:1], v[2:3], 0, v[0:1]
	global_store_dword v[0:1], v7, off
.LBB32_15:
	s_endpgm
	.section	.rodata,"a",@progbits
	.p2align	6, 0x0
	.amdhsa_kernel _ZL23rocblas_trmm_rTx_kernelILi32ELb0EfPKfS0_fEv13rocblas_fill_17rocblas_diagonal_iiT2_lPT3_llS6_llPT4_lli
		.amdhsa_group_segment_fixed_size 8192
		.amdhsa_private_segment_fixed_size 0
		.amdhsa_kernarg_size 108
		.amdhsa_user_sgpr_count 2
		.amdhsa_user_sgpr_dispatch_ptr 0
		.amdhsa_user_sgpr_queue_ptr 0
		.amdhsa_user_sgpr_kernarg_segment_ptr 1
		.amdhsa_user_sgpr_dispatch_id 0
		.amdhsa_user_sgpr_kernarg_preload_length 0
		.amdhsa_user_sgpr_kernarg_preload_offset 0
		.amdhsa_user_sgpr_private_segment_size 0
		.amdhsa_uses_dynamic_stack 0
		.amdhsa_enable_private_segment 0
		.amdhsa_system_sgpr_workgroup_id_x 1
		.amdhsa_system_sgpr_workgroup_id_y 0
		.amdhsa_system_sgpr_workgroup_id_z 1
		.amdhsa_system_sgpr_workgroup_info 0
		.amdhsa_system_vgpr_workitem_id 1
		.amdhsa_next_free_vgpr 19
		.amdhsa_next_free_sgpr 25
		.amdhsa_accum_offset 20
		.amdhsa_reserve_vcc 1
		.amdhsa_float_round_mode_32 0
		.amdhsa_float_round_mode_16_64 0
		.amdhsa_float_denorm_mode_32 3
		.amdhsa_float_denorm_mode_16_64 3
		.amdhsa_dx10_clamp 1
		.amdhsa_ieee_mode 1
		.amdhsa_fp16_overflow 0
		.amdhsa_tg_split 0
		.amdhsa_exception_fp_ieee_invalid_op 0
		.amdhsa_exception_fp_denorm_src 0
		.amdhsa_exception_fp_ieee_div_zero 0
		.amdhsa_exception_fp_ieee_overflow 0
		.amdhsa_exception_fp_ieee_underflow 0
		.amdhsa_exception_fp_ieee_inexact 0
		.amdhsa_exception_int_div_zero 0
	.end_amdhsa_kernel
	.section	.text._ZL23rocblas_trmm_rTx_kernelILi32ELb0EfPKfS0_fEv13rocblas_fill_17rocblas_diagonal_iiT2_lPT3_llS6_llPT4_lli,"axG",@progbits,_ZL23rocblas_trmm_rTx_kernelILi32ELb0EfPKfS0_fEv13rocblas_fill_17rocblas_diagonal_iiT2_lPT3_llS6_llPT4_lli,comdat
.Lfunc_end32:
	.size	_ZL23rocblas_trmm_rTx_kernelILi32ELb0EfPKfS0_fEv13rocblas_fill_17rocblas_diagonal_iiT2_lPT3_llS6_llPT4_lli, .Lfunc_end32-_ZL23rocblas_trmm_rTx_kernelILi32ELb0EfPKfS0_fEv13rocblas_fill_17rocblas_diagonal_iiT2_lPT3_llS6_llPT4_lli
                                        ; -- End function
	.set _ZL23rocblas_trmm_rTx_kernelILi32ELb0EfPKfS0_fEv13rocblas_fill_17rocblas_diagonal_iiT2_lPT3_llS6_llPT4_lli.num_vgpr, 19
	.set _ZL23rocblas_trmm_rTx_kernelILi32ELb0EfPKfS0_fEv13rocblas_fill_17rocblas_diagonal_iiT2_lPT3_llS6_llPT4_lli.num_agpr, 0
	.set _ZL23rocblas_trmm_rTx_kernelILi32ELb0EfPKfS0_fEv13rocblas_fill_17rocblas_diagonal_iiT2_lPT3_llS6_llPT4_lli.numbered_sgpr, 25
	.set _ZL23rocblas_trmm_rTx_kernelILi32ELb0EfPKfS0_fEv13rocblas_fill_17rocblas_diagonal_iiT2_lPT3_llS6_llPT4_lli.num_named_barrier, 0
	.set _ZL23rocblas_trmm_rTx_kernelILi32ELb0EfPKfS0_fEv13rocblas_fill_17rocblas_diagonal_iiT2_lPT3_llS6_llPT4_lli.private_seg_size, 0
	.set _ZL23rocblas_trmm_rTx_kernelILi32ELb0EfPKfS0_fEv13rocblas_fill_17rocblas_diagonal_iiT2_lPT3_llS6_llPT4_lli.uses_vcc, 1
	.set _ZL23rocblas_trmm_rTx_kernelILi32ELb0EfPKfS0_fEv13rocblas_fill_17rocblas_diagonal_iiT2_lPT3_llS6_llPT4_lli.uses_flat_scratch, 0
	.set _ZL23rocblas_trmm_rTx_kernelILi32ELb0EfPKfS0_fEv13rocblas_fill_17rocblas_diagonal_iiT2_lPT3_llS6_llPT4_lli.has_dyn_sized_stack, 0
	.set _ZL23rocblas_trmm_rTx_kernelILi32ELb0EfPKfS0_fEv13rocblas_fill_17rocblas_diagonal_iiT2_lPT3_llS6_llPT4_lli.has_recursion, 0
	.set _ZL23rocblas_trmm_rTx_kernelILi32ELb0EfPKfS0_fEv13rocblas_fill_17rocblas_diagonal_iiT2_lPT3_llS6_llPT4_lli.has_indirect_call, 0
	.section	.AMDGPU.csdata,"",@progbits
; Kernel info:
; codeLenInByte = 1212
; TotalNumSgprs: 31
; NumVgprs: 19
; NumAgprs: 0
; TotalNumVgprs: 19
; ScratchSize: 0
; MemoryBound: 0
; FloatMode: 240
; IeeeMode: 1
; LDSByteSize: 8192 bytes/workgroup (compile time only)
; SGPRBlocks: 3
; VGPRBlocks: 2
; NumSGPRsForWavesPerEU: 31
; NumVGPRsForWavesPerEU: 19
; AccumOffset: 20
; Occupancy: 8
; WaveLimiterHint : 0
; COMPUTE_PGM_RSRC2:SCRATCH_EN: 0
; COMPUTE_PGM_RSRC2:USER_SGPR: 2
; COMPUTE_PGM_RSRC2:TRAP_HANDLER: 0
; COMPUTE_PGM_RSRC2:TGID_X_EN: 1
; COMPUTE_PGM_RSRC2:TGID_Y_EN: 0
; COMPUTE_PGM_RSRC2:TGID_Z_EN: 1
; COMPUTE_PGM_RSRC2:TIDIG_COMP_CNT: 1
; COMPUTE_PGM_RSRC3_GFX90A:ACCUM_OFFSET: 4
; COMPUTE_PGM_RSRC3_GFX90A:TG_SPLIT: 0
	.section	.text._ZL23rocblas_trmm_rTx_kernelILi32ELb0EffKffEv13rocblas_fill_17rocblas_diagonal_iiT2_lPT3_llS5_llPT4_lli,"axG",@progbits,_ZL23rocblas_trmm_rTx_kernelILi32ELb0EffKffEv13rocblas_fill_17rocblas_diagonal_iiT2_lPT3_llS5_llPT4_lli,comdat
	.globl	_ZL23rocblas_trmm_rTx_kernelILi32ELb0EffKffEv13rocblas_fill_17rocblas_diagonal_iiT2_lPT3_llS5_llPT4_lli ; -- Begin function _ZL23rocblas_trmm_rTx_kernelILi32ELb0EffKffEv13rocblas_fill_17rocblas_diagonal_iiT2_lPT3_llS5_llPT4_lli
	.p2align	8
	.type	_ZL23rocblas_trmm_rTx_kernelILi32ELb0EffKffEv13rocblas_fill_17rocblas_diagonal_iiT2_lPT3_llS5_llPT4_lli,@function
_ZL23rocblas_trmm_rTx_kernelILi32ELb0EffKffEv13rocblas_fill_17rocblas_diagonal_iiT2_lPT3_llS5_llPT4_lli: ; @_ZL23rocblas_trmm_rTx_kernelILi32ELb0EffKffEv13rocblas_fill_17rocblas_diagonal_iiT2_lPT3_llS5_llPT4_lli
; %bb.0:
	s_load_dword s28, s[0:1], 0x10
	s_waitcnt lgkmcnt(0)
	v_cmp_eq_f32_e64 s[4:5], s28, 0
	s_and_b64 vcc, exec, s[4:5]
	s_cbranch_vccnz .LBB33_15
; %bb.1:
	s_load_dwordx4 s[24:27], s[0:1], 0x0
	s_load_dwordx16 s[8:23], s[0:1], 0x20
	v_and_b32_e32 v4, 0x3ff, v0
	v_bfe_u32 v2, v0, 10, 10
	v_lshlrev_b32_e32 v0, 5, v2
	s_waitcnt lgkmcnt(0)
	v_cmp_gt_i32_e32 vcc, s27, v2
	v_cmp_gt_i32_e64 s[4:5], s27, v4
	v_add_lshl_u32 v3, v0, v4, 2
	v_mov_b32_e32 v1, 0
	s_and_b64 s[6:7], vcc, s[4:5]
	v_lshlrev_b32_e32 v0, 2, v4
	ds_write2st64_b32 v3, v1, v1 offset1:16
	s_and_saveexec_b64 s[4:5], s[6:7]
	s_cbranch_execz .LBB33_3
; %bb.2:
	s_mul_i32 s6, s13, s3
	s_mul_hi_u32 s7, s12, s3
	s_add_i32 s7, s7, s6
	s_mul_i32 s6, s12, s3
	s_lshl_b64 s[6:7], s[6:7], 2
	s_add_u32 s6, s8, s6
	s_addc_u32 s7, s9, s7
	v_mad_u64_u32 v[6:7], s[8:9], s10, v2, 0
	v_mov_b32_e32 v8, v7
	v_mad_u64_u32 v[8:9], s[8:9], s11, v2, v[8:9]
	v_mov_b32_e32 v7, v8
	v_lshl_add_u64 v[6:7], v[6:7], 2, s[6:7]
	v_lshl_add_u64 v[6:7], v[6:7], 0, v[0:1]
	global_load_dword v1, v[6:7], off
	s_waitcnt vmcnt(0)
	ds_write_b32 v3, v1
.LBB33_3:
	s_or_b64 exec, exec, s[4:5]
	s_add_i32 s4, s26, -1
	s_ashr_i32 s5, s4, 31
	s_lshr_b32 s5, s5, 27
	s_add_i32 s4, s4, s5
	s_ashr_i32 s5, s4, 5
	s_andn2_b32 s4, s4, 31
	s_sub_i32 s4, s26, s4
	s_cmp_ge_i32 s2, s5
	s_cselect_b32 s4, s4, 32
	s_lshl_b32 s6, s2, 5
	v_cmp_gt_i32_e64 s[4:5], s4, v4
	s_ashr_i32 s7, s6, 31
	s_and_b64 s[4:5], vcc, s[4:5]
	s_and_saveexec_b64 s[8:9], s[4:5]
	s_cbranch_execz .LBB33_5
; %bb.4:
	s_mul_i32 s2, s19, s3
	s_mul_hi_u32 s10, s18, s3
	s_add_i32 s11, s10, s2
	s_mul_i32 s10, s18, s3
	s_lshl_b64 s[10:11], s[10:11], 2
	s_add_u32 s2, s14, s10
	s_addc_u32 s12, s15, s11
	s_lshl_b64 s[10:11], s[6:7], 2
	s_add_u32 s10, s2, s10
	s_addc_u32 s11, s12, s11
	v_mad_u64_u32 v[6:7], s[12:13], s16, v2, 0
	v_mov_b32_e32 v8, v7
	v_mad_u64_u32 v[8:9], s[12:13], s17, v2, v[8:9]
	v_mov_b32_e32 v7, v8
	v_lshl_add_u64 v[6:7], v[6:7], 2, s[10:11]
	v_mov_b32_e32 v1, 0
	v_lshl_add_u64 v[6:7], v[6:7], 0, v[0:1]
	global_load_dword v1, v[6:7], off
	v_add_u32_e32 v5, 0x1000, v3
	s_waitcnt vmcnt(0)
	ds_write_b32 v5, v1
.LBB33_5:
	s_or_b64 exec, exec, s[8:9]
	s_cmpk_eq_i32 s25, 0x84
	s_cselect_b64 s[8:9], -1, 0
	v_cmp_eq_u32_e32 vcc, v2, v4
	s_and_b64 s[10:11], vcc, s[8:9]
	s_and_saveexec_b64 s[8:9], s[10:11]
; %bb.6:
	v_mov_b32_e32 v1, 1.0
	ds_write_b32 v3, v1
; %bb.7:
	s_or_b64 exec, exec, s[8:9]
	s_cmpk_lg_i32 s24, 0x79
	s_cbranch_scc0 .LBB33_9
; %bb.8:
	v_cmp_lt_u32_e32 vcc, v4, v2
	s_and_b64 s[8:9], vcc, exec
	s_cbranch_execz .LBB33_10
	s_branch .LBB33_11
.LBB33_9:
	s_mov_b64 s[8:9], 0
.LBB33_10:
	v_cmp_gt_u32_e32 vcc, v4, v2
	s_andn2_b64 s[8:9], s[8:9], exec
	s_and_b64 s[10:11], vcc, exec
	s_or_b64 s[8:9], s[8:9], s[10:11]
.LBB33_11:
	s_and_saveexec_b64 s[10:11], s[8:9]
; %bb.12:
	v_mov_b32_e32 v1, 0
	ds_write_b32 v3, v1
; %bb.13:
	s_or_b64 exec, exec, s[10:11]
	s_waitcnt lgkmcnt(0)
	s_barrier
	s_and_saveexec_b64 s[8:9], s[4:5]
	s_cbranch_execz .LBB33_15
; %bb.14:
	v_add_u32_e32 v3, 0x1000, v0
	v_lshlrev_b32_e32 v16, 2, v2
	ds_read2_b32 v[4:5], v3 offset1:32
	ds_read2_b32 v[6:7], v16 offset1:32
	v_add_u32_e32 v18, 0x400, v16
	s_load_dwordx2 s[0:1], s[0:1], 0x60
	v_mov_b32_e32 v1, 0
	s_waitcnt lgkmcnt(0)
	v_fma_f32 v17, v4, v6, 0
	v_fmac_f32_e32 v17, v5, v7
	ds_read2_b32 v[4:5], v3 offset0:64 offset1:96
	ds_read2_b32 v[6:7], v16 offset0:64 offset1:96
	;; [unrolled: 1-line block ×6, first 2 shown]
	s_waitcnt lgkmcnt(4)
	v_fmac_f32_e32 v17, v4, v6
	v_add_u32_e32 v3, 0x1400, v0
	v_fmac_f32_e32 v17, v5, v7
	ds_read2_b32 v[4:5], v3 offset1:32
	s_waitcnt lgkmcnt(3)
	v_fmac_f32_e32 v17, v8, v10
	v_fmac_f32_e32 v17, v9, v11
	s_waitcnt lgkmcnt(1)
	v_fmac_f32_e32 v17, v12, v14
	v_fmac_f32_e32 v17, v13, v15
	ds_read2_b32 v[6:7], v18 offset1:32
	ds_read2_b32 v[8:9], v3 offset0:64 offset1:96
	ds_read2_b32 v[10:11], v18 offset0:64 offset1:96
	;; [unrolled: 1-line block ×4, first 2 shown]
	s_waitcnt lgkmcnt(4)
	v_fmac_f32_e32 v17, v4, v6
	v_fmac_f32_e32 v17, v5, v7
	s_waitcnt lgkmcnt(2)
	v_fmac_f32_e32 v17, v8, v10
	v_fmac_f32_e32 v17, v9, v11
	ds_read2_b32 v[4:5], v3 offset0:192 offset1:224
	ds_read2_b32 v[6:7], v18 offset0:192 offset1:224
	s_waitcnt lgkmcnt(2)
	v_fmac_f32_e32 v17, v12, v14
	v_add_u32_e32 v3, 0x1800, v0
	v_add_u32_e32 v14, 0x800, v16
	ds_read2_b32 v[8:9], v3 offset1:32
	ds_read2_b32 v[10:11], v14 offset1:32
	v_fmac_f32_e32 v17, v13, v15
	s_waitcnt lgkmcnt(2)
	v_fmac_f32_e32 v17, v4, v6
	v_fmac_f32_e32 v17, v5, v7
	ds_read2_b32 v[4:5], v3 offset0:64 offset1:96
	ds_read2_b32 v[6:7], v14 offset0:64 offset1:96
	s_waitcnt lgkmcnt(2)
	v_fmac_f32_e32 v17, v8, v10
	v_fmac_f32_e32 v17, v9, v11
	ds_read2_b32 v[8:9], v3 offset0:128 offset1:160
	ds_read2_b32 v[10:11], v14 offset0:128 offset1:160
	;; [unrolled: 1-line block ×4, first 2 shown]
	s_waitcnt lgkmcnt(4)
	v_fmac_f32_e32 v17, v4, v6
	v_fmac_f32_e32 v17, v5, v7
	s_mul_i32 s1, s1, s3
	s_waitcnt lgkmcnt(2)
	v_pk_mul_f32 v[4:5], v[8:9], v[10:11]
	s_mul_hi_u32 s2, s0, s3
	v_add_f32_e32 v3, v17, v4
	v_add_f32_e32 v3, v3, v5
	s_waitcnt lgkmcnt(0)
	v_pk_mul_f32 v[4:5], v[12:13], v[14:15]
	v_add_u32_e32 v14, 0x1c00, v0
	v_add_u32_e32 v15, 0xc00, v16
	ds_read2_b32 v[6:7], v14 offset1:32
	ds_read2_b32 v[8:9], v15 offset1:32
	ds_read2_b32 v[10:11], v14 offset0:64 offset1:96
	ds_read2_b32 v[12:13], v15 offset0:64 offset1:96
	v_add_f32_e32 v3, v3, v4
	v_add_f32_e32 v3, v3, v5
	s_mul_i32 s0, s0, s3
	s_waitcnt lgkmcnt(2)
	v_pk_mul_f32 v[4:5], v[6:7], v[8:9]
	ds_read2_b32 v[6:7], v14 offset0:128 offset1:160
	ds_read2_b32 v[8:9], v15 offset0:128 offset1:160
	v_add_f32_e32 v3, v3, v4
	v_add_f32_e32 v3, v3, v5
	s_waitcnt lgkmcnt(2)
	v_pk_mul_f32 v[4:5], v[10:11], v[12:13]
	ds_read2_b32 v[10:11], v14 offset0:192 offset1:224
	ds_read2_b32 v[12:13], v15 offset0:192 offset1:224
	s_add_i32 s1, s2, s1
	v_add_f32_e32 v3, v3, v4
	s_lshl_b64 s[0:1], s[0:1], 2
	v_add_f32_e32 v3, v3, v5
	s_waitcnt lgkmcnt(2)
	v_pk_mul_f32 v[4:5], v[6:7], v[8:9]
	s_add_u32 s2, s20, s0
	v_add_f32_e32 v3, v3, v4
	s_addc_u32 s3, s21, s1
	s_lshl_b64 s[0:1], s[6:7], 2
	v_add_f32_e32 v3, v3, v5
	s_waitcnt lgkmcnt(0)
	v_pk_mul_f32 v[4:5], v[10:11], v[12:13]
	s_add_u32 s0, s2, s0
	v_add_f32_e32 v3, v3, v4
	s_addc_u32 s1, s3, s1
	v_add_f32_e32 v3, v3, v5
	v_mad_u64_u32 v[4:5], s[2:3], s22, v2, 0
	v_mul_f32_e32 v7, s28, v3
	v_mov_b32_e32 v6, v5
	v_mad_u64_u32 v[2:3], s[2:3], s23, v2, v[6:7]
	v_mov_b32_e32 v5, v2
	v_lshl_add_u64 v[2:3], v[4:5], 2, s[0:1]
	v_lshl_add_u64 v[0:1], v[2:3], 0, v[0:1]
	global_store_dword v[0:1], v7, off
.LBB33_15:
	s_endpgm
	.section	.rodata,"a",@progbits
	.p2align	6, 0x0
	.amdhsa_kernel _ZL23rocblas_trmm_rTx_kernelILi32ELb0EffKffEv13rocblas_fill_17rocblas_diagonal_iiT2_lPT3_llS5_llPT4_lli
		.amdhsa_group_segment_fixed_size 8192
		.amdhsa_private_segment_fixed_size 0
		.amdhsa_kernarg_size 108
		.amdhsa_user_sgpr_count 2
		.amdhsa_user_sgpr_dispatch_ptr 0
		.amdhsa_user_sgpr_queue_ptr 0
		.amdhsa_user_sgpr_kernarg_segment_ptr 1
		.amdhsa_user_sgpr_dispatch_id 0
		.amdhsa_user_sgpr_kernarg_preload_length 0
		.amdhsa_user_sgpr_kernarg_preload_offset 0
		.amdhsa_user_sgpr_private_segment_size 0
		.amdhsa_uses_dynamic_stack 0
		.amdhsa_enable_private_segment 0
		.amdhsa_system_sgpr_workgroup_id_x 1
		.amdhsa_system_sgpr_workgroup_id_y 0
		.amdhsa_system_sgpr_workgroup_id_z 1
		.amdhsa_system_sgpr_workgroup_info 0
		.amdhsa_system_vgpr_workitem_id 1
		.amdhsa_next_free_vgpr 19
		.amdhsa_next_free_sgpr 29
		.amdhsa_accum_offset 20
		.amdhsa_reserve_vcc 1
		.amdhsa_float_round_mode_32 0
		.amdhsa_float_round_mode_16_64 0
		.amdhsa_float_denorm_mode_32 3
		.amdhsa_float_denorm_mode_16_64 3
		.amdhsa_dx10_clamp 1
		.amdhsa_ieee_mode 1
		.amdhsa_fp16_overflow 0
		.amdhsa_tg_split 0
		.amdhsa_exception_fp_ieee_invalid_op 0
		.amdhsa_exception_fp_denorm_src 0
		.amdhsa_exception_fp_ieee_div_zero 0
		.amdhsa_exception_fp_ieee_overflow 0
		.amdhsa_exception_fp_ieee_underflow 0
		.amdhsa_exception_fp_ieee_inexact 0
		.amdhsa_exception_int_div_zero 0
	.end_amdhsa_kernel
	.section	.text._ZL23rocblas_trmm_rTx_kernelILi32ELb0EffKffEv13rocblas_fill_17rocblas_diagonal_iiT2_lPT3_llS5_llPT4_lli,"axG",@progbits,_ZL23rocblas_trmm_rTx_kernelILi32ELb0EffKffEv13rocblas_fill_17rocblas_diagonal_iiT2_lPT3_llS5_llPT4_lli,comdat
.Lfunc_end33:
	.size	_ZL23rocblas_trmm_rTx_kernelILi32ELb0EffKffEv13rocblas_fill_17rocblas_diagonal_iiT2_lPT3_llS5_llPT4_lli, .Lfunc_end33-_ZL23rocblas_trmm_rTx_kernelILi32ELb0EffKffEv13rocblas_fill_17rocblas_diagonal_iiT2_lPT3_llS5_llPT4_lli
                                        ; -- End function
	.set _ZL23rocblas_trmm_rTx_kernelILi32ELb0EffKffEv13rocblas_fill_17rocblas_diagonal_iiT2_lPT3_llS5_llPT4_lli.num_vgpr, 19
	.set _ZL23rocblas_trmm_rTx_kernelILi32ELb0EffKffEv13rocblas_fill_17rocblas_diagonal_iiT2_lPT3_llS5_llPT4_lli.num_agpr, 0
	.set _ZL23rocblas_trmm_rTx_kernelILi32ELb0EffKffEv13rocblas_fill_17rocblas_diagonal_iiT2_lPT3_llS5_llPT4_lli.numbered_sgpr, 29
	.set _ZL23rocblas_trmm_rTx_kernelILi32ELb0EffKffEv13rocblas_fill_17rocblas_diagonal_iiT2_lPT3_llS5_llPT4_lli.num_named_barrier, 0
	.set _ZL23rocblas_trmm_rTx_kernelILi32ELb0EffKffEv13rocblas_fill_17rocblas_diagonal_iiT2_lPT3_llS5_llPT4_lli.private_seg_size, 0
	.set _ZL23rocblas_trmm_rTx_kernelILi32ELb0EffKffEv13rocblas_fill_17rocblas_diagonal_iiT2_lPT3_llS5_llPT4_lli.uses_vcc, 1
	.set _ZL23rocblas_trmm_rTx_kernelILi32ELb0EffKffEv13rocblas_fill_17rocblas_diagonal_iiT2_lPT3_llS5_llPT4_lli.uses_flat_scratch, 0
	.set _ZL23rocblas_trmm_rTx_kernelILi32ELb0EffKffEv13rocblas_fill_17rocblas_diagonal_iiT2_lPT3_llS5_llPT4_lli.has_dyn_sized_stack, 0
	.set _ZL23rocblas_trmm_rTx_kernelILi32ELb0EffKffEv13rocblas_fill_17rocblas_diagonal_iiT2_lPT3_llS5_llPT4_lli.has_recursion, 0
	.set _ZL23rocblas_trmm_rTx_kernelILi32ELb0EffKffEv13rocblas_fill_17rocblas_diagonal_iiT2_lPT3_llS5_llPT4_lli.has_indirect_call, 0
	.section	.AMDGPU.csdata,"",@progbits
; Kernel info:
; codeLenInByte = 1172
; TotalNumSgprs: 35
; NumVgprs: 19
; NumAgprs: 0
; TotalNumVgprs: 19
; ScratchSize: 0
; MemoryBound: 0
; FloatMode: 240
; IeeeMode: 1
; LDSByteSize: 8192 bytes/workgroup (compile time only)
; SGPRBlocks: 4
; VGPRBlocks: 2
; NumSGPRsForWavesPerEU: 35
; NumVGPRsForWavesPerEU: 19
; AccumOffset: 20
; Occupancy: 8
; WaveLimiterHint : 0
; COMPUTE_PGM_RSRC2:SCRATCH_EN: 0
; COMPUTE_PGM_RSRC2:USER_SGPR: 2
; COMPUTE_PGM_RSRC2:TRAP_HANDLER: 0
; COMPUTE_PGM_RSRC2:TGID_X_EN: 1
; COMPUTE_PGM_RSRC2:TGID_Y_EN: 0
; COMPUTE_PGM_RSRC2:TGID_Z_EN: 1
; COMPUTE_PGM_RSRC2:TIDIG_COMP_CNT: 1
; COMPUTE_PGM_RSRC3_GFX90A:ACCUM_OFFSET: 4
; COMPUTE_PGM_RSRC3_GFX90A:TG_SPLIT: 0
	.section	.text._ZL23rocblas_trmm_rTx_kernelILi32ELb1EfPKfS0_fEv13rocblas_fill_17rocblas_diagonal_iiT2_lPT3_llS6_llPT4_lli,"axG",@progbits,_ZL23rocblas_trmm_rTx_kernelILi32ELb1EfPKfS0_fEv13rocblas_fill_17rocblas_diagonal_iiT2_lPT3_llS6_llPT4_lli,comdat
	.globl	_ZL23rocblas_trmm_rTx_kernelILi32ELb1EfPKfS0_fEv13rocblas_fill_17rocblas_diagonal_iiT2_lPT3_llS6_llPT4_lli ; -- Begin function _ZL23rocblas_trmm_rTx_kernelILi32ELb1EfPKfS0_fEv13rocblas_fill_17rocblas_diagonal_iiT2_lPT3_llS6_llPT4_lli
	.p2align	8
	.type	_ZL23rocblas_trmm_rTx_kernelILi32ELb1EfPKfS0_fEv13rocblas_fill_17rocblas_diagonal_iiT2_lPT3_llS6_llPT4_lli,@function
_ZL23rocblas_trmm_rTx_kernelILi32ELb1EfPKfS0_fEv13rocblas_fill_17rocblas_diagonal_iiT2_lPT3_llS6_llPT4_lli: ; @_ZL23rocblas_trmm_rTx_kernelILi32ELb1EfPKfS0_fEv13rocblas_fill_17rocblas_diagonal_iiT2_lPT3_llS6_llPT4_lli
; %bb.0:
	s_load_dwordx16 s[4:19], s[0:1], 0x10
	s_waitcnt lgkmcnt(0)
	s_mul_i32 s7, s7, s3
	s_mul_hi_u32 s20, s6, s3
	s_add_i32 s7, s20, s7
	s_mul_i32 s6, s6, s3
	s_lshl_b64 s[6:7], s[6:7], 2
	s_add_u32 s4, s4, s6
	s_addc_u32 s5, s5, s7
	s_load_dword s24, s[4:5], 0x0
	s_waitcnt lgkmcnt(0)
	v_cmp_eq_f32_e64 s[4:5], s24, 0
	s_and_b64 vcc, exec, s[4:5]
	s_cbranch_vccnz .LBB34_15
; %bb.1:
	s_load_dwordx4 s[20:23], s[0:1], 0x0
	v_and_b32_e32 v4, 0x3ff, v0
	v_bfe_u32 v2, v0, 10, 10
	v_lshlrev_b32_e32 v0, 5, v2
	v_add_lshl_u32 v3, v0, v4, 2
	s_waitcnt lgkmcnt(0)
	v_cmp_gt_i32_e32 vcc, s23, v2
	v_cmp_gt_i32_e64 s[4:5], s23, v4
	v_mov_b32_e32 v1, 0
	s_and_b64 s[6:7], vcc, s[4:5]
	v_lshlrev_b32_e32 v0, 2, v4
	ds_write2st64_b32 v3, v1, v1 offset1:16
	s_and_saveexec_b64 s[4:5], s[6:7]
	s_cbranch_execz .LBB34_3
; %bb.2:
	s_mul_i32 s6, s13, s3
	s_mul_hi_u32 s7, s12, s3
	s_add_i32 s7, s7, s6
	s_mul_i32 s6, s12, s3
	s_lshl_b64 s[6:7], s[6:7], 2
	s_add_u32 s6, s8, s6
	s_addc_u32 s7, s9, s7
	v_mad_u64_u32 v[6:7], s[8:9], s10, v2, 0
	v_mov_b32_e32 v8, v7
	v_mad_u64_u32 v[8:9], s[8:9], s11, v2, v[8:9]
	v_mov_b32_e32 v7, v8
	v_lshl_add_u64 v[6:7], v[6:7], 2, s[6:7]
	v_lshl_add_u64 v[6:7], v[6:7], 0, v[0:1]
	global_load_dword v1, v[6:7], off
	s_waitcnt vmcnt(0)
	ds_write_b32 v3, v1
.LBB34_3:
	s_or_b64 exec, exec, s[4:5]
	s_add_i32 s4, s22, -1
	s_ashr_i32 s5, s4, 31
	s_lshr_b32 s5, s5, 27
	s_add_i32 s4, s4, s5
	s_ashr_i32 s5, s4, 5
	s_andn2_b32 s4, s4, 31
	s_sub_i32 s4, s22, s4
	s_cmp_ge_i32 s2, s5
	s_cselect_b32 s4, s4, 32
	s_lshl_b32 s8, s2, 5
	v_cmp_gt_i32_e64 s[4:5], s4, v4
	s_ashr_i32 s9, s8, 31
	s_and_b64 s[4:5], vcc, s[4:5]
	s_and_saveexec_b64 s[6:7], s[4:5]
	s_cbranch_execz .LBB34_5
; %bb.4:
	s_mul_i32 s2, s19, s3
	s_mul_hi_u32 s10, s18, s3
	s_add_i32 s11, s10, s2
	s_mul_i32 s10, s18, s3
	s_lshl_b64 s[10:11], s[10:11], 2
	s_add_u32 s2, s14, s10
	s_addc_u32 s12, s15, s11
	s_lshl_b64 s[10:11], s[8:9], 2
	s_add_u32 s10, s2, s10
	s_addc_u32 s11, s12, s11
	v_mad_u64_u32 v[6:7], s[12:13], s16, v2, 0
	v_mov_b32_e32 v8, v7
	v_mad_u64_u32 v[8:9], s[12:13], s17, v2, v[8:9]
	v_mov_b32_e32 v7, v8
	v_lshl_add_u64 v[6:7], v[6:7], 2, s[10:11]
	v_mov_b32_e32 v1, 0
	v_lshl_add_u64 v[6:7], v[6:7], 0, v[0:1]
	global_load_dword v1, v[6:7], off
	v_add_u32_e32 v5, 0x1000, v3
	s_waitcnt vmcnt(0)
	ds_write_b32 v5, v1
.LBB34_5:
	s_or_b64 exec, exec, s[6:7]
	s_cmpk_eq_i32 s21, 0x84
	s_cselect_b64 s[6:7], -1, 0
	v_cmp_eq_u32_e32 vcc, v2, v4
	s_and_b64 s[10:11], vcc, s[6:7]
	s_and_saveexec_b64 s[6:7], s[10:11]
; %bb.6:
	v_mov_b32_e32 v1, 1.0
	ds_write_b32 v3, v1
; %bb.7:
	s_or_b64 exec, exec, s[6:7]
	s_cmpk_lg_i32 s20, 0x79
	s_cbranch_scc0 .LBB34_9
; %bb.8:
	v_cmp_lt_u32_e32 vcc, v4, v2
	s_and_b64 s[6:7], vcc, exec
	s_cbranch_execz .LBB34_10
	s_branch .LBB34_11
.LBB34_9:
	s_mov_b64 s[6:7], 0
.LBB34_10:
	v_cmp_gt_u32_e32 vcc, v4, v2
	s_andn2_b64 s[6:7], s[6:7], exec
	s_and_b64 s[10:11], vcc, exec
	s_or_b64 s[6:7], s[6:7], s[10:11]
.LBB34_11:
	s_and_saveexec_b64 s[10:11], s[6:7]
; %bb.12:
	v_mov_b32_e32 v1, 0
	ds_write_b32 v3, v1
; %bb.13:
	s_or_b64 exec, exec, s[10:11]
	s_waitcnt lgkmcnt(0)
	s_barrier
	s_and_saveexec_b64 s[6:7], s[4:5]
	s_cbranch_execz .LBB34_15
; %bb.14:
	v_add_u32_e32 v3, 0x1000, v0
	v_lshlrev_b32_e32 v16, 2, v2
	s_load_dwordx2 s[10:11], s[0:1], 0x60
	s_load_dwordx4 s[4:7], s[0:1], 0x50
	ds_read2_b32 v[4:5], v3 offset1:32
	ds_read2_b32 v[6:7], v16 offset1:32
	v_add_u32_e32 v18, 0x400, v16
	s_waitcnt lgkmcnt(0)
	s_mul_i32 s1, s11, s3
	s_mul_hi_u32 s2, s10, s3
	s_mul_i32 s0, s10, s3
	v_fma_f32 v17, v4, v6, 0
	v_fmac_f32_e32 v17, v5, v7
	ds_read2_b32 v[4:5], v3 offset0:64 offset1:96
	ds_read2_b32 v[6:7], v16 offset0:64 offset1:96
	;; [unrolled: 1-line block ×6, first 2 shown]
	s_waitcnt lgkmcnt(4)
	v_fmac_f32_e32 v17, v4, v6
	v_add_u32_e32 v3, 0x1400, v0
	v_fmac_f32_e32 v17, v5, v7
	ds_read2_b32 v[4:5], v3 offset1:32
	s_waitcnt lgkmcnt(3)
	v_fmac_f32_e32 v17, v8, v10
	v_fmac_f32_e32 v17, v9, v11
	s_waitcnt lgkmcnt(1)
	v_fmac_f32_e32 v17, v12, v14
	v_fmac_f32_e32 v17, v13, v15
	ds_read2_b32 v[6:7], v18 offset1:32
	ds_read2_b32 v[8:9], v3 offset0:64 offset1:96
	ds_read2_b32 v[10:11], v18 offset0:64 offset1:96
	;; [unrolled: 1-line block ×4, first 2 shown]
	s_waitcnt lgkmcnt(4)
	v_fmac_f32_e32 v17, v4, v6
	v_fmac_f32_e32 v17, v5, v7
	s_waitcnt lgkmcnt(2)
	v_fmac_f32_e32 v17, v8, v10
	v_fmac_f32_e32 v17, v9, v11
	ds_read2_b32 v[4:5], v3 offset0:192 offset1:224
	ds_read2_b32 v[6:7], v18 offset0:192 offset1:224
	s_waitcnt lgkmcnt(2)
	v_fmac_f32_e32 v17, v12, v14
	v_add_u32_e32 v3, 0x1800, v0
	v_add_u32_e32 v14, 0x800, v16
	ds_read2_b32 v[8:9], v3 offset1:32
	ds_read2_b32 v[10:11], v14 offset1:32
	v_fmac_f32_e32 v17, v13, v15
	s_waitcnt lgkmcnt(2)
	v_fmac_f32_e32 v17, v4, v6
	v_fmac_f32_e32 v17, v5, v7
	ds_read2_b32 v[4:5], v3 offset0:64 offset1:96
	ds_read2_b32 v[6:7], v14 offset0:64 offset1:96
	s_waitcnt lgkmcnt(2)
	v_fmac_f32_e32 v17, v8, v10
	v_fmac_f32_e32 v17, v9, v11
	ds_read2_b32 v[8:9], v3 offset0:128 offset1:160
	ds_read2_b32 v[10:11], v14 offset0:128 offset1:160
	;; [unrolled: 1-line block ×4, first 2 shown]
	s_waitcnt lgkmcnt(4)
	v_fmac_f32_e32 v17, v4, v6
	v_fmac_f32_e32 v17, v5, v7
	s_add_i32 s1, s2, s1
	s_waitcnt lgkmcnt(2)
	v_pk_mul_f32 v[4:5], v[8:9], v[10:11]
	s_lshl_b64 s[0:1], s[0:1], 2
	v_add_f32_e32 v3, v17, v4
	v_add_f32_e32 v3, v3, v5
	s_waitcnt lgkmcnt(0)
	v_pk_mul_f32 v[4:5], v[12:13], v[14:15]
	v_add_u32_e32 v14, 0x1c00, v0
	v_add_u32_e32 v15, 0xc00, v16
	ds_read2_b32 v[6:7], v14 offset1:32
	ds_read2_b32 v[8:9], v15 offset1:32
	ds_read2_b32 v[10:11], v14 offset0:64 offset1:96
	ds_read2_b32 v[12:13], v15 offset0:64 offset1:96
	v_add_f32_e32 v3, v3, v4
	v_add_f32_e32 v3, v3, v5
	s_add_u32 s2, s4, s0
	s_waitcnt lgkmcnt(2)
	v_pk_mul_f32 v[4:5], v[6:7], v[8:9]
	ds_read2_b32 v[6:7], v14 offset0:128 offset1:160
	ds_read2_b32 v[8:9], v15 offset0:128 offset1:160
	v_add_f32_e32 v3, v3, v4
	v_add_f32_e32 v3, v3, v5
	s_waitcnt lgkmcnt(2)
	v_pk_mul_f32 v[4:5], v[10:11], v[12:13]
	ds_read2_b32 v[10:11], v14 offset0:192 offset1:224
	ds_read2_b32 v[12:13], v15 offset0:192 offset1:224
	v_add_f32_e32 v3, v3, v4
	v_add_f32_e32 v3, v3, v5
	s_waitcnt lgkmcnt(2)
	v_pk_mul_f32 v[4:5], v[6:7], v[8:9]
	s_addc_u32 s3, s5, s1
	v_add_f32_e32 v3, v3, v4
	s_lshl_b64 s[0:1], s[8:9], 2
	v_add_f32_e32 v3, v3, v5
	s_waitcnt lgkmcnt(0)
	v_pk_mul_f32 v[4:5], v[10:11], v[12:13]
	s_add_u32 s0, s2, s0
	v_add_f32_e32 v3, v3, v4
	s_addc_u32 s1, s3, s1
	v_add_f32_e32 v3, v3, v5
	v_mad_u64_u32 v[4:5], s[2:3], s6, v2, 0
	v_mul_f32_e32 v7, s24, v3
	v_mov_b32_e32 v6, v5
	v_mad_u64_u32 v[2:3], s[2:3], s7, v2, v[6:7]
	v_mov_b32_e32 v5, v2
	v_mov_b32_e32 v1, 0
	v_lshl_add_u64 v[2:3], v[4:5], 2, s[0:1]
	v_lshl_add_u64 v[0:1], v[2:3], 0, v[0:1]
	global_store_dword v[0:1], v7, off
.LBB34_15:
	s_endpgm
	.section	.rodata,"a",@progbits
	.p2align	6, 0x0
	.amdhsa_kernel _ZL23rocblas_trmm_rTx_kernelILi32ELb1EfPKfS0_fEv13rocblas_fill_17rocblas_diagonal_iiT2_lPT3_llS6_llPT4_lli
		.amdhsa_group_segment_fixed_size 8192
		.amdhsa_private_segment_fixed_size 0
		.amdhsa_kernarg_size 108
		.amdhsa_user_sgpr_count 2
		.amdhsa_user_sgpr_dispatch_ptr 0
		.amdhsa_user_sgpr_queue_ptr 0
		.amdhsa_user_sgpr_kernarg_segment_ptr 1
		.amdhsa_user_sgpr_dispatch_id 0
		.amdhsa_user_sgpr_kernarg_preload_length 0
		.amdhsa_user_sgpr_kernarg_preload_offset 0
		.amdhsa_user_sgpr_private_segment_size 0
		.amdhsa_uses_dynamic_stack 0
		.amdhsa_enable_private_segment 0
		.amdhsa_system_sgpr_workgroup_id_x 1
		.amdhsa_system_sgpr_workgroup_id_y 0
		.amdhsa_system_sgpr_workgroup_id_z 1
		.amdhsa_system_sgpr_workgroup_info 0
		.amdhsa_system_vgpr_workitem_id 1
		.amdhsa_next_free_vgpr 19
		.amdhsa_next_free_sgpr 25
		.amdhsa_accum_offset 20
		.amdhsa_reserve_vcc 1
		.amdhsa_float_round_mode_32 0
		.amdhsa_float_round_mode_16_64 0
		.amdhsa_float_denorm_mode_32 3
		.amdhsa_float_denorm_mode_16_64 3
		.amdhsa_dx10_clamp 1
		.amdhsa_ieee_mode 1
		.amdhsa_fp16_overflow 0
		.amdhsa_tg_split 0
		.amdhsa_exception_fp_ieee_invalid_op 0
		.amdhsa_exception_fp_denorm_src 0
		.amdhsa_exception_fp_ieee_div_zero 0
		.amdhsa_exception_fp_ieee_overflow 0
		.amdhsa_exception_fp_ieee_underflow 0
		.amdhsa_exception_fp_ieee_inexact 0
		.amdhsa_exception_int_div_zero 0
	.end_amdhsa_kernel
	.section	.text._ZL23rocblas_trmm_rTx_kernelILi32ELb1EfPKfS0_fEv13rocblas_fill_17rocblas_diagonal_iiT2_lPT3_llS6_llPT4_lli,"axG",@progbits,_ZL23rocblas_trmm_rTx_kernelILi32ELb1EfPKfS0_fEv13rocblas_fill_17rocblas_diagonal_iiT2_lPT3_llS6_llPT4_lli,comdat
.Lfunc_end34:
	.size	_ZL23rocblas_trmm_rTx_kernelILi32ELb1EfPKfS0_fEv13rocblas_fill_17rocblas_diagonal_iiT2_lPT3_llS6_llPT4_lli, .Lfunc_end34-_ZL23rocblas_trmm_rTx_kernelILi32ELb1EfPKfS0_fEv13rocblas_fill_17rocblas_diagonal_iiT2_lPT3_llS6_llPT4_lli
                                        ; -- End function
	.set _ZL23rocblas_trmm_rTx_kernelILi32ELb1EfPKfS0_fEv13rocblas_fill_17rocblas_diagonal_iiT2_lPT3_llS6_llPT4_lli.num_vgpr, 19
	.set _ZL23rocblas_trmm_rTx_kernelILi32ELb1EfPKfS0_fEv13rocblas_fill_17rocblas_diagonal_iiT2_lPT3_llS6_llPT4_lli.num_agpr, 0
	.set _ZL23rocblas_trmm_rTx_kernelILi32ELb1EfPKfS0_fEv13rocblas_fill_17rocblas_diagonal_iiT2_lPT3_llS6_llPT4_lli.numbered_sgpr, 25
	.set _ZL23rocblas_trmm_rTx_kernelILi32ELb1EfPKfS0_fEv13rocblas_fill_17rocblas_diagonal_iiT2_lPT3_llS6_llPT4_lli.num_named_barrier, 0
	.set _ZL23rocblas_trmm_rTx_kernelILi32ELb1EfPKfS0_fEv13rocblas_fill_17rocblas_diagonal_iiT2_lPT3_llS6_llPT4_lli.private_seg_size, 0
	.set _ZL23rocblas_trmm_rTx_kernelILi32ELb1EfPKfS0_fEv13rocblas_fill_17rocblas_diagonal_iiT2_lPT3_llS6_llPT4_lli.uses_vcc, 1
	.set _ZL23rocblas_trmm_rTx_kernelILi32ELb1EfPKfS0_fEv13rocblas_fill_17rocblas_diagonal_iiT2_lPT3_llS6_llPT4_lli.uses_flat_scratch, 0
	.set _ZL23rocblas_trmm_rTx_kernelILi32ELb1EfPKfS0_fEv13rocblas_fill_17rocblas_diagonal_iiT2_lPT3_llS6_llPT4_lli.has_dyn_sized_stack, 0
	.set _ZL23rocblas_trmm_rTx_kernelILi32ELb1EfPKfS0_fEv13rocblas_fill_17rocblas_diagonal_iiT2_lPT3_llS6_llPT4_lli.has_recursion, 0
	.set _ZL23rocblas_trmm_rTx_kernelILi32ELb1EfPKfS0_fEv13rocblas_fill_17rocblas_diagonal_iiT2_lPT3_llS6_llPT4_lli.has_indirect_call, 0
	.section	.AMDGPU.csdata,"",@progbits
; Kernel info:
; codeLenInByte = 1212
; TotalNumSgprs: 31
; NumVgprs: 19
; NumAgprs: 0
; TotalNumVgprs: 19
; ScratchSize: 0
; MemoryBound: 0
; FloatMode: 240
; IeeeMode: 1
; LDSByteSize: 8192 bytes/workgroup (compile time only)
; SGPRBlocks: 3
; VGPRBlocks: 2
; NumSGPRsForWavesPerEU: 31
; NumVGPRsForWavesPerEU: 19
; AccumOffset: 20
; Occupancy: 8
; WaveLimiterHint : 0
; COMPUTE_PGM_RSRC2:SCRATCH_EN: 0
; COMPUTE_PGM_RSRC2:USER_SGPR: 2
; COMPUTE_PGM_RSRC2:TRAP_HANDLER: 0
; COMPUTE_PGM_RSRC2:TGID_X_EN: 1
; COMPUTE_PGM_RSRC2:TGID_Y_EN: 0
; COMPUTE_PGM_RSRC2:TGID_Z_EN: 1
; COMPUTE_PGM_RSRC2:TIDIG_COMP_CNT: 1
; COMPUTE_PGM_RSRC3_GFX90A:ACCUM_OFFSET: 4
; COMPUTE_PGM_RSRC3_GFX90A:TG_SPLIT: 0
	.section	.text._ZL23rocblas_trmm_rTx_kernelILi32ELb1EffKffEv13rocblas_fill_17rocblas_diagonal_iiT2_lPT3_llS5_llPT4_lli,"axG",@progbits,_ZL23rocblas_trmm_rTx_kernelILi32ELb1EffKffEv13rocblas_fill_17rocblas_diagonal_iiT2_lPT3_llS5_llPT4_lli,comdat
	.globl	_ZL23rocblas_trmm_rTx_kernelILi32ELb1EffKffEv13rocblas_fill_17rocblas_diagonal_iiT2_lPT3_llS5_llPT4_lli ; -- Begin function _ZL23rocblas_trmm_rTx_kernelILi32ELb1EffKffEv13rocblas_fill_17rocblas_diagonal_iiT2_lPT3_llS5_llPT4_lli
	.p2align	8
	.type	_ZL23rocblas_trmm_rTx_kernelILi32ELb1EffKffEv13rocblas_fill_17rocblas_diagonal_iiT2_lPT3_llS5_llPT4_lli,@function
_ZL23rocblas_trmm_rTx_kernelILi32ELb1EffKffEv13rocblas_fill_17rocblas_diagonal_iiT2_lPT3_llS5_llPT4_lli: ; @_ZL23rocblas_trmm_rTx_kernelILi32ELb1EffKffEv13rocblas_fill_17rocblas_diagonal_iiT2_lPT3_llS5_llPT4_lli
; %bb.0:
	s_load_dword s28, s[0:1], 0x10
	s_waitcnt lgkmcnt(0)
	v_cmp_eq_f32_e64 s[4:5], s28, 0
	s_and_b64 vcc, exec, s[4:5]
	s_cbranch_vccnz .LBB35_15
; %bb.1:
	s_load_dwordx4 s[24:27], s[0:1], 0x0
	s_load_dwordx16 s[8:23], s[0:1], 0x20
	v_and_b32_e32 v4, 0x3ff, v0
	v_bfe_u32 v2, v0, 10, 10
	v_lshlrev_b32_e32 v0, 5, v2
	s_waitcnt lgkmcnt(0)
	v_cmp_gt_i32_e32 vcc, s27, v2
	v_cmp_gt_i32_e64 s[4:5], s27, v4
	v_add_lshl_u32 v3, v0, v4, 2
	v_mov_b32_e32 v1, 0
	s_and_b64 s[6:7], vcc, s[4:5]
	v_lshlrev_b32_e32 v0, 2, v4
	ds_write2st64_b32 v3, v1, v1 offset1:16
	s_and_saveexec_b64 s[4:5], s[6:7]
	s_cbranch_execz .LBB35_3
; %bb.2:
	s_mul_i32 s6, s13, s3
	s_mul_hi_u32 s7, s12, s3
	s_add_i32 s7, s7, s6
	s_mul_i32 s6, s12, s3
	s_lshl_b64 s[6:7], s[6:7], 2
	s_add_u32 s6, s8, s6
	s_addc_u32 s7, s9, s7
	v_mad_u64_u32 v[6:7], s[8:9], s10, v2, 0
	v_mov_b32_e32 v8, v7
	v_mad_u64_u32 v[8:9], s[8:9], s11, v2, v[8:9]
	v_mov_b32_e32 v7, v8
	v_lshl_add_u64 v[6:7], v[6:7], 2, s[6:7]
	v_lshl_add_u64 v[6:7], v[6:7], 0, v[0:1]
	global_load_dword v1, v[6:7], off
	s_waitcnt vmcnt(0)
	ds_write_b32 v3, v1
.LBB35_3:
	s_or_b64 exec, exec, s[4:5]
	s_add_i32 s4, s26, -1
	s_ashr_i32 s5, s4, 31
	s_lshr_b32 s5, s5, 27
	s_add_i32 s4, s4, s5
	s_ashr_i32 s5, s4, 5
	s_andn2_b32 s4, s4, 31
	s_sub_i32 s4, s26, s4
	s_cmp_ge_i32 s2, s5
	s_cselect_b32 s4, s4, 32
	s_lshl_b32 s6, s2, 5
	v_cmp_gt_i32_e64 s[4:5], s4, v4
	s_ashr_i32 s7, s6, 31
	s_and_b64 s[4:5], vcc, s[4:5]
	s_and_saveexec_b64 s[8:9], s[4:5]
	s_cbranch_execz .LBB35_5
; %bb.4:
	s_mul_i32 s2, s19, s3
	s_mul_hi_u32 s10, s18, s3
	s_add_i32 s11, s10, s2
	s_mul_i32 s10, s18, s3
	s_lshl_b64 s[10:11], s[10:11], 2
	s_add_u32 s2, s14, s10
	s_addc_u32 s12, s15, s11
	s_lshl_b64 s[10:11], s[6:7], 2
	s_add_u32 s10, s2, s10
	s_addc_u32 s11, s12, s11
	v_mad_u64_u32 v[6:7], s[12:13], s16, v2, 0
	v_mov_b32_e32 v8, v7
	v_mad_u64_u32 v[8:9], s[12:13], s17, v2, v[8:9]
	v_mov_b32_e32 v7, v8
	v_lshl_add_u64 v[6:7], v[6:7], 2, s[10:11]
	v_mov_b32_e32 v1, 0
	v_lshl_add_u64 v[6:7], v[6:7], 0, v[0:1]
	global_load_dword v1, v[6:7], off
	v_add_u32_e32 v5, 0x1000, v3
	s_waitcnt vmcnt(0)
	ds_write_b32 v5, v1
.LBB35_5:
	s_or_b64 exec, exec, s[8:9]
	s_cmpk_eq_i32 s25, 0x84
	s_cselect_b64 s[8:9], -1, 0
	v_cmp_eq_u32_e32 vcc, v2, v4
	s_and_b64 s[10:11], vcc, s[8:9]
	s_and_saveexec_b64 s[8:9], s[10:11]
; %bb.6:
	v_mov_b32_e32 v1, 1.0
	ds_write_b32 v3, v1
; %bb.7:
	s_or_b64 exec, exec, s[8:9]
	s_cmpk_lg_i32 s24, 0x79
	s_cbranch_scc0 .LBB35_9
; %bb.8:
	v_cmp_lt_u32_e32 vcc, v4, v2
	s_and_b64 s[8:9], vcc, exec
	s_cbranch_execz .LBB35_10
	s_branch .LBB35_11
.LBB35_9:
	s_mov_b64 s[8:9], 0
.LBB35_10:
	v_cmp_gt_u32_e32 vcc, v4, v2
	s_andn2_b64 s[8:9], s[8:9], exec
	s_and_b64 s[10:11], vcc, exec
	s_or_b64 s[8:9], s[8:9], s[10:11]
.LBB35_11:
	s_and_saveexec_b64 s[10:11], s[8:9]
; %bb.12:
	v_mov_b32_e32 v1, 0
	ds_write_b32 v3, v1
; %bb.13:
	s_or_b64 exec, exec, s[10:11]
	s_waitcnt lgkmcnt(0)
	s_barrier
	s_and_saveexec_b64 s[8:9], s[4:5]
	s_cbranch_execz .LBB35_15
; %bb.14:
	v_add_u32_e32 v3, 0x1000, v0
	v_lshlrev_b32_e32 v16, 2, v2
	ds_read2_b32 v[4:5], v3 offset1:32
	ds_read2_b32 v[6:7], v16 offset1:32
	v_add_u32_e32 v18, 0x400, v16
	s_load_dwordx2 s[0:1], s[0:1], 0x60
	v_mov_b32_e32 v1, 0
	s_waitcnt lgkmcnt(0)
	v_fma_f32 v17, v4, v6, 0
	v_fmac_f32_e32 v17, v5, v7
	ds_read2_b32 v[4:5], v3 offset0:64 offset1:96
	ds_read2_b32 v[6:7], v16 offset0:64 offset1:96
	;; [unrolled: 1-line block ×6, first 2 shown]
	s_waitcnt lgkmcnt(4)
	v_fmac_f32_e32 v17, v4, v6
	v_add_u32_e32 v3, 0x1400, v0
	v_fmac_f32_e32 v17, v5, v7
	ds_read2_b32 v[4:5], v3 offset1:32
	s_waitcnt lgkmcnt(3)
	v_fmac_f32_e32 v17, v8, v10
	v_fmac_f32_e32 v17, v9, v11
	s_waitcnt lgkmcnt(1)
	v_fmac_f32_e32 v17, v12, v14
	v_fmac_f32_e32 v17, v13, v15
	ds_read2_b32 v[6:7], v18 offset1:32
	ds_read2_b32 v[8:9], v3 offset0:64 offset1:96
	ds_read2_b32 v[10:11], v18 offset0:64 offset1:96
	;; [unrolled: 1-line block ×4, first 2 shown]
	s_waitcnt lgkmcnt(4)
	v_fmac_f32_e32 v17, v4, v6
	v_fmac_f32_e32 v17, v5, v7
	s_waitcnt lgkmcnt(2)
	v_fmac_f32_e32 v17, v8, v10
	v_fmac_f32_e32 v17, v9, v11
	ds_read2_b32 v[4:5], v3 offset0:192 offset1:224
	ds_read2_b32 v[6:7], v18 offset0:192 offset1:224
	s_waitcnt lgkmcnt(2)
	v_fmac_f32_e32 v17, v12, v14
	v_add_u32_e32 v3, 0x1800, v0
	v_add_u32_e32 v14, 0x800, v16
	ds_read2_b32 v[8:9], v3 offset1:32
	ds_read2_b32 v[10:11], v14 offset1:32
	v_fmac_f32_e32 v17, v13, v15
	s_waitcnt lgkmcnt(2)
	v_fmac_f32_e32 v17, v4, v6
	v_fmac_f32_e32 v17, v5, v7
	ds_read2_b32 v[4:5], v3 offset0:64 offset1:96
	ds_read2_b32 v[6:7], v14 offset0:64 offset1:96
	s_waitcnt lgkmcnt(2)
	v_fmac_f32_e32 v17, v8, v10
	v_fmac_f32_e32 v17, v9, v11
	ds_read2_b32 v[8:9], v3 offset0:128 offset1:160
	ds_read2_b32 v[10:11], v14 offset0:128 offset1:160
	ds_read2_b32 v[12:13], v3 offset0:192 offset1:224
	ds_read2_b32 v[14:15], v14 offset0:192 offset1:224
	s_waitcnt lgkmcnt(4)
	v_fmac_f32_e32 v17, v4, v6
	v_fmac_f32_e32 v17, v5, v7
	s_mul_i32 s1, s1, s3
	s_waitcnt lgkmcnt(2)
	v_pk_mul_f32 v[4:5], v[8:9], v[10:11]
	s_mul_hi_u32 s2, s0, s3
	v_add_f32_e32 v3, v17, v4
	v_add_f32_e32 v3, v3, v5
	s_waitcnt lgkmcnt(0)
	v_pk_mul_f32 v[4:5], v[12:13], v[14:15]
	v_add_u32_e32 v14, 0x1c00, v0
	v_add_u32_e32 v15, 0xc00, v16
	ds_read2_b32 v[6:7], v14 offset1:32
	ds_read2_b32 v[8:9], v15 offset1:32
	ds_read2_b32 v[10:11], v14 offset0:64 offset1:96
	ds_read2_b32 v[12:13], v15 offset0:64 offset1:96
	v_add_f32_e32 v3, v3, v4
	v_add_f32_e32 v3, v3, v5
	s_mul_i32 s0, s0, s3
	s_waitcnt lgkmcnt(2)
	v_pk_mul_f32 v[4:5], v[6:7], v[8:9]
	ds_read2_b32 v[6:7], v14 offset0:128 offset1:160
	ds_read2_b32 v[8:9], v15 offset0:128 offset1:160
	v_add_f32_e32 v3, v3, v4
	v_add_f32_e32 v3, v3, v5
	s_waitcnt lgkmcnt(2)
	v_pk_mul_f32 v[4:5], v[10:11], v[12:13]
	ds_read2_b32 v[10:11], v14 offset0:192 offset1:224
	ds_read2_b32 v[12:13], v15 offset0:192 offset1:224
	s_add_i32 s1, s2, s1
	v_add_f32_e32 v3, v3, v4
	s_lshl_b64 s[0:1], s[0:1], 2
	v_add_f32_e32 v3, v3, v5
	s_waitcnt lgkmcnt(2)
	v_pk_mul_f32 v[4:5], v[6:7], v[8:9]
	s_add_u32 s2, s20, s0
	v_add_f32_e32 v3, v3, v4
	s_addc_u32 s3, s21, s1
	s_lshl_b64 s[0:1], s[6:7], 2
	v_add_f32_e32 v3, v3, v5
	s_waitcnt lgkmcnt(0)
	v_pk_mul_f32 v[4:5], v[10:11], v[12:13]
	s_add_u32 s0, s2, s0
	v_add_f32_e32 v3, v3, v4
	s_addc_u32 s1, s3, s1
	v_add_f32_e32 v3, v3, v5
	v_mad_u64_u32 v[4:5], s[2:3], s22, v2, 0
	v_mul_f32_e32 v7, s28, v3
	v_mov_b32_e32 v6, v5
	v_mad_u64_u32 v[2:3], s[2:3], s23, v2, v[6:7]
	v_mov_b32_e32 v5, v2
	v_lshl_add_u64 v[2:3], v[4:5], 2, s[0:1]
	v_lshl_add_u64 v[0:1], v[2:3], 0, v[0:1]
	global_store_dword v[0:1], v7, off
.LBB35_15:
	s_endpgm
	.section	.rodata,"a",@progbits
	.p2align	6, 0x0
	.amdhsa_kernel _ZL23rocblas_trmm_rTx_kernelILi32ELb1EffKffEv13rocblas_fill_17rocblas_diagonal_iiT2_lPT3_llS5_llPT4_lli
		.amdhsa_group_segment_fixed_size 8192
		.amdhsa_private_segment_fixed_size 0
		.amdhsa_kernarg_size 108
		.amdhsa_user_sgpr_count 2
		.amdhsa_user_sgpr_dispatch_ptr 0
		.amdhsa_user_sgpr_queue_ptr 0
		.amdhsa_user_sgpr_kernarg_segment_ptr 1
		.amdhsa_user_sgpr_dispatch_id 0
		.amdhsa_user_sgpr_kernarg_preload_length 0
		.amdhsa_user_sgpr_kernarg_preload_offset 0
		.amdhsa_user_sgpr_private_segment_size 0
		.amdhsa_uses_dynamic_stack 0
		.amdhsa_enable_private_segment 0
		.amdhsa_system_sgpr_workgroup_id_x 1
		.amdhsa_system_sgpr_workgroup_id_y 0
		.amdhsa_system_sgpr_workgroup_id_z 1
		.amdhsa_system_sgpr_workgroup_info 0
		.amdhsa_system_vgpr_workitem_id 1
		.amdhsa_next_free_vgpr 19
		.amdhsa_next_free_sgpr 29
		.amdhsa_accum_offset 20
		.amdhsa_reserve_vcc 1
		.amdhsa_float_round_mode_32 0
		.amdhsa_float_round_mode_16_64 0
		.amdhsa_float_denorm_mode_32 3
		.amdhsa_float_denorm_mode_16_64 3
		.amdhsa_dx10_clamp 1
		.amdhsa_ieee_mode 1
		.amdhsa_fp16_overflow 0
		.amdhsa_tg_split 0
		.amdhsa_exception_fp_ieee_invalid_op 0
		.amdhsa_exception_fp_denorm_src 0
		.amdhsa_exception_fp_ieee_div_zero 0
		.amdhsa_exception_fp_ieee_overflow 0
		.amdhsa_exception_fp_ieee_underflow 0
		.amdhsa_exception_fp_ieee_inexact 0
		.amdhsa_exception_int_div_zero 0
	.end_amdhsa_kernel
	.section	.text._ZL23rocblas_trmm_rTx_kernelILi32ELb1EffKffEv13rocblas_fill_17rocblas_diagonal_iiT2_lPT3_llS5_llPT4_lli,"axG",@progbits,_ZL23rocblas_trmm_rTx_kernelILi32ELb1EffKffEv13rocblas_fill_17rocblas_diagonal_iiT2_lPT3_llS5_llPT4_lli,comdat
.Lfunc_end35:
	.size	_ZL23rocblas_trmm_rTx_kernelILi32ELb1EffKffEv13rocblas_fill_17rocblas_diagonal_iiT2_lPT3_llS5_llPT4_lli, .Lfunc_end35-_ZL23rocblas_trmm_rTx_kernelILi32ELb1EffKffEv13rocblas_fill_17rocblas_diagonal_iiT2_lPT3_llS5_llPT4_lli
                                        ; -- End function
	.set _ZL23rocblas_trmm_rTx_kernelILi32ELb1EffKffEv13rocblas_fill_17rocblas_diagonal_iiT2_lPT3_llS5_llPT4_lli.num_vgpr, 19
	.set _ZL23rocblas_trmm_rTx_kernelILi32ELb1EffKffEv13rocblas_fill_17rocblas_diagonal_iiT2_lPT3_llS5_llPT4_lli.num_agpr, 0
	.set _ZL23rocblas_trmm_rTx_kernelILi32ELb1EffKffEv13rocblas_fill_17rocblas_diagonal_iiT2_lPT3_llS5_llPT4_lli.numbered_sgpr, 29
	.set _ZL23rocblas_trmm_rTx_kernelILi32ELb1EffKffEv13rocblas_fill_17rocblas_diagonal_iiT2_lPT3_llS5_llPT4_lli.num_named_barrier, 0
	.set _ZL23rocblas_trmm_rTx_kernelILi32ELb1EffKffEv13rocblas_fill_17rocblas_diagonal_iiT2_lPT3_llS5_llPT4_lli.private_seg_size, 0
	.set _ZL23rocblas_trmm_rTx_kernelILi32ELb1EffKffEv13rocblas_fill_17rocblas_diagonal_iiT2_lPT3_llS5_llPT4_lli.uses_vcc, 1
	.set _ZL23rocblas_trmm_rTx_kernelILi32ELb1EffKffEv13rocblas_fill_17rocblas_diagonal_iiT2_lPT3_llS5_llPT4_lli.uses_flat_scratch, 0
	.set _ZL23rocblas_trmm_rTx_kernelILi32ELb1EffKffEv13rocblas_fill_17rocblas_diagonal_iiT2_lPT3_llS5_llPT4_lli.has_dyn_sized_stack, 0
	.set _ZL23rocblas_trmm_rTx_kernelILi32ELb1EffKffEv13rocblas_fill_17rocblas_diagonal_iiT2_lPT3_llS5_llPT4_lli.has_recursion, 0
	.set _ZL23rocblas_trmm_rTx_kernelILi32ELb1EffKffEv13rocblas_fill_17rocblas_diagonal_iiT2_lPT3_llS5_llPT4_lli.has_indirect_call, 0
	.section	.AMDGPU.csdata,"",@progbits
; Kernel info:
; codeLenInByte = 1172
; TotalNumSgprs: 35
; NumVgprs: 19
; NumAgprs: 0
; TotalNumVgprs: 19
; ScratchSize: 0
; MemoryBound: 0
; FloatMode: 240
; IeeeMode: 1
; LDSByteSize: 8192 bytes/workgroup (compile time only)
; SGPRBlocks: 4
; VGPRBlocks: 2
; NumSGPRsForWavesPerEU: 35
; NumVGPRsForWavesPerEU: 19
; AccumOffset: 20
; Occupancy: 8
; WaveLimiterHint : 0
; COMPUTE_PGM_RSRC2:SCRATCH_EN: 0
; COMPUTE_PGM_RSRC2:USER_SGPR: 2
; COMPUTE_PGM_RSRC2:TRAP_HANDLER: 0
; COMPUTE_PGM_RSRC2:TGID_X_EN: 1
; COMPUTE_PGM_RSRC2:TGID_Y_EN: 0
; COMPUTE_PGM_RSRC2:TGID_Z_EN: 1
; COMPUTE_PGM_RSRC2:TIDIG_COMP_CNT: 1
; COMPUTE_PGM_RSRC3_GFX90A:ACCUM_OFFSET: 4
; COMPUTE_PGM_RSRC3_GFX90A:TG_SPLIT: 0
	.section	.text._ZL30rocblas_trmm_outofplace_kernelIdLi32ELi2ELb1ELb0ELb0ELb0EPKdS0_dEv17rocblas_diagonal_iiT6_lPT7_lllS5_lllPT8_llli,"axG",@progbits,_ZL30rocblas_trmm_outofplace_kernelIdLi32ELi2ELb1ELb0ELb0ELb0EPKdS0_dEv17rocblas_diagonal_iiT6_lPT7_lllS5_lllPT8_llli,comdat
	.globl	_ZL30rocblas_trmm_outofplace_kernelIdLi32ELi2ELb1ELb0ELb0ELb0EPKdS0_dEv17rocblas_diagonal_iiT6_lPT7_lllS5_lllPT8_llli ; -- Begin function _ZL30rocblas_trmm_outofplace_kernelIdLi32ELi2ELb1ELb0ELb0ELb0EPKdS0_dEv17rocblas_diagonal_iiT6_lPT7_lllS5_lllPT8_llli
	.p2align	8
	.type	_ZL30rocblas_trmm_outofplace_kernelIdLi32ELi2ELb1ELb0ELb0ELb0EPKdS0_dEv17rocblas_diagonal_iiT6_lPT7_lllS5_lllPT8_llli,@function
_ZL30rocblas_trmm_outofplace_kernelIdLi32ELi2ELb1ELb0ELb0ELb0EPKdS0_dEv17rocblas_diagonal_iiT6_lPT7_lllS5_lllPT8_llli: ; @_ZL30rocblas_trmm_outofplace_kernelIdLi32ELi2ELb1ELb0ELb0ELb0EPKdS0_dEv17rocblas_diagonal_iiT6_lPT7_lllS5_lllPT8_llli
; %bb.0:
	s_load_dwordx16 s[36:51], s[0:1], 0x10
	s_waitcnt lgkmcnt(0)
	s_mul_i32 s5, s39, s4
	s_mul_hi_u32 s6, s38, s4
	s_add_i32 s7, s6, s5
	s_mul_i32 s6, s38, s4
	s_lshl_b64 s[6:7], s[6:7], 3
	s_add_u32 s6, s36, s6
	s_addc_u32 s7, s37, s7
	s_load_dwordx2 s[22:23], s[6:7], 0x0
	s_waitcnt lgkmcnt(0)
	v_cmp_eq_f64_e64 s[6:7], s[22:23], 0
	s_and_b64 vcc, exec, s[6:7]
	s_cbranch_vccnz .LBB36_51
; %bb.1:
	s_load_dwordx4 s[36:39], s[0:1], 0x0
	s_waitcnt lgkmcnt(0)
	s_add_i32 s5, s38, -1
	s_ashr_i32 s6, s5, 31
	s_lshr_b32 s6, s6, 27
	s_add_i32 s5, s5, s6
	s_ashr_i32 s33, s5, 5
	s_cmp_gt_i32 s3, s33
	s_cbranch_scc1 .LBB36_51
; %bb.2:
	s_load_dwordx8 s[24:31], s[0:1], 0x50
	s_load_dwordx4 s[52:55], s[0:1], 0x70
	s_mul_i32 s5, s47, s4
	s_mul_hi_u32 s6, s46, s4
	s_add_i32 s7, s6, s5
	s_mul_i32 s6, s46, s4
	s_lshl_b64 s[8:9], s[6:7], 3
	s_add_u32 s5, s40, s8
	s_addc_u32 s7, s41, s9
	s_lshl_b64 s[10:11], s[42:43], 3
	s_add_u32 s6, s5, s10
	s_load_dword s39, s[0:1], 0x8c
	s_waitcnt lgkmcnt(0)
	s_mul_i32 s0, s55, s4
	s_mul_hi_u32 s1, s54, s4
	s_addc_u32 s7, s7, s11
	s_add_i32 s1, s1, s0
	s_mul_i32 s0, s54, s4
	s_lshl_b64 s[0:1], s[0:1], 3
	s_add_u32 s5, s28, s0
	s_addc_u32 s12, s29, s1
	s_lshl_b64 s[0:1], s[30:31], 3
	s_add_u32 s28, s5, s0
	s_addc_u32 s29, s12, s1
	s_lshl_b32 s56, s2, 5
	s_cmp_gt_i32 s2, -1
	s_cselect_b64 s[30:31], -1, 0
	s_cmpk_eq_i32 s36, 0x84
	v_bfe_u32 v4, v0, 10, 10
	s_cselect_b64 s[34:35], -1, 0
	s_ashr_i32 s43, s37, 31
	s_ashr_i32 s2, s38, 31
	s_lshl_b64 s[46:47], s[44:45], 8
	v_and_b32_e32 v8, 0x3ff, v0
	v_mad_u64_u32 v[0:1], s[0:1], s44, v4, 0
	s_add_u32 s54, s37, -16
	v_mov_b32_e32 v2, v1
	s_addc_u32 s55, s43, -1
	v_mad_u64_u32 v[2:3], s[0:1], s45, v4, v[2:3]
	s_add_u32 s5, s40, s10
	v_mov_b32_e32 v1, v2
	s_addc_u32 s10, s41, s11
	v_lshl_add_u64 v[12:13], v[0:1], 3, s[6:7]
	v_lshlrev_b32_e32 v0, 8, v4
	v_lshlrev_b32_e32 v14, 3, v8
	s_add_u32 s8, s5, s8
	v_add_u32_e32 v41, v14, v0
	v_add_u32_e32 v60, 0x2000, v0
	v_mov_b32_e32 v0, 0x80
	s_addc_u32 s9, s10, s9
	v_lshl_add_u32 v2, v4, 3, v0
	v_mov_b64_e32 v[0:1], s[8:9]
	v_mad_u64_u32 v[28:29], s[8:9], s44, v2, v[0:1]
	v_mov_b32_e32 v0, v29
	v_mad_u64_u32 v[0:1], s[8:9], s45, v2, v[0:1]
	s_mul_i32 s5, s27, s4
	s_mul_hi_u32 s8, s26, s4
	s_add_i32 s5, s8, s5
	s_mul_i32 s4, s26, s4
	s_lshl_b64 s[4:5], s[4:5], 3
	s_lshl_b64 s[8:9], s[50:51], 3
	s_add_u32 s4, s4, s8
	s_addc_u32 s5, s5, s9
	v_mov_b32_e32 v6, 0
	v_add_u32_e32 v10, s56, v8
	s_add_u32 s4, s48, s4
	v_ashrrev_i32_e32 v11, 31, v10
	v_sub_co_u32_e32 v20, vcc, v10, v4
	v_mov_b32_e32 v15, v6
	s_addc_u32 s5, s49, s5
	s_mov_b32 s42, s37
	v_lshl_add_u64 v[16:17], v[10:11], 0, 16
	v_add_u32_e32 v18, 16, v10
	v_subbrev_co_u32_e32 v21, vcc, 0, v11, vcc
	v_mov_b32_e32 v29, v0
	v_lshl_add_u64 v[0:1], s[4:5], 0, v[14:15]
	s_mov_b64 s[4:5], 0x80
	v_mov_b32_e32 v5, v6
	v_mov_b32_e32 v9, v6
	v_add_u32_e32 v61, v60, v14
	v_cmp_le_i32_e64 s[0:1], s37, v10
	v_cmp_le_i64_e64 s[18:19], s[42:43], v[16:17]
	v_cmp_gt_i32_e64 s[20:21], s37, v10
	v_cmp_gt_i32_e64 s[6:7], s37, v18
	v_ashrrev_i32_e32 v19, 31, v18
	v_lshl_add_u64 v[22:23], v[20:21], 0, 16
	v_lshl_add_u64 v[24:25], v[20:21], 0, -16
	v_lshlrev_b64 v[26:27], 3, v[10:11]
	v_lshl_add_u64 v[30:31], v[0:1], 0, s[4:5]
	s_lshl_b64 s[26:27], s[24:25], 3
	v_lshl_add_u32 v32, s3, 5, v4
	s_lshl_b32 s44, s39, 5
	s_mov_b64 s[36:37], 0x100
	v_mov_b64_e32 v[34:35], 0x80
	v_mov_b32_e32 v37, 0x3ff00000
	v_mov_b32_e32 v38, 0
	;; [unrolled: 1-line block ×4, first 2 shown]
	v_add_u32_e32 v62, 0x800, v14
	v_add_u32_e32 v63, 0x1000, v14
	;; [unrolled: 1-line block ×3, first 2 shown]
	s_branch .LBB36_4
.LBB36_3:                               ;   in Loop: Header=BB36_4 Depth=1
	s_or_b64 exec, exec, s[4:5]
	s_add_i32 s3, s39, s3
	s_cmp_le_i32 s3, s33
	v_add_u32_e32 v32, s44, v32
	s_cbranch_scc0 .LBB36_51
.LBB36_4:                               ; =>This Loop Header: Depth=1
                                        ;     Child Loop BB36_7 Depth 2
	v_lshl_add_u32 v40, s3, 5, v4
	v_ashrrev_i32_e32 v15, 31, v40
	v_mov_b64_e32 v[48:49], 0
	s_andn2_b64 vcc, exec, s[30:31]
	v_mov_b64_e32 v[46:47], 0
	v_mov_b64_e32 v[44:45], 0
	;; [unrolled: 1-line block ×3, first 2 shown]
	s_cbranch_vccnz .LBB36_43
; %bb.5:                                ;   in Loop: Header=BB36_4 Depth=1
	v_ashrrev_i32_e32 v33, 31, v32
	v_mad_u64_u32 v[50:51], s[4:5], s26, v32, v[30:31]
	v_mul_lo_u32 v0, s27, v32
	v_mul_lo_u32 v1, s26, v33
	v_add3_u32 v51, v0, v51, v1
	v_lshl_add_u64 v[0:1], v[32:33], 3, v[34:35]
	v_mul_lo_u32 v1, s24, v1
	v_mul_lo_u32 v2, s25, v0
	v_mad_u64_u32 v[52:53], s[4:5], s24, v0, v[30:31]
	v_add3_u32 v53, v2, v53, v1
	v_mov_b32_e32 v1, s2
	v_sub_co_u32_e32 v0, vcc, s38, v40
	s_mov_b64 s[40:41], 0
	s_nop 0
	v_subb_co_u32_e32 v1, vcc, v1, v15, vcc
	v_cmp_lt_i64_e32 vcc, 0, v[0:1]
	v_cmp_lt_i64_e64 s[8:9], 16, v[0:1]
	v_mov_b64_e32 v[42:43], 0
	v_mov_b64_e32 v[54:55], v[12:13]
	;; [unrolled: 1-line block ×6, first 2 shown]
	s_branch .LBB36_7
.LBB36_6:                               ;   in Loop: Header=BB36_7 Depth=2
	s_or_b64 exec, exec, s[4:5]
	s_waitcnt lgkmcnt(0)
	s_barrier
	ds_read_b128 v[66:69], v60
	ds_read_b128 v[70:73], v60 offset:16
	ds_read_b128 v[74:77], v60 offset:32
	;; [unrolled: 1-line block ×3, first 2 shown]
	ds_read2_b64 v[78:81], v14 offset1:16
	ds_read_b128 v[82:85], v60 offset:4096
	s_add_u32 s40, s40, 32
	s_addc_u32 s41, s41, 0
	s_sub_i32 s4, s40, 32
	s_waitcnt lgkmcnt(1)
	v_fmac_f64_e32 v[48:49], v[78:79], v[66:67]
	v_fmac_f64_e32 v[46:47], v[80:81], v[66:67]
	s_waitcnt lgkmcnt(0)
	v_fmac_f64_e32 v[44:45], v[78:79], v[82:83]
	v_fmac_f64_e32 v[42:43], v[80:81], v[82:83]
	ds_read2_b64 v[78:81], v14 offset0:32 offset1:48
	v_lshl_add_u64 v[56:57], v[56:57], 0, s[46:47]
	v_lshl_add_u64 v[50:51], v[50:51], 0, s[36:37]
	;; [unrolled: 1-line block ×4, first 2 shown]
	s_waitcnt lgkmcnt(0)
	v_fmac_f64_e32 v[48:49], v[78:79], v[68:69]
	v_fmac_f64_e32 v[46:47], v[80:81], v[68:69]
	;; [unrolled: 1-line block ×4, first 2 shown]
	ds_read2_b64 v[66:69], v14 offset0:64 offset1:80
	ds_read_b128 v[78:81], v60 offset:4112
	s_cmp_ge_i32 s4, s56
	s_waitcnt lgkmcnt(1)
	v_fmac_f64_e32 v[48:49], v[66:67], v[70:71]
	v_fmac_f64_e32 v[46:47], v[68:69], v[70:71]
	s_waitcnt lgkmcnt(0)
	v_fmac_f64_e32 v[44:45], v[66:67], v[78:79]
	v_fmac_f64_e32 v[42:43], v[68:69], v[78:79]
	ds_read2_b64 v[66:69], v14 offset0:96 offset1:112
	s_waitcnt lgkmcnt(0)
	v_fmac_f64_e32 v[48:49], v[66:67], v[72:73]
	v_fmac_f64_e32 v[46:47], v[68:69], v[72:73]
	;; [unrolled: 1-line block ×4, first 2 shown]
	ds_read2_b64 v[66:69], v14 offset0:128 offset1:144
	ds_read_b128 v[70:73], v60 offset:4128
	s_waitcnt lgkmcnt(1)
	v_fmac_f64_e32 v[48:49], v[66:67], v[74:75]
	v_fmac_f64_e32 v[46:47], v[68:69], v[74:75]
	s_waitcnt lgkmcnt(0)
	v_fmac_f64_e32 v[44:45], v[66:67], v[70:71]
	v_fmac_f64_e32 v[42:43], v[68:69], v[70:71]
	ds_read2_b64 v[66:69], v14 offset0:160 offset1:176
	s_waitcnt lgkmcnt(0)
	v_fmac_f64_e32 v[48:49], v[66:67], v[76:77]
	v_fmac_f64_e32 v[46:47], v[68:69], v[76:77]
	;; [unrolled: 1-line block ×4, first 2 shown]
	ds_read2_b64 v[66:69], v14 offset0:192 offset1:208
	ds_read_b128 v[70:73], v60 offset:4144
	s_waitcnt lgkmcnt(1)
	v_fmac_f64_e32 v[48:49], v[66:67], v[0:1]
	v_fmac_f64_e32 v[46:47], v[68:69], v[0:1]
	s_waitcnt lgkmcnt(0)
	v_fmac_f64_e32 v[44:45], v[66:67], v[70:71]
	v_fmac_f64_e32 v[42:43], v[68:69], v[70:71]
	ds_read2_b64 v[66:69], v14 offset0:224 offset1:240
	s_waitcnt lgkmcnt(0)
	v_fmac_f64_e32 v[48:49], v[66:67], v[2:3]
	v_fmac_f64_e32 v[46:47], v[68:69], v[2:3]
	v_fmac_f64_e32 v[44:45], v[66:67], v[72:73]
	v_fmac_f64_e32 v[42:43], v[68:69], v[72:73]
	ds_read_b128 v[0:3], v60 offset:64
	ds_read2_b64 v[66:69], v62 offset1:16
	ds_read_b128 v[70:73], v60 offset:4160
	s_waitcnt lgkmcnt(1)
	v_fmac_f64_e32 v[48:49], v[66:67], v[0:1]
	v_fmac_f64_e32 v[46:47], v[68:69], v[0:1]
	s_waitcnt lgkmcnt(0)
	v_fmac_f64_e32 v[44:45], v[66:67], v[70:71]
	v_fmac_f64_e32 v[42:43], v[68:69], v[70:71]
	ds_read2_b64 v[66:69], v62 offset0:32 offset1:48
	s_waitcnt lgkmcnt(0)
	v_fmac_f64_e32 v[48:49], v[66:67], v[2:3]
	v_fmac_f64_e32 v[46:47], v[68:69], v[2:3]
	v_fmac_f64_e32 v[44:45], v[66:67], v[72:73]
	v_fmac_f64_e32 v[42:43], v[68:69], v[72:73]
	ds_read_b128 v[0:3], v60 offset:80
	ds_read2_b64 v[66:69], v62 offset0:64 offset1:80
	ds_read_b128 v[70:73], v60 offset:4176
	s_waitcnt lgkmcnt(1)
	v_fmac_f64_e32 v[48:49], v[66:67], v[0:1]
	v_fmac_f64_e32 v[46:47], v[68:69], v[0:1]
	s_waitcnt lgkmcnt(0)
	v_fmac_f64_e32 v[44:45], v[66:67], v[70:71]
	v_fmac_f64_e32 v[42:43], v[68:69], v[70:71]
	ds_read2_b64 v[66:69], v62 offset0:96 offset1:112
	s_waitcnt lgkmcnt(0)
	v_fmac_f64_e32 v[48:49], v[66:67], v[2:3]
	v_fmac_f64_e32 v[46:47], v[68:69], v[2:3]
	v_fmac_f64_e32 v[44:45], v[66:67], v[72:73]
	v_fmac_f64_e32 v[42:43], v[68:69], v[72:73]
	ds_read_b128 v[0:3], v60 offset:96
	ds_read2_b64 v[66:69], v62 offset0:128 offset1:144
	ds_read_b128 v[70:73], v60 offset:4192
	s_waitcnt lgkmcnt(1)
	v_fmac_f64_e32 v[48:49], v[66:67], v[0:1]
	v_fmac_f64_e32 v[46:47], v[68:69], v[0:1]
	s_waitcnt lgkmcnt(0)
	v_fmac_f64_e32 v[44:45], v[66:67], v[70:71]
	v_fmac_f64_e32 v[42:43], v[68:69], v[70:71]
	ds_read2_b64 v[66:69], v62 offset0:160 offset1:176
	s_waitcnt lgkmcnt(0)
	v_fmac_f64_e32 v[48:49], v[66:67], v[2:3]
	v_fmac_f64_e32 v[46:47], v[68:69], v[2:3]
	v_fmac_f64_e32 v[44:45], v[66:67], v[72:73]
	v_fmac_f64_e32 v[42:43], v[68:69], v[72:73]
	ds_read_b128 v[0:3], v60 offset:112
	ds_read2_b64 v[66:69], v62 offset0:192 offset1:208
	ds_read_b128 v[70:73], v60 offset:4208
	s_waitcnt lgkmcnt(1)
	v_fmac_f64_e32 v[48:49], v[66:67], v[0:1]
	v_fmac_f64_e32 v[46:47], v[68:69], v[0:1]
	s_waitcnt lgkmcnt(0)
	v_fmac_f64_e32 v[44:45], v[66:67], v[70:71]
	v_fmac_f64_e32 v[42:43], v[68:69], v[70:71]
	ds_read2_b64 v[66:69], v62 offset0:224 offset1:240
	s_waitcnt lgkmcnt(0)
	v_fmac_f64_e32 v[48:49], v[66:67], v[2:3]
	v_fmac_f64_e32 v[46:47], v[68:69], v[2:3]
	v_fmac_f64_e32 v[44:45], v[66:67], v[72:73]
	v_fmac_f64_e32 v[42:43], v[68:69], v[72:73]
	ds_read_b128 v[0:3], v60 offset:128
	ds_read2_b64 v[66:69], v63 offset1:16
	ds_read_b128 v[70:73], v60 offset:4224
	s_waitcnt lgkmcnt(1)
	v_fmac_f64_e32 v[48:49], v[66:67], v[0:1]
	v_fmac_f64_e32 v[46:47], v[68:69], v[0:1]
	s_waitcnt lgkmcnt(0)
	v_fmac_f64_e32 v[44:45], v[66:67], v[70:71]
	v_fmac_f64_e32 v[42:43], v[68:69], v[70:71]
	ds_read2_b64 v[66:69], v63 offset0:32 offset1:48
	s_waitcnt lgkmcnt(0)
	v_fmac_f64_e32 v[48:49], v[66:67], v[2:3]
	v_fmac_f64_e32 v[46:47], v[68:69], v[2:3]
	v_fmac_f64_e32 v[44:45], v[66:67], v[72:73]
	v_fmac_f64_e32 v[42:43], v[68:69], v[72:73]
	ds_read_b128 v[0:3], v60 offset:144
	ds_read2_b64 v[66:69], v63 offset0:64 offset1:80
	ds_read_b128 v[70:73], v60 offset:4240
	s_waitcnt lgkmcnt(1)
	v_fmac_f64_e32 v[48:49], v[66:67], v[0:1]
	v_fmac_f64_e32 v[46:47], v[68:69], v[0:1]
	s_waitcnt lgkmcnt(0)
	v_fmac_f64_e32 v[44:45], v[66:67], v[70:71]
	v_fmac_f64_e32 v[42:43], v[68:69], v[70:71]
	ds_read2_b64 v[66:69], v63 offset0:96 offset1:112
	s_waitcnt lgkmcnt(0)
	v_fmac_f64_e32 v[48:49], v[66:67], v[2:3]
	v_fmac_f64_e32 v[46:47], v[68:69], v[2:3]
	v_fmac_f64_e32 v[44:45], v[66:67], v[72:73]
	v_fmac_f64_e32 v[42:43], v[68:69], v[72:73]
	ds_read_b128 v[0:3], v60 offset:160
	ds_read2_b64 v[66:69], v63 offset0:128 offset1:144
	ds_read_b128 v[70:73], v60 offset:4256
	s_waitcnt lgkmcnt(1)
	v_fmac_f64_e32 v[48:49], v[66:67], v[0:1]
	v_fmac_f64_e32 v[46:47], v[68:69], v[0:1]
	s_waitcnt lgkmcnt(0)
	v_fmac_f64_e32 v[44:45], v[66:67], v[70:71]
	v_fmac_f64_e32 v[42:43], v[68:69], v[70:71]
	ds_read2_b64 v[66:69], v63 offset0:160 offset1:176
	s_waitcnt lgkmcnt(0)
	v_fmac_f64_e32 v[48:49], v[66:67], v[2:3]
	v_fmac_f64_e32 v[46:47], v[68:69], v[2:3]
	v_fmac_f64_e32 v[44:45], v[66:67], v[72:73]
	v_fmac_f64_e32 v[42:43], v[68:69], v[72:73]
	ds_read_b128 v[0:3], v60 offset:176
	;; [unrolled: 60-line block ×3, first 2 shown]
	ds_read2_b64 v[66:69], v64 offset0:192 offset1:208
	ds_read_b128 v[70:73], v60 offset:4336
	s_waitcnt lgkmcnt(1)
	v_fmac_f64_e32 v[48:49], v[66:67], v[0:1]
	v_fmac_f64_e32 v[46:47], v[68:69], v[0:1]
	s_waitcnt lgkmcnt(0)
	v_fmac_f64_e32 v[44:45], v[66:67], v[70:71]
	v_fmac_f64_e32 v[42:43], v[68:69], v[70:71]
	ds_read2_b64 v[66:69], v64 offset0:224 offset1:240
	s_waitcnt lgkmcnt(0)
	s_barrier
	v_fmac_f64_e32 v[48:49], v[66:67], v[2:3]
	v_fmac_f64_e32 v[46:47], v[68:69], v[2:3]
	;; [unrolled: 1-line block ×4, first 2 shown]
	s_cbranch_scc1 .LBB36_43
.LBB36_7:                               ;   Parent Loop BB36_4 Depth=1
                                        ; =>  This Inner Loop Header: Depth=2
	v_lshl_add_u64 v[0:1], v[4:5], 0, s[40:41]
	v_cmp_le_i64_e64 s[14:15], s[42:43], v[0:1]
	v_cmp_eq_u64_e64 s[4:5], s[40:41], v[20:21]
	v_cmp_gt_i64_e64 s[12:13], v[0:1], v[10:11]
	s_and_b64 s[10:11], s[34:35], s[4:5]
	s_or_b64 s[4:5], s[14:15], s[12:13]
	s_or_b64 s[4:5], s[4:5], s[10:11]
	v_lshl_add_u64 v[2:3], v[54:55], 0, v[26:27]
	s_nor_b64 s[4:5], s[0:1], s[4:5]
                                        ; implicit-def: $vgpr58_vgpr59
	s_and_saveexec_b64 s[16:17], s[4:5]
	s_xor_b64 s[4:5], exec, s[16:17]
	s_cbranch_execz .LBB36_9
; %bb.8:                                ;   in Loop: Header=BB36_7 Depth=2
	global_load_dwordx2 v[58:59], v[2:3], off
.LBB36_9:                               ;   in Loop: Header=BB36_7 Depth=2
	s_andn2_saveexec_b64 s[4:5], s[4:5]
	s_cbranch_execz .LBB36_11
; %bb.10:                               ;   in Loop: Header=BB36_7 Depth=2
	v_cndmask_b32_e64 v7, 0, v37, s[10:11]
	s_waitcnt vmcnt(0)
	v_mov_b64_e32 v[58:59], v[6:7]
.LBB36_11:                              ;   in Loop: Header=BB36_7 Depth=2
	s_or_b64 exec, exec, s[4:5]
	v_cmp_eq_u64_e64 s[4:5], s[40:41], v[22:23]
	s_and_b64 s[16:17], s[34:35], s[4:5]
	v_cmp_lt_i64_e64 s[4:5], v[16:17], v[0:1]
	s_or_b64 s[4:5], s[14:15], s[4:5]
	s_or_b64 s[4:5], s[4:5], s[16:17]
	s_nor_b64 s[4:5], s[18:19], s[4:5]
	s_waitcnt vmcnt(0)
	ds_write_b64 v41, v[58:59]
	s_and_saveexec_b64 s[14:15], s[4:5]
	s_xor_b64 s[4:5], exec, s[14:15]
	s_cbranch_execz .LBB36_13
; %bb.12:                               ;   in Loop: Header=BB36_7 Depth=2
	global_load_dwordx2 v[2:3], v[2:3], off offset:128
	s_waitcnt vmcnt(0)
	ds_write_b64 v41, v[2:3] offset:128
.LBB36_13:                              ;   in Loop: Header=BB36_7 Depth=2
	s_andn2_saveexec_b64 s[4:5], s[4:5]
	s_cbranch_execz .LBB36_19
; %bb.14:                               ;   in Loop: Header=BB36_7 Depth=2
	s_xor_b64 s[14:15], s[16:17], -1
	s_and_saveexec_b64 s[16:17], s[14:15]
	s_xor_b64 s[14:15], exec, s[16:17]
; %bb.15:                               ;   in Loop: Header=BB36_7 Depth=2
	ds_write_b64 v41, v[38:39] offset:128
; %bb.16:                               ;   in Loop: Header=BB36_7 Depth=2
	s_andn2_saveexec_b64 s[14:15], s[14:15]
; %bb.17:                               ;   in Loop: Header=BB36_7 Depth=2
	ds_write_b64 v41, v[36:37] offset:128
; %bb.18:                               ;   in Loop: Header=BB36_7 Depth=2
	s_or_b64 exec, exec, s[14:15]
.LBB36_19:                              ;   in Loop: Header=BB36_7 Depth=2
	s_or_b64 exec, exec, s[4:5]
	v_lshl_add_u64 v[2:3], v[0:1], 0, 16
	v_cmp_eq_u64_e64 s[4:5], s[40:41], v[24:25]
	v_cmp_le_i64_e64 s[14:15], s[42:43], v[2:3]
	s_and_b64 s[16:17], s[34:35], s[4:5]
	v_cmp_gt_i64_e64 s[4:5], v[2:3], v[10:11]
	s_or_b64 s[4:5], s[14:15], s[4:5]
	s_or_b64 s[4:5], s[4:5], s[16:17]
	v_lshl_add_u64 v[0:1], v[56:57], 0, v[26:27]
	s_nor_b64 s[4:5], s[0:1], s[4:5]
                                        ; implicit-def: $vgpr2_vgpr3
	s_and_saveexec_b64 s[48:49], s[4:5]
	s_xor_b64 s[4:5], exec, s[48:49]
	s_cbranch_execz .LBB36_21
; %bb.20:                               ;   in Loop: Header=BB36_7 Depth=2
	global_load_dwordx2 v[2:3], v[0:1], off
.LBB36_21:                              ;   in Loop: Header=BB36_7 Depth=2
	s_andn2_saveexec_b64 s[4:5], s[4:5]
	s_cbranch_execz .LBB36_23
; %bb.22:                               ;   in Loop: Header=BB36_7 Depth=2
	v_cndmask_b32_e64 v7, 0, v37, s[16:17]
	s_waitcnt vmcnt(0)
	v_mov_b64_e32 v[2:3], v[6:7]
.LBB36_23:                              ;   in Loop: Header=BB36_7 Depth=2
	s_or_b64 exec, exec, s[4:5]
	s_or_b64 s[4:5], s[14:15], s[12:13]
	s_or_b64 s[4:5], s[4:5], s[10:11]
	s_nor_b64 s[4:5], s[18:19], s[4:5]
	s_waitcnt vmcnt(0)
	ds_write_b64 v41, v[2:3] offset:4096
	s_and_saveexec_b64 s[12:13], s[4:5]
	s_xor_b64 s[4:5], exec, s[12:13]
	s_cbranch_execz .LBB36_25
; %bb.24:                               ;   in Loop: Header=BB36_7 Depth=2
	global_load_dwordx2 v[0:1], v[0:1], off offset:128
	s_waitcnt vmcnt(0)
	ds_write_b64 v41, v[0:1] offset:4224
.LBB36_25:                              ;   in Loop: Header=BB36_7 Depth=2
	s_andn2_saveexec_b64 s[4:5], s[4:5]
	s_cbranch_execz .LBB36_31
; %bb.26:                               ;   in Loop: Header=BB36_7 Depth=2
	s_xor_b64 s[10:11], s[10:11], -1
	s_and_saveexec_b64 s[12:13], s[10:11]
	s_xor_b64 s[10:11], exec, s[12:13]
; %bb.27:                               ;   in Loop: Header=BB36_7 Depth=2
	ds_write_b64 v41, v[38:39] offset:4224
; %bb.28:                               ;   in Loop: Header=BB36_7 Depth=2
	s_andn2_saveexec_b64 s[10:11], s[10:11]
; %bb.29:                               ;   in Loop: Header=BB36_7 Depth=2
	ds_write_b64 v41, v[36:37] offset:4224
; %bb.30:                               ;   in Loop: Header=BB36_7 Depth=2
	s_or_b64 exec, exec, s[10:11]
.LBB36_31:                              ;   in Loop: Header=BB36_7 Depth=2
	s_or_b64 exec, exec, s[4:5]
	v_lshl_add_u64 v[0:1], v[8:9], 0, s[40:41]
	v_cmp_gt_i64_e64 s[10:11], s[42:43], v[0:1]
	s_and_b64 s[12:13], vcc, s[10:11]
	v_mov_b64_e32 v[2:3], 0
	s_and_saveexec_b64 s[4:5], s[12:13]
	s_cbranch_execz .LBB36_33
; %bb.32:                               ;   in Loop: Header=BB36_7 Depth=2
	global_load_dwordx2 v[2:3], v[50:51], off offset:-128
.LBB36_33:                              ;   in Loop: Header=BB36_7 Depth=2
	s_or_b64 exec, exec, s[4:5]
	v_cmp_gt_i64_e64 s[12:13], s[54:55], v[0:1]
	s_and_b64 s[4:5], vcc, s[12:13]
	s_xor_b64 s[4:5], s[4:5], -1
	s_waitcnt vmcnt(0)
	ds_write_b64 v61, v[2:3]
	s_and_saveexec_b64 s[14:15], s[4:5]
	s_xor_b64 s[4:5], exec, s[14:15]
; %bb.34:                               ;   in Loop: Header=BB36_7 Depth=2
	ds_write_b64 v61, v[38:39] offset:128
; %bb.35:                               ;   in Loop: Header=BB36_7 Depth=2
	s_andn2_saveexec_b64 s[4:5], s[4:5]
	s_cbranch_execz .LBB36_37
; %bb.36:                               ;   in Loop: Header=BB36_7 Depth=2
	global_load_dwordx2 v[0:1], v[50:51], off
	s_waitcnt vmcnt(0)
	ds_write_b64 v61, v[0:1] offset:128
.LBB36_37:                              ;   in Loop: Header=BB36_7 Depth=2
	s_or_b64 exec, exec, s[4:5]
	s_and_b64 s[10:11], s[8:9], s[10:11]
	v_mov_b64_e32 v[0:1], 0
	s_and_saveexec_b64 s[4:5], s[10:11]
	s_cbranch_execz .LBB36_39
; %bb.38:                               ;   in Loop: Header=BB36_7 Depth=2
	global_load_dwordx2 v[0:1], v[52:53], off offset:-128
.LBB36_39:                              ;   in Loop: Header=BB36_7 Depth=2
	s_or_b64 exec, exec, s[4:5]
	s_and_b64 s[4:5], s[8:9], s[12:13]
	s_xor_b64 s[4:5], s[4:5], -1
	s_waitcnt vmcnt(0)
	ds_write_b64 v61, v[0:1] offset:4096
	s_and_saveexec_b64 s[10:11], s[4:5]
	s_xor_b64 s[4:5], exec, s[10:11]
; %bb.40:                               ;   in Loop: Header=BB36_7 Depth=2
	ds_write_b64 v61, v[38:39] offset:4224
; %bb.41:                               ;   in Loop: Header=BB36_7 Depth=2
	s_andn2_saveexec_b64 s[4:5], s[4:5]
	s_cbranch_execz .LBB36_6
; %bb.42:                               ;   in Loop: Header=BB36_7 Depth=2
	global_load_dwordx2 v[0:1], v[52:53], off
	s_waitcnt vmcnt(0)
	ds_write_b64 v61, v[0:1] offset:4224
	s_branch .LBB36_6
.LBB36_43:                              ;   in Loop: Header=BB36_4 Depth=1
	v_mul_lo_u32 v2, s53, v40
	v_mul_lo_u32 v3, s52, v15
	v_mad_u64_u32 v[0:1], s[4:5], s52, v40, 0
	v_cmp_gt_i32_e32 vcc, s38, v40
	v_add3_u32 v1, v1, v3, v2
	v_lshl_add_u64 v[0:1], v[0:1], 3, s[28:29]
	s_and_b64 s[8:9], s[20:21], vcc
	s_and_saveexec_b64 s[4:5], s[8:9]
	s_cbranch_execz .LBB36_45
; %bb.44:                               ;   in Loop: Header=BB36_4 Depth=1
	v_lshl_add_u64 v[2:3], v[10:11], 3, v[0:1]
	global_load_dwordx2 v[50:51], v[2:3], off
	s_waitcnt vmcnt(0)
	v_fmac_f64_e32 v[50:51], s[22:23], v[48:49]
	global_store_dwordx2 v[2:3], v[50:51], off
.LBB36_45:                              ;   in Loop: Header=BB36_4 Depth=1
	s_or_b64 exec, exec, s[4:5]
	s_and_b64 s[8:9], s[6:7], vcc
	s_and_saveexec_b64 s[4:5], s[8:9]
	s_cbranch_execz .LBB36_47
; %bb.46:                               ;   in Loop: Header=BB36_4 Depth=1
	v_lshl_add_u64 v[0:1], v[18:19], 3, v[0:1]
	global_load_dwordx2 v[2:3], v[0:1], off
	s_waitcnt vmcnt(0)
	v_fmac_f64_e32 v[2:3], s[22:23], v[46:47]
	global_store_dwordx2 v[0:1], v[2:3], off
.LBB36_47:                              ;   in Loop: Header=BB36_4 Depth=1
	s_or_b64 exec, exec, s[4:5]
	v_add_u32_e32 v0, 16, v40
	v_ashrrev_i32_e32 v1, 31, v0
	v_cmp_gt_i32_e32 vcc, s38, v0
	v_mul_lo_u32 v2, s52, v1
	v_mul_lo_u32 v3, s53, v0
	v_mad_u64_u32 v[0:1], s[4:5], s52, v0, 0
	v_add3_u32 v1, v1, v2, v3
	v_lshl_add_u64 v[0:1], v[0:1], 3, s[28:29]
	s_and_b64 s[8:9], s[20:21], vcc
	s_and_saveexec_b64 s[4:5], s[8:9]
	s_cbranch_execz .LBB36_49
; %bb.48:                               ;   in Loop: Header=BB36_4 Depth=1
	v_lshl_add_u64 v[2:3], v[10:11], 3, v[0:1]
	global_load_dwordx2 v[46:47], v[2:3], off
	s_waitcnt vmcnt(0)
	v_fmac_f64_e32 v[46:47], s[22:23], v[44:45]
	global_store_dwordx2 v[2:3], v[46:47], off
.LBB36_49:                              ;   in Loop: Header=BB36_4 Depth=1
	s_or_b64 exec, exec, s[4:5]
	s_and_b64 s[8:9], s[6:7], vcc
	s_and_saveexec_b64 s[4:5], s[8:9]
	s_cbranch_execz .LBB36_3
; %bb.50:                               ;   in Loop: Header=BB36_4 Depth=1
	v_lshl_add_u64 v[0:1], v[18:19], 3, v[0:1]
	global_load_dwordx2 v[2:3], v[0:1], off
	s_waitcnt vmcnt(0)
	v_fmac_f64_e32 v[2:3], s[22:23], v[42:43]
	global_store_dwordx2 v[0:1], v[2:3], off
	s_branch .LBB36_3
.LBB36_51:
	s_endpgm
	.section	.rodata,"a",@progbits
	.p2align	6, 0x0
	.amdhsa_kernel _ZL30rocblas_trmm_outofplace_kernelIdLi32ELi2ELb1ELb0ELb0ELb0EPKdS0_dEv17rocblas_diagonal_iiT6_lPT7_lllS5_lllPT8_llli
		.amdhsa_group_segment_fixed_size 16384
		.amdhsa_private_segment_fixed_size 0
		.amdhsa_kernarg_size 392
		.amdhsa_user_sgpr_count 2
		.amdhsa_user_sgpr_dispatch_ptr 0
		.amdhsa_user_sgpr_queue_ptr 0
		.amdhsa_user_sgpr_kernarg_segment_ptr 1
		.amdhsa_user_sgpr_dispatch_id 0
		.amdhsa_user_sgpr_kernarg_preload_length 0
		.amdhsa_user_sgpr_kernarg_preload_offset 0
		.amdhsa_user_sgpr_private_segment_size 0
		.amdhsa_uses_dynamic_stack 0
		.amdhsa_enable_private_segment 0
		.amdhsa_system_sgpr_workgroup_id_x 1
		.amdhsa_system_sgpr_workgroup_id_y 1
		.amdhsa_system_sgpr_workgroup_id_z 1
		.amdhsa_system_sgpr_workgroup_info 0
		.amdhsa_system_vgpr_workitem_id 1
		.amdhsa_next_free_vgpr 86
		.amdhsa_next_free_sgpr 57
		.amdhsa_accum_offset 88
		.amdhsa_reserve_vcc 1
		.amdhsa_float_round_mode_32 0
		.amdhsa_float_round_mode_16_64 0
		.amdhsa_float_denorm_mode_32 3
		.amdhsa_float_denorm_mode_16_64 3
		.amdhsa_dx10_clamp 1
		.amdhsa_ieee_mode 1
		.amdhsa_fp16_overflow 0
		.amdhsa_tg_split 0
		.amdhsa_exception_fp_ieee_invalid_op 0
		.amdhsa_exception_fp_denorm_src 0
		.amdhsa_exception_fp_ieee_div_zero 0
		.amdhsa_exception_fp_ieee_overflow 0
		.amdhsa_exception_fp_ieee_underflow 0
		.amdhsa_exception_fp_ieee_inexact 0
		.amdhsa_exception_int_div_zero 0
	.end_amdhsa_kernel
	.section	.text._ZL30rocblas_trmm_outofplace_kernelIdLi32ELi2ELb1ELb0ELb0ELb0EPKdS0_dEv17rocblas_diagonal_iiT6_lPT7_lllS5_lllPT8_llli,"axG",@progbits,_ZL30rocblas_trmm_outofplace_kernelIdLi32ELi2ELb1ELb0ELb0ELb0EPKdS0_dEv17rocblas_diagonal_iiT6_lPT7_lllS5_lllPT8_llli,comdat
.Lfunc_end36:
	.size	_ZL30rocblas_trmm_outofplace_kernelIdLi32ELi2ELb1ELb0ELb0ELb0EPKdS0_dEv17rocblas_diagonal_iiT6_lPT7_lllS5_lllPT8_llli, .Lfunc_end36-_ZL30rocblas_trmm_outofplace_kernelIdLi32ELi2ELb1ELb0ELb0ELb0EPKdS0_dEv17rocblas_diagonal_iiT6_lPT7_lllS5_lllPT8_llli
                                        ; -- End function
	.set _ZL30rocblas_trmm_outofplace_kernelIdLi32ELi2ELb1ELb0ELb0ELb0EPKdS0_dEv17rocblas_diagonal_iiT6_lPT7_lllS5_lllPT8_llli.num_vgpr, 86
	.set _ZL30rocblas_trmm_outofplace_kernelIdLi32ELi2ELb1ELb0ELb0ELb0EPKdS0_dEv17rocblas_diagonal_iiT6_lPT7_lllS5_lllPT8_llli.num_agpr, 0
	.set _ZL30rocblas_trmm_outofplace_kernelIdLi32ELi2ELb1ELb0ELb0ELb0EPKdS0_dEv17rocblas_diagonal_iiT6_lPT7_lllS5_lllPT8_llli.numbered_sgpr, 57
	.set _ZL30rocblas_trmm_outofplace_kernelIdLi32ELi2ELb1ELb0ELb0ELb0EPKdS0_dEv17rocblas_diagonal_iiT6_lPT7_lllS5_lllPT8_llli.num_named_barrier, 0
	.set _ZL30rocblas_trmm_outofplace_kernelIdLi32ELi2ELb1ELb0ELb0ELb0EPKdS0_dEv17rocblas_diagonal_iiT6_lPT7_lllS5_lllPT8_llli.private_seg_size, 0
	.set _ZL30rocblas_trmm_outofplace_kernelIdLi32ELi2ELb1ELb0ELb0ELb0EPKdS0_dEv17rocblas_diagonal_iiT6_lPT7_lllS5_lllPT8_llli.uses_vcc, 1
	.set _ZL30rocblas_trmm_outofplace_kernelIdLi32ELi2ELb1ELb0ELb0ELb0EPKdS0_dEv17rocblas_diagonal_iiT6_lPT7_lllS5_lllPT8_llli.uses_flat_scratch, 0
	.set _ZL30rocblas_trmm_outofplace_kernelIdLi32ELi2ELb1ELb0ELb0ELb0EPKdS0_dEv17rocblas_diagonal_iiT6_lPT7_lllS5_lllPT8_llli.has_dyn_sized_stack, 0
	.set _ZL30rocblas_trmm_outofplace_kernelIdLi32ELi2ELb1ELb0ELb0ELb0EPKdS0_dEv17rocblas_diagonal_iiT6_lPT7_lllS5_lllPT8_llli.has_recursion, 0
	.set _ZL30rocblas_trmm_outofplace_kernelIdLi32ELi2ELb1ELb0ELb0ELb0EPKdS0_dEv17rocblas_diagonal_iiT6_lPT7_lllS5_lllPT8_llli.has_indirect_call, 0
	.section	.AMDGPU.csdata,"",@progbits
; Kernel info:
; codeLenInByte = 3060
; TotalNumSgprs: 63
; NumVgprs: 86
; NumAgprs: 0
; TotalNumVgprs: 86
; ScratchSize: 0
; MemoryBound: 0
; FloatMode: 240
; IeeeMode: 1
; LDSByteSize: 16384 bytes/workgroup (compile time only)
; SGPRBlocks: 7
; VGPRBlocks: 10
; NumSGPRsForWavesPerEU: 63
; NumVGPRsForWavesPerEU: 86
; AccumOffset: 88
; Occupancy: 5
; WaveLimiterHint : 0
; COMPUTE_PGM_RSRC2:SCRATCH_EN: 0
; COMPUTE_PGM_RSRC2:USER_SGPR: 2
; COMPUTE_PGM_RSRC2:TRAP_HANDLER: 0
; COMPUTE_PGM_RSRC2:TGID_X_EN: 1
; COMPUTE_PGM_RSRC2:TGID_Y_EN: 1
; COMPUTE_PGM_RSRC2:TGID_Z_EN: 1
; COMPUTE_PGM_RSRC2:TIDIG_COMP_CNT: 1
; COMPUTE_PGM_RSRC3_GFX90A:ACCUM_OFFSET: 21
; COMPUTE_PGM_RSRC3_GFX90A:TG_SPLIT: 0
	.section	.text._ZL30rocblas_trmm_outofplace_kernelIdLi32ELi2ELb1ELb0ELb0ELb0EdKddEv17rocblas_diagonal_iiT6_lPT7_lllS4_lllPT8_llli,"axG",@progbits,_ZL30rocblas_trmm_outofplace_kernelIdLi32ELi2ELb1ELb0ELb0ELb0EdKddEv17rocblas_diagonal_iiT6_lPT7_lllS4_lllPT8_llli,comdat
	.globl	_ZL30rocblas_trmm_outofplace_kernelIdLi32ELi2ELb1ELb0ELb0ELb0EdKddEv17rocblas_diagonal_iiT6_lPT7_lllS4_lllPT8_llli ; -- Begin function _ZL30rocblas_trmm_outofplace_kernelIdLi32ELi2ELb1ELb0ELb0ELb0EdKddEv17rocblas_diagonal_iiT6_lPT7_lllS4_lllPT8_llli
	.p2align	8
	.type	_ZL30rocblas_trmm_outofplace_kernelIdLi32ELi2ELb1ELb0ELb0ELb0EdKddEv17rocblas_diagonal_iiT6_lPT7_lllS4_lllPT8_llli,@function
_ZL30rocblas_trmm_outofplace_kernelIdLi32ELi2ELb1ELb0ELb0ELb0EdKddEv17rocblas_diagonal_iiT6_lPT7_lllS4_lllPT8_llli: ; @_ZL30rocblas_trmm_outofplace_kernelIdLi32ELi2ELb1ELb0ELb0ELb0EdKddEv17rocblas_diagonal_iiT6_lPT7_lllS4_lllPT8_llli
; %bb.0:
	s_load_dwordx2 s[34:35], s[0:1], 0x10
	s_waitcnt lgkmcnt(0)
	v_cmp_eq_f64_e64 s[6:7], s[34:35], 0
	s_and_b64 vcc, exec, s[6:7]
	s_cbranch_vccnz .LBB37_51
; %bb.1:
	s_load_dwordx4 s[28:31], s[0:1], 0x0
	s_waitcnt lgkmcnt(0)
	s_add_i32 s5, s30, -1
	s_ashr_i32 s6, s5, 31
	s_lshr_b32 s6, s6, 27
	s_add_i32 s5, s5, s6
	s_ashr_i32 s31, s5, 5
	s_cmp_gt_i32 s3, s31
	s_cbranch_scc1 .LBB37_51
; %bb.2:
	s_load_dwordx16 s[36:51], s[0:1], 0x20
	s_load_dwordx8 s[20:27], s[0:1], 0x60
	v_bfe_u32 v4, v0, 10, 10
	v_and_b32_e32 v8, 0x3ff, v0
	v_lshlrev_b32_e32 v14, 3, v8
	s_waitcnt lgkmcnt(0)
	s_mul_i32 s5, s43, s4
	s_mul_hi_u32 s7, s42, s4
	s_mul_i32 s6, s42, s4
	s_add_i32 s7, s7, s5
	s_lshl_b64 s[8:9], s[6:7], 3
	s_add_u32 s5, s36, s8
	s_addc_u32 s7, s37, s9
	s_lshl_b64 s[10:11], s[38:39], 3
	s_add_u32 s6, s5, s10
	s_mul_i32 s5, s27, s4
	s_mul_hi_u32 s12, s26, s4
	s_addc_u32 s7, s7, s11
	s_add_i32 s13, s12, s5
	s_mul_i32 s12, s26, s4
	s_lshl_b64 s[12:13], s[12:13], 3
	s_add_u32 s5, s20, s12
	s_addc_u32 s14, s21, s13
	s_lshl_b64 s[12:13], s[22:23], 3
	s_add_u32 s26, s5, s12
	s_addc_u32 s27, s14, s13
	v_mad_u64_u32 v[0:1], s[12:13], s40, v4, 0
	s_lshl_b32 s33, s2, 5
	v_mov_b32_e32 v2, v1
	v_mad_u64_u32 v[2:3], s[12:13], s41, v4, v[2:3]
	s_cmp_gt_i32 s2, -1
	s_cselect_b64 s[12:13], -1, 0
	s_cmpk_eq_i32 s28, 0x84
	s_cselect_b64 s[38:39], -1, 0
	s_ashr_i32 s43, s29, 31
	s_ashr_i32 s2, s30, 31
	s_lshl_b64 s[52:53], s[40:41], 8
	s_add_u32 s54, s29, -16
	s_addc_u32 s55, s43, -1
	s_add_u32 s5, s36, s10
	v_mov_b32_e32 v1, v2
	s_addc_u32 s10, s37, s11
	v_lshl_add_u64 v[12:13], v[0:1], 3, s[6:7]
	v_lshlrev_b32_e32 v0, 8, v4
	s_add_u32 s8, s5, s8
	v_add_u32_e32 v41, v14, v0
	v_add_u32_e32 v60, 0x2000, v0
	v_mov_b32_e32 v0, 0x80
	s_addc_u32 s9, s10, s9
	v_lshl_add_u32 v2, v4, 3, v0
	v_mov_b64_e32 v[0:1], s[8:9]
	v_mad_u64_u32 v[28:29], s[8:9], s40, v2, v[0:1]
	v_mov_b32_e32 v0, v29
	v_mad_u64_u32 v[0:1], s[8:9], s41, v2, v[0:1]
	s_mul_i32 s5, s51, s4
	s_mul_hi_u32 s8, s50, s4
	s_add_i32 s5, s8, s5
	s_mul_i32 s4, s50, s4
	s_lshl_b64 s[4:5], s[4:5], 3
	s_lshl_b64 s[8:9], s[46:47], 3
	s_add_u32 s4, s4, s8
	s_load_dword s56, s[0:1], 0x8c
	s_addc_u32 s5, s5, s9
	v_mov_b32_e32 v6, 0
	s_add_u32 s4, s44, s4
	v_add_u32_e32 v10, s33, v8
	v_mov_b32_e32 v15, v6
	s_addc_u32 s5, s45, s5
	v_ashrrev_i32_e32 v11, 31, v10
	v_sub_co_u32_e32 v20, vcc, v10, v4
	v_mov_b32_e32 v29, v0
	v_lshl_add_u64 v[0:1], s[4:5], 0, v[14:15]
	s_mov_b64 s[4:5], 0x80
	s_mov_b32 s42, s29
	v_lshl_add_u64 v[16:17], v[10:11], 0, 16
	v_add_u32_e32 v18, 16, v10
	v_subbrev_co_u32_e32 v21, vcc, 0, v11, vcc
	v_lshl_add_u64 v[30:31], v[0:1], 0, s[4:5]
	v_cndmask_b32_e64 v0, 0, 1, s[12:13]
	v_mov_b32_e32 v5, v6
	v_mov_b32_e32 v9, v6
	v_add_u32_e32 v61, v60, v14
	v_cmp_le_i32_e64 s[0:1], s29, v10
	v_cmp_le_i64_e64 s[20:21], s[42:43], v[16:17]
	v_cmp_gt_i32_e64 s[22:23], s29, v10
	v_cmp_gt_i32_e64 s[6:7], s29, v18
	v_ashrrev_i32_e32 v19, 31, v18
	v_lshl_add_u64 v[22:23], v[20:21], 0, 16
	v_lshl_add_u64 v[24:25], v[20:21], 0, -16
	v_lshlrev_b64 v[26:27], 3, v[10:11]
	s_lshl_b64 s[28:29], s[48:49], 3
	v_lshl_add_u32 v32, s3, 5, v4
	s_waitcnt lgkmcnt(0)
	s_lshl_b32 s44, s56, 5
	s_mov_b64 s[36:37], 0x100
	v_cmp_ne_u32_e64 s[8:9], 1, v0
	v_mov_b64_e32 v[34:35], 0x80
	v_mov_b32_e32 v37, 0x3ff00000
	v_mov_b32_e32 v38, 0
	;; [unrolled: 1-line block ×4, first 2 shown]
	v_add_u32_e32 v62, 0x800, v14
	v_add_u32_e32 v63, 0x1000, v14
	;; [unrolled: 1-line block ×3, first 2 shown]
	s_branch .LBB37_4
.LBB37_3:                               ;   in Loop: Header=BB37_4 Depth=1
	s_or_b64 exec, exec, s[4:5]
	s_add_i32 s3, s56, s3
	s_cmp_le_i32 s3, s31
	v_add_u32_e32 v32, s44, v32
	s_cbranch_scc0 .LBB37_51
.LBB37_4:                               ; =>This Loop Header: Depth=1
                                        ;     Child Loop BB37_7 Depth 2
	v_lshl_add_u32 v40, s3, 5, v4
	v_ashrrev_i32_e32 v15, 31, v40
	v_mov_b64_e32 v[48:49], 0
	s_and_b64 vcc, exec, s[8:9]
	v_mov_b64_e32 v[46:47], 0
	v_mov_b64_e32 v[44:45], 0
	;; [unrolled: 1-line block ×3, first 2 shown]
	s_cbranch_vccnz .LBB37_43
; %bb.5:                                ;   in Loop: Header=BB37_4 Depth=1
	v_ashrrev_i32_e32 v33, 31, v32
	v_mad_u64_u32 v[50:51], s[4:5], s28, v32, v[30:31]
	v_mul_lo_u32 v0, s29, v32
	v_mul_lo_u32 v1, s28, v33
	v_add3_u32 v51, v0, v51, v1
	v_lshl_add_u64 v[0:1], v[32:33], 3, v[34:35]
	v_mul_lo_u32 v1, s48, v1
	v_mul_lo_u32 v2, s49, v0
	v_mad_u64_u32 v[52:53], s[4:5], s48, v0, v[30:31]
	v_add3_u32 v53, v2, v53, v1
	v_mov_b32_e32 v1, s2
	v_sub_co_u32_e32 v0, vcc, s30, v40
	s_mov_b64 s[40:41], 0
	s_nop 0
	v_subb_co_u32_e32 v1, vcc, v1, v15, vcc
	v_cmp_lt_i64_e32 vcc, 0, v[0:1]
	v_cmp_lt_i64_e64 s[10:11], 16, v[0:1]
	v_mov_b64_e32 v[42:43], 0
	v_mov_b64_e32 v[54:55], v[12:13]
	;; [unrolled: 1-line block ×6, first 2 shown]
	s_branch .LBB37_7
.LBB37_6:                               ;   in Loop: Header=BB37_7 Depth=2
	s_or_b64 exec, exec, s[4:5]
	s_waitcnt lgkmcnt(0)
	s_barrier
	ds_read_b128 v[66:69], v60
	ds_read_b128 v[70:73], v60 offset:16
	ds_read_b128 v[74:77], v60 offset:32
	ds_read_b128 v[0:3], v60 offset:48
	ds_read2_b64 v[78:81], v14 offset1:16
	ds_read_b128 v[82:85], v60 offset:4096
	s_add_u32 s40, s40, 32
	s_addc_u32 s41, s41, 0
	s_sub_i32 s4, s40, 32
	s_waitcnt lgkmcnt(1)
	v_fmac_f64_e32 v[48:49], v[78:79], v[66:67]
	v_fmac_f64_e32 v[46:47], v[80:81], v[66:67]
	s_waitcnt lgkmcnt(0)
	v_fmac_f64_e32 v[44:45], v[78:79], v[82:83]
	v_fmac_f64_e32 v[42:43], v[80:81], v[82:83]
	ds_read2_b64 v[78:81], v14 offset0:32 offset1:48
	v_lshl_add_u64 v[56:57], v[56:57], 0, s[52:53]
	v_lshl_add_u64 v[50:51], v[50:51], 0, s[36:37]
	;; [unrolled: 1-line block ×4, first 2 shown]
	s_waitcnt lgkmcnt(0)
	v_fmac_f64_e32 v[48:49], v[78:79], v[68:69]
	v_fmac_f64_e32 v[46:47], v[80:81], v[68:69]
	;; [unrolled: 1-line block ×4, first 2 shown]
	ds_read2_b64 v[66:69], v14 offset0:64 offset1:80
	ds_read_b128 v[78:81], v60 offset:4112
	s_cmp_ge_i32 s4, s33
	s_waitcnt lgkmcnt(1)
	v_fmac_f64_e32 v[48:49], v[66:67], v[70:71]
	v_fmac_f64_e32 v[46:47], v[68:69], v[70:71]
	s_waitcnt lgkmcnt(0)
	v_fmac_f64_e32 v[44:45], v[66:67], v[78:79]
	v_fmac_f64_e32 v[42:43], v[68:69], v[78:79]
	ds_read2_b64 v[66:69], v14 offset0:96 offset1:112
	s_waitcnt lgkmcnt(0)
	v_fmac_f64_e32 v[48:49], v[66:67], v[72:73]
	v_fmac_f64_e32 v[46:47], v[68:69], v[72:73]
	;; [unrolled: 1-line block ×4, first 2 shown]
	ds_read2_b64 v[66:69], v14 offset0:128 offset1:144
	ds_read_b128 v[70:73], v60 offset:4128
	s_waitcnt lgkmcnt(1)
	v_fmac_f64_e32 v[48:49], v[66:67], v[74:75]
	v_fmac_f64_e32 v[46:47], v[68:69], v[74:75]
	s_waitcnt lgkmcnt(0)
	v_fmac_f64_e32 v[44:45], v[66:67], v[70:71]
	v_fmac_f64_e32 v[42:43], v[68:69], v[70:71]
	ds_read2_b64 v[66:69], v14 offset0:160 offset1:176
	s_waitcnt lgkmcnt(0)
	v_fmac_f64_e32 v[48:49], v[66:67], v[76:77]
	v_fmac_f64_e32 v[46:47], v[68:69], v[76:77]
	;; [unrolled: 1-line block ×4, first 2 shown]
	ds_read2_b64 v[66:69], v14 offset0:192 offset1:208
	ds_read_b128 v[70:73], v60 offset:4144
	s_waitcnt lgkmcnt(1)
	v_fmac_f64_e32 v[48:49], v[66:67], v[0:1]
	v_fmac_f64_e32 v[46:47], v[68:69], v[0:1]
	s_waitcnt lgkmcnt(0)
	v_fmac_f64_e32 v[44:45], v[66:67], v[70:71]
	v_fmac_f64_e32 v[42:43], v[68:69], v[70:71]
	ds_read2_b64 v[66:69], v14 offset0:224 offset1:240
	s_waitcnt lgkmcnt(0)
	v_fmac_f64_e32 v[48:49], v[66:67], v[2:3]
	v_fmac_f64_e32 v[46:47], v[68:69], v[2:3]
	v_fmac_f64_e32 v[44:45], v[66:67], v[72:73]
	v_fmac_f64_e32 v[42:43], v[68:69], v[72:73]
	ds_read_b128 v[0:3], v60 offset:64
	ds_read2_b64 v[66:69], v62 offset1:16
	ds_read_b128 v[70:73], v60 offset:4160
	s_waitcnt lgkmcnt(1)
	v_fmac_f64_e32 v[48:49], v[66:67], v[0:1]
	v_fmac_f64_e32 v[46:47], v[68:69], v[0:1]
	s_waitcnt lgkmcnt(0)
	v_fmac_f64_e32 v[44:45], v[66:67], v[70:71]
	v_fmac_f64_e32 v[42:43], v[68:69], v[70:71]
	ds_read2_b64 v[66:69], v62 offset0:32 offset1:48
	s_waitcnt lgkmcnt(0)
	v_fmac_f64_e32 v[48:49], v[66:67], v[2:3]
	v_fmac_f64_e32 v[46:47], v[68:69], v[2:3]
	v_fmac_f64_e32 v[44:45], v[66:67], v[72:73]
	v_fmac_f64_e32 v[42:43], v[68:69], v[72:73]
	ds_read_b128 v[0:3], v60 offset:80
	ds_read2_b64 v[66:69], v62 offset0:64 offset1:80
	ds_read_b128 v[70:73], v60 offset:4176
	s_waitcnt lgkmcnt(1)
	v_fmac_f64_e32 v[48:49], v[66:67], v[0:1]
	v_fmac_f64_e32 v[46:47], v[68:69], v[0:1]
	s_waitcnt lgkmcnt(0)
	v_fmac_f64_e32 v[44:45], v[66:67], v[70:71]
	v_fmac_f64_e32 v[42:43], v[68:69], v[70:71]
	ds_read2_b64 v[66:69], v62 offset0:96 offset1:112
	s_waitcnt lgkmcnt(0)
	v_fmac_f64_e32 v[48:49], v[66:67], v[2:3]
	v_fmac_f64_e32 v[46:47], v[68:69], v[2:3]
	v_fmac_f64_e32 v[44:45], v[66:67], v[72:73]
	v_fmac_f64_e32 v[42:43], v[68:69], v[72:73]
	ds_read_b128 v[0:3], v60 offset:96
	ds_read2_b64 v[66:69], v62 offset0:128 offset1:144
	ds_read_b128 v[70:73], v60 offset:4192
	s_waitcnt lgkmcnt(1)
	v_fmac_f64_e32 v[48:49], v[66:67], v[0:1]
	v_fmac_f64_e32 v[46:47], v[68:69], v[0:1]
	s_waitcnt lgkmcnt(0)
	v_fmac_f64_e32 v[44:45], v[66:67], v[70:71]
	v_fmac_f64_e32 v[42:43], v[68:69], v[70:71]
	ds_read2_b64 v[66:69], v62 offset0:160 offset1:176
	s_waitcnt lgkmcnt(0)
	v_fmac_f64_e32 v[48:49], v[66:67], v[2:3]
	v_fmac_f64_e32 v[46:47], v[68:69], v[2:3]
	v_fmac_f64_e32 v[44:45], v[66:67], v[72:73]
	v_fmac_f64_e32 v[42:43], v[68:69], v[72:73]
	ds_read_b128 v[0:3], v60 offset:112
	ds_read2_b64 v[66:69], v62 offset0:192 offset1:208
	ds_read_b128 v[70:73], v60 offset:4208
	s_waitcnt lgkmcnt(1)
	v_fmac_f64_e32 v[48:49], v[66:67], v[0:1]
	v_fmac_f64_e32 v[46:47], v[68:69], v[0:1]
	s_waitcnt lgkmcnt(0)
	v_fmac_f64_e32 v[44:45], v[66:67], v[70:71]
	v_fmac_f64_e32 v[42:43], v[68:69], v[70:71]
	ds_read2_b64 v[66:69], v62 offset0:224 offset1:240
	s_waitcnt lgkmcnt(0)
	v_fmac_f64_e32 v[48:49], v[66:67], v[2:3]
	v_fmac_f64_e32 v[46:47], v[68:69], v[2:3]
	v_fmac_f64_e32 v[44:45], v[66:67], v[72:73]
	v_fmac_f64_e32 v[42:43], v[68:69], v[72:73]
	ds_read_b128 v[0:3], v60 offset:128
	ds_read2_b64 v[66:69], v63 offset1:16
	ds_read_b128 v[70:73], v60 offset:4224
	s_waitcnt lgkmcnt(1)
	v_fmac_f64_e32 v[48:49], v[66:67], v[0:1]
	v_fmac_f64_e32 v[46:47], v[68:69], v[0:1]
	s_waitcnt lgkmcnt(0)
	v_fmac_f64_e32 v[44:45], v[66:67], v[70:71]
	v_fmac_f64_e32 v[42:43], v[68:69], v[70:71]
	ds_read2_b64 v[66:69], v63 offset0:32 offset1:48
	s_waitcnt lgkmcnt(0)
	v_fmac_f64_e32 v[48:49], v[66:67], v[2:3]
	v_fmac_f64_e32 v[46:47], v[68:69], v[2:3]
	v_fmac_f64_e32 v[44:45], v[66:67], v[72:73]
	v_fmac_f64_e32 v[42:43], v[68:69], v[72:73]
	ds_read_b128 v[0:3], v60 offset:144
	ds_read2_b64 v[66:69], v63 offset0:64 offset1:80
	ds_read_b128 v[70:73], v60 offset:4240
	s_waitcnt lgkmcnt(1)
	v_fmac_f64_e32 v[48:49], v[66:67], v[0:1]
	v_fmac_f64_e32 v[46:47], v[68:69], v[0:1]
	s_waitcnt lgkmcnt(0)
	v_fmac_f64_e32 v[44:45], v[66:67], v[70:71]
	v_fmac_f64_e32 v[42:43], v[68:69], v[70:71]
	ds_read2_b64 v[66:69], v63 offset0:96 offset1:112
	s_waitcnt lgkmcnt(0)
	v_fmac_f64_e32 v[48:49], v[66:67], v[2:3]
	v_fmac_f64_e32 v[46:47], v[68:69], v[2:3]
	v_fmac_f64_e32 v[44:45], v[66:67], v[72:73]
	v_fmac_f64_e32 v[42:43], v[68:69], v[72:73]
	ds_read_b128 v[0:3], v60 offset:160
	ds_read2_b64 v[66:69], v63 offset0:128 offset1:144
	ds_read_b128 v[70:73], v60 offset:4256
	s_waitcnt lgkmcnt(1)
	v_fmac_f64_e32 v[48:49], v[66:67], v[0:1]
	v_fmac_f64_e32 v[46:47], v[68:69], v[0:1]
	s_waitcnt lgkmcnt(0)
	v_fmac_f64_e32 v[44:45], v[66:67], v[70:71]
	v_fmac_f64_e32 v[42:43], v[68:69], v[70:71]
	ds_read2_b64 v[66:69], v63 offset0:160 offset1:176
	s_waitcnt lgkmcnt(0)
	v_fmac_f64_e32 v[48:49], v[66:67], v[2:3]
	v_fmac_f64_e32 v[46:47], v[68:69], v[2:3]
	v_fmac_f64_e32 v[44:45], v[66:67], v[72:73]
	v_fmac_f64_e32 v[42:43], v[68:69], v[72:73]
	ds_read_b128 v[0:3], v60 offset:176
	ds_read2_b64 v[66:69], v63 offset0:192 offset1:208
	ds_read_b128 v[70:73], v60 offset:4272
	s_waitcnt lgkmcnt(1)
	v_fmac_f64_e32 v[48:49], v[66:67], v[0:1]
	v_fmac_f64_e32 v[46:47], v[68:69], v[0:1]
	s_waitcnt lgkmcnt(0)
	v_fmac_f64_e32 v[44:45], v[66:67], v[70:71]
	v_fmac_f64_e32 v[42:43], v[68:69], v[70:71]
	ds_read2_b64 v[66:69], v63 offset0:224 offset1:240
	s_waitcnt lgkmcnt(0)
	v_fmac_f64_e32 v[48:49], v[66:67], v[2:3]
	v_fmac_f64_e32 v[46:47], v[68:69], v[2:3]
	v_fmac_f64_e32 v[44:45], v[66:67], v[72:73]
	v_fmac_f64_e32 v[42:43], v[68:69], v[72:73]
	ds_read_b128 v[0:3], v60 offset:192
	ds_read2_b64 v[66:69], v64 offset1:16
	ds_read_b128 v[70:73], v60 offset:4288
	s_waitcnt lgkmcnt(1)
	v_fmac_f64_e32 v[48:49], v[66:67], v[0:1]
	v_fmac_f64_e32 v[46:47], v[68:69], v[0:1]
	s_waitcnt lgkmcnt(0)
	v_fmac_f64_e32 v[44:45], v[66:67], v[70:71]
	v_fmac_f64_e32 v[42:43], v[68:69], v[70:71]
	ds_read2_b64 v[66:69], v64 offset0:32 offset1:48
	s_waitcnt lgkmcnt(0)
	v_fmac_f64_e32 v[48:49], v[66:67], v[2:3]
	v_fmac_f64_e32 v[46:47], v[68:69], v[2:3]
	v_fmac_f64_e32 v[44:45], v[66:67], v[72:73]
	v_fmac_f64_e32 v[42:43], v[68:69], v[72:73]
	ds_read_b128 v[0:3], v60 offset:208
	ds_read2_b64 v[66:69], v64 offset0:64 offset1:80
	ds_read_b128 v[70:73], v60 offset:4304
	s_waitcnt lgkmcnt(1)
	v_fmac_f64_e32 v[48:49], v[66:67], v[0:1]
	v_fmac_f64_e32 v[46:47], v[68:69], v[0:1]
	s_waitcnt lgkmcnt(0)
	v_fmac_f64_e32 v[44:45], v[66:67], v[70:71]
	v_fmac_f64_e32 v[42:43], v[68:69], v[70:71]
	ds_read2_b64 v[66:69], v64 offset0:96 offset1:112
	s_waitcnt lgkmcnt(0)
	v_fmac_f64_e32 v[48:49], v[66:67], v[2:3]
	v_fmac_f64_e32 v[46:47], v[68:69], v[2:3]
	v_fmac_f64_e32 v[44:45], v[66:67], v[72:73]
	v_fmac_f64_e32 v[42:43], v[68:69], v[72:73]
	ds_read_b128 v[0:3], v60 offset:224
	ds_read2_b64 v[66:69], v64 offset0:128 offset1:144
	ds_read_b128 v[70:73], v60 offset:4320
	s_waitcnt lgkmcnt(1)
	v_fmac_f64_e32 v[48:49], v[66:67], v[0:1]
	v_fmac_f64_e32 v[46:47], v[68:69], v[0:1]
	s_waitcnt lgkmcnt(0)
	v_fmac_f64_e32 v[44:45], v[66:67], v[70:71]
	v_fmac_f64_e32 v[42:43], v[68:69], v[70:71]
	ds_read2_b64 v[66:69], v64 offset0:160 offset1:176
	s_waitcnt lgkmcnt(0)
	v_fmac_f64_e32 v[48:49], v[66:67], v[2:3]
	v_fmac_f64_e32 v[46:47], v[68:69], v[2:3]
	v_fmac_f64_e32 v[44:45], v[66:67], v[72:73]
	v_fmac_f64_e32 v[42:43], v[68:69], v[72:73]
	ds_read_b128 v[0:3], v60 offset:240
	ds_read2_b64 v[66:69], v64 offset0:192 offset1:208
	ds_read_b128 v[70:73], v60 offset:4336
	s_waitcnt lgkmcnt(1)
	v_fmac_f64_e32 v[48:49], v[66:67], v[0:1]
	v_fmac_f64_e32 v[46:47], v[68:69], v[0:1]
	s_waitcnt lgkmcnt(0)
	v_fmac_f64_e32 v[44:45], v[66:67], v[70:71]
	v_fmac_f64_e32 v[42:43], v[68:69], v[70:71]
	ds_read2_b64 v[66:69], v64 offset0:224 offset1:240
	s_waitcnt lgkmcnt(0)
	s_barrier
	v_fmac_f64_e32 v[48:49], v[66:67], v[2:3]
	v_fmac_f64_e32 v[46:47], v[68:69], v[2:3]
	;; [unrolled: 1-line block ×4, first 2 shown]
	s_cbranch_scc1 .LBB37_43
.LBB37_7:                               ;   Parent Loop BB37_4 Depth=1
                                        ; =>  This Inner Loop Header: Depth=2
	v_lshl_add_u64 v[0:1], v[4:5], 0, s[40:41]
	v_cmp_le_i64_e64 s[16:17], s[42:43], v[0:1]
	v_cmp_eq_u64_e64 s[4:5], s[40:41], v[20:21]
	v_cmp_gt_i64_e64 s[14:15], v[0:1], v[10:11]
	s_and_b64 s[12:13], s[38:39], s[4:5]
	s_or_b64 s[4:5], s[16:17], s[14:15]
	s_or_b64 s[4:5], s[4:5], s[12:13]
	v_lshl_add_u64 v[2:3], v[54:55], 0, v[26:27]
	s_nor_b64 s[4:5], s[0:1], s[4:5]
                                        ; implicit-def: $vgpr58_vgpr59
	s_and_saveexec_b64 s[18:19], s[4:5]
	s_xor_b64 s[4:5], exec, s[18:19]
	s_cbranch_execz .LBB37_9
; %bb.8:                                ;   in Loop: Header=BB37_7 Depth=2
	global_load_dwordx2 v[58:59], v[2:3], off
.LBB37_9:                               ;   in Loop: Header=BB37_7 Depth=2
	s_andn2_saveexec_b64 s[4:5], s[4:5]
	s_cbranch_execz .LBB37_11
; %bb.10:                               ;   in Loop: Header=BB37_7 Depth=2
	v_cndmask_b32_e64 v7, 0, v37, s[12:13]
	s_waitcnt vmcnt(0)
	v_mov_b64_e32 v[58:59], v[6:7]
.LBB37_11:                              ;   in Loop: Header=BB37_7 Depth=2
	s_or_b64 exec, exec, s[4:5]
	v_cmp_eq_u64_e64 s[4:5], s[40:41], v[22:23]
	s_and_b64 s[18:19], s[38:39], s[4:5]
	v_cmp_lt_i64_e64 s[4:5], v[16:17], v[0:1]
	s_or_b64 s[4:5], s[16:17], s[4:5]
	s_or_b64 s[4:5], s[4:5], s[18:19]
	s_nor_b64 s[4:5], s[20:21], s[4:5]
	s_waitcnt vmcnt(0)
	ds_write_b64 v41, v[58:59]
	s_and_saveexec_b64 s[16:17], s[4:5]
	s_xor_b64 s[4:5], exec, s[16:17]
	s_cbranch_execz .LBB37_13
; %bb.12:                               ;   in Loop: Header=BB37_7 Depth=2
	global_load_dwordx2 v[2:3], v[2:3], off offset:128
	s_waitcnt vmcnt(0)
	ds_write_b64 v41, v[2:3] offset:128
.LBB37_13:                              ;   in Loop: Header=BB37_7 Depth=2
	s_andn2_saveexec_b64 s[4:5], s[4:5]
	s_cbranch_execz .LBB37_19
; %bb.14:                               ;   in Loop: Header=BB37_7 Depth=2
	s_xor_b64 s[16:17], s[18:19], -1
	s_and_saveexec_b64 s[18:19], s[16:17]
	s_xor_b64 s[16:17], exec, s[18:19]
; %bb.15:                               ;   in Loop: Header=BB37_7 Depth=2
	ds_write_b64 v41, v[38:39] offset:128
; %bb.16:                               ;   in Loop: Header=BB37_7 Depth=2
	s_andn2_saveexec_b64 s[16:17], s[16:17]
; %bb.17:                               ;   in Loop: Header=BB37_7 Depth=2
	ds_write_b64 v41, v[36:37] offset:128
; %bb.18:                               ;   in Loop: Header=BB37_7 Depth=2
	s_or_b64 exec, exec, s[16:17]
.LBB37_19:                              ;   in Loop: Header=BB37_7 Depth=2
	s_or_b64 exec, exec, s[4:5]
	v_lshl_add_u64 v[2:3], v[0:1], 0, 16
	v_cmp_eq_u64_e64 s[4:5], s[40:41], v[24:25]
	v_cmp_le_i64_e64 s[16:17], s[42:43], v[2:3]
	s_and_b64 s[18:19], s[38:39], s[4:5]
	v_cmp_gt_i64_e64 s[4:5], v[2:3], v[10:11]
	s_or_b64 s[4:5], s[16:17], s[4:5]
	s_or_b64 s[4:5], s[4:5], s[18:19]
	v_lshl_add_u64 v[0:1], v[56:57], 0, v[26:27]
	s_nor_b64 s[4:5], s[0:1], s[4:5]
                                        ; implicit-def: $vgpr2_vgpr3
	s_and_saveexec_b64 s[46:47], s[4:5]
	s_xor_b64 s[4:5], exec, s[46:47]
	s_cbranch_execz .LBB37_21
; %bb.20:                               ;   in Loop: Header=BB37_7 Depth=2
	global_load_dwordx2 v[2:3], v[0:1], off
.LBB37_21:                              ;   in Loop: Header=BB37_7 Depth=2
	s_andn2_saveexec_b64 s[4:5], s[4:5]
	s_cbranch_execz .LBB37_23
; %bb.22:                               ;   in Loop: Header=BB37_7 Depth=2
	v_cndmask_b32_e64 v7, 0, v37, s[18:19]
	s_waitcnt vmcnt(0)
	v_mov_b64_e32 v[2:3], v[6:7]
.LBB37_23:                              ;   in Loop: Header=BB37_7 Depth=2
	s_or_b64 exec, exec, s[4:5]
	s_or_b64 s[4:5], s[16:17], s[14:15]
	s_or_b64 s[4:5], s[4:5], s[12:13]
	s_nor_b64 s[4:5], s[20:21], s[4:5]
	s_waitcnt vmcnt(0)
	ds_write_b64 v41, v[2:3] offset:4096
	s_and_saveexec_b64 s[14:15], s[4:5]
	s_xor_b64 s[4:5], exec, s[14:15]
	s_cbranch_execz .LBB37_25
; %bb.24:                               ;   in Loop: Header=BB37_7 Depth=2
	global_load_dwordx2 v[0:1], v[0:1], off offset:128
	s_waitcnt vmcnt(0)
	ds_write_b64 v41, v[0:1] offset:4224
.LBB37_25:                              ;   in Loop: Header=BB37_7 Depth=2
	s_andn2_saveexec_b64 s[4:5], s[4:5]
	s_cbranch_execz .LBB37_31
; %bb.26:                               ;   in Loop: Header=BB37_7 Depth=2
	s_xor_b64 s[12:13], s[12:13], -1
	s_and_saveexec_b64 s[14:15], s[12:13]
	s_xor_b64 s[12:13], exec, s[14:15]
; %bb.27:                               ;   in Loop: Header=BB37_7 Depth=2
	ds_write_b64 v41, v[38:39] offset:4224
; %bb.28:                               ;   in Loop: Header=BB37_7 Depth=2
	s_andn2_saveexec_b64 s[12:13], s[12:13]
; %bb.29:                               ;   in Loop: Header=BB37_7 Depth=2
	ds_write_b64 v41, v[36:37] offset:4224
; %bb.30:                               ;   in Loop: Header=BB37_7 Depth=2
	s_or_b64 exec, exec, s[12:13]
.LBB37_31:                              ;   in Loop: Header=BB37_7 Depth=2
	s_or_b64 exec, exec, s[4:5]
	v_lshl_add_u64 v[0:1], v[8:9], 0, s[40:41]
	v_cmp_gt_i64_e64 s[12:13], s[42:43], v[0:1]
	s_and_b64 s[14:15], vcc, s[12:13]
	v_mov_b64_e32 v[2:3], 0
	s_and_saveexec_b64 s[4:5], s[14:15]
	s_cbranch_execz .LBB37_33
; %bb.32:                               ;   in Loop: Header=BB37_7 Depth=2
	global_load_dwordx2 v[2:3], v[50:51], off offset:-128
.LBB37_33:                              ;   in Loop: Header=BB37_7 Depth=2
	s_or_b64 exec, exec, s[4:5]
	v_cmp_gt_i64_e64 s[14:15], s[54:55], v[0:1]
	s_and_b64 s[4:5], vcc, s[14:15]
	s_xor_b64 s[4:5], s[4:5], -1
	s_waitcnt vmcnt(0)
	ds_write_b64 v61, v[2:3]
	s_and_saveexec_b64 s[16:17], s[4:5]
	s_xor_b64 s[4:5], exec, s[16:17]
; %bb.34:                               ;   in Loop: Header=BB37_7 Depth=2
	ds_write_b64 v61, v[38:39] offset:128
; %bb.35:                               ;   in Loop: Header=BB37_7 Depth=2
	s_andn2_saveexec_b64 s[4:5], s[4:5]
	s_cbranch_execz .LBB37_37
; %bb.36:                               ;   in Loop: Header=BB37_7 Depth=2
	global_load_dwordx2 v[0:1], v[50:51], off
	s_waitcnt vmcnt(0)
	ds_write_b64 v61, v[0:1] offset:128
.LBB37_37:                              ;   in Loop: Header=BB37_7 Depth=2
	s_or_b64 exec, exec, s[4:5]
	s_and_b64 s[12:13], s[10:11], s[12:13]
	v_mov_b64_e32 v[0:1], 0
	s_and_saveexec_b64 s[4:5], s[12:13]
	s_cbranch_execz .LBB37_39
; %bb.38:                               ;   in Loop: Header=BB37_7 Depth=2
	global_load_dwordx2 v[0:1], v[52:53], off offset:-128
.LBB37_39:                              ;   in Loop: Header=BB37_7 Depth=2
	s_or_b64 exec, exec, s[4:5]
	s_and_b64 s[4:5], s[10:11], s[14:15]
	s_xor_b64 s[4:5], s[4:5], -1
	s_waitcnt vmcnt(0)
	ds_write_b64 v61, v[0:1] offset:4096
	s_and_saveexec_b64 s[12:13], s[4:5]
	s_xor_b64 s[4:5], exec, s[12:13]
; %bb.40:                               ;   in Loop: Header=BB37_7 Depth=2
	ds_write_b64 v61, v[38:39] offset:4224
; %bb.41:                               ;   in Loop: Header=BB37_7 Depth=2
	s_andn2_saveexec_b64 s[4:5], s[4:5]
	s_cbranch_execz .LBB37_6
; %bb.42:                               ;   in Loop: Header=BB37_7 Depth=2
	global_load_dwordx2 v[0:1], v[52:53], off
	s_waitcnt vmcnt(0)
	ds_write_b64 v61, v[0:1] offset:4224
	s_branch .LBB37_6
.LBB37_43:                              ;   in Loop: Header=BB37_4 Depth=1
	v_mul_lo_u32 v2, s25, v40
	v_mul_lo_u32 v3, s24, v15
	v_mad_u64_u32 v[0:1], s[4:5], s24, v40, 0
	v_cmp_gt_i32_e32 vcc, s30, v40
	v_add3_u32 v1, v1, v3, v2
	v_lshl_add_u64 v[0:1], v[0:1], 3, s[26:27]
	s_and_b64 s[10:11], s[22:23], vcc
	s_and_saveexec_b64 s[4:5], s[10:11]
	s_cbranch_execz .LBB37_45
; %bb.44:                               ;   in Loop: Header=BB37_4 Depth=1
	v_lshl_add_u64 v[2:3], v[10:11], 3, v[0:1]
	global_load_dwordx2 v[50:51], v[2:3], off
	s_waitcnt vmcnt(0)
	v_fmac_f64_e32 v[50:51], s[34:35], v[48:49]
	global_store_dwordx2 v[2:3], v[50:51], off
.LBB37_45:                              ;   in Loop: Header=BB37_4 Depth=1
	s_or_b64 exec, exec, s[4:5]
	s_and_b64 s[10:11], s[6:7], vcc
	s_and_saveexec_b64 s[4:5], s[10:11]
	s_cbranch_execz .LBB37_47
; %bb.46:                               ;   in Loop: Header=BB37_4 Depth=1
	v_lshl_add_u64 v[0:1], v[18:19], 3, v[0:1]
	global_load_dwordx2 v[2:3], v[0:1], off
	s_waitcnt vmcnt(0)
	v_fmac_f64_e32 v[2:3], s[34:35], v[46:47]
	global_store_dwordx2 v[0:1], v[2:3], off
.LBB37_47:                              ;   in Loop: Header=BB37_4 Depth=1
	s_or_b64 exec, exec, s[4:5]
	v_add_u32_e32 v0, 16, v40
	v_ashrrev_i32_e32 v1, 31, v0
	v_cmp_gt_i32_e32 vcc, s30, v0
	v_mul_lo_u32 v2, s24, v1
	v_mul_lo_u32 v3, s25, v0
	v_mad_u64_u32 v[0:1], s[4:5], s24, v0, 0
	v_add3_u32 v1, v1, v2, v3
	v_lshl_add_u64 v[0:1], v[0:1], 3, s[26:27]
	s_and_b64 s[10:11], s[22:23], vcc
	s_and_saveexec_b64 s[4:5], s[10:11]
	s_cbranch_execz .LBB37_49
; %bb.48:                               ;   in Loop: Header=BB37_4 Depth=1
	v_lshl_add_u64 v[2:3], v[10:11], 3, v[0:1]
	global_load_dwordx2 v[46:47], v[2:3], off
	s_waitcnt vmcnt(0)
	v_fmac_f64_e32 v[46:47], s[34:35], v[44:45]
	global_store_dwordx2 v[2:3], v[46:47], off
.LBB37_49:                              ;   in Loop: Header=BB37_4 Depth=1
	s_or_b64 exec, exec, s[4:5]
	s_and_b64 s[10:11], s[6:7], vcc
	s_and_saveexec_b64 s[4:5], s[10:11]
	s_cbranch_execz .LBB37_3
; %bb.50:                               ;   in Loop: Header=BB37_4 Depth=1
	v_lshl_add_u64 v[0:1], v[18:19], 3, v[0:1]
	global_load_dwordx2 v[2:3], v[0:1], off
	s_waitcnt vmcnt(0)
	v_fmac_f64_e32 v[2:3], s[34:35], v[42:43]
	global_store_dwordx2 v[0:1], v[2:3], off
	s_branch .LBB37_3
.LBB37_51:
	s_endpgm
	.section	.rodata,"a",@progbits
	.p2align	6, 0x0
	.amdhsa_kernel _ZL30rocblas_trmm_outofplace_kernelIdLi32ELi2ELb1ELb0ELb0ELb0EdKddEv17rocblas_diagonal_iiT6_lPT7_lllS4_lllPT8_llli
		.amdhsa_group_segment_fixed_size 16384
		.amdhsa_private_segment_fixed_size 0
		.amdhsa_kernarg_size 392
		.amdhsa_user_sgpr_count 2
		.amdhsa_user_sgpr_dispatch_ptr 0
		.amdhsa_user_sgpr_queue_ptr 0
		.amdhsa_user_sgpr_kernarg_segment_ptr 1
		.amdhsa_user_sgpr_dispatch_id 0
		.amdhsa_user_sgpr_kernarg_preload_length 0
		.amdhsa_user_sgpr_kernarg_preload_offset 0
		.amdhsa_user_sgpr_private_segment_size 0
		.amdhsa_uses_dynamic_stack 0
		.amdhsa_enable_private_segment 0
		.amdhsa_system_sgpr_workgroup_id_x 1
		.amdhsa_system_sgpr_workgroup_id_y 1
		.amdhsa_system_sgpr_workgroup_id_z 1
		.amdhsa_system_sgpr_workgroup_info 0
		.amdhsa_system_vgpr_workitem_id 1
		.amdhsa_next_free_vgpr 86
		.amdhsa_next_free_sgpr 57
		.amdhsa_accum_offset 88
		.amdhsa_reserve_vcc 1
		.amdhsa_float_round_mode_32 0
		.amdhsa_float_round_mode_16_64 0
		.amdhsa_float_denorm_mode_32 3
		.amdhsa_float_denorm_mode_16_64 3
		.amdhsa_dx10_clamp 1
		.amdhsa_ieee_mode 1
		.amdhsa_fp16_overflow 0
		.amdhsa_tg_split 0
		.amdhsa_exception_fp_ieee_invalid_op 0
		.amdhsa_exception_fp_denorm_src 0
		.amdhsa_exception_fp_ieee_div_zero 0
		.amdhsa_exception_fp_ieee_overflow 0
		.amdhsa_exception_fp_ieee_underflow 0
		.amdhsa_exception_fp_ieee_inexact 0
		.amdhsa_exception_int_div_zero 0
	.end_amdhsa_kernel
	.section	.text._ZL30rocblas_trmm_outofplace_kernelIdLi32ELi2ELb1ELb0ELb0ELb0EdKddEv17rocblas_diagonal_iiT6_lPT7_lllS4_lllPT8_llli,"axG",@progbits,_ZL30rocblas_trmm_outofplace_kernelIdLi32ELi2ELb1ELb0ELb0ELb0EdKddEv17rocblas_diagonal_iiT6_lPT7_lllS4_lllPT8_llli,comdat
.Lfunc_end37:
	.size	_ZL30rocblas_trmm_outofplace_kernelIdLi32ELi2ELb1ELb0ELb0ELb0EdKddEv17rocblas_diagonal_iiT6_lPT7_lllS4_lllPT8_llli, .Lfunc_end37-_ZL30rocblas_trmm_outofplace_kernelIdLi32ELi2ELb1ELb0ELb0ELb0EdKddEv17rocblas_diagonal_iiT6_lPT7_lllS4_lllPT8_llli
                                        ; -- End function
	.set _ZL30rocblas_trmm_outofplace_kernelIdLi32ELi2ELb1ELb0ELb0ELb0EdKddEv17rocblas_diagonal_iiT6_lPT7_lllS4_lllPT8_llli.num_vgpr, 86
	.set _ZL30rocblas_trmm_outofplace_kernelIdLi32ELi2ELb1ELb0ELb0ELb0EdKddEv17rocblas_diagonal_iiT6_lPT7_lllS4_lllPT8_llli.num_agpr, 0
	.set _ZL30rocblas_trmm_outofplace_kernelIdLi32ELi2ELb1ELb0ELb0ELb0EdKddEv17rocblas_diagonal_iiT6_lPT7_lllS4_lllPT8_llli.numbered_sgpr, 57
	.set _ZL30rocblas_trmm_outofplace_kernelIdLi32ELi2ELb1ELb0ELb0ELb0EdKddEv17rocblas_diagonal_iiT6_lPT7_lllS4_lllPT8_llli.num_named_barrier, 0
	.set _ZL30rocblas_trmm_outofplace_kernelIdLi32ELi2ELb1ELb0ELb0ELb0EdKddEv17rocblas_diagonal_iiT6_lPT7_lllS4_lllPT8_llli.private_seg_size, 0
	.set _ZL30rocblas_trmm_outofplace_kernelIdLi32ELi2ELb1ELb0ELb0ELb0EdKddEv17rocblas_diagonal_iiT6_lPT7_lllS4_lllPT8_llli.uses_vcc, 1
	.set _ZL30rocblas_trmm_outofplace_kernelIdLi32ELi2ELb1ELb0ELb0ELb0EdKddEv17rocblas_diagonal_iiT6_lPT7_lllS4_lllPT8_llli.uses_flat_scratch, 0
	.set _ZL30rocblas_trmm_outofplace_kernelIdLi32ELi2ELb1ELb0ELb0ELb0EdKddEv17rocblas_diagonal_iiT6_lPT7_lllS4_lllPT8_llli.has_dyn_sized_stack, 0
	.set _ZL30rocblas_trmm_outofplace_kernelIdLi32ELi2ELb1ELb0ELb0ELb0EdKddEv17rocblas_diagonal_iiT6_lPT7_lllS4_lllPT8_llli.has_recursion, 0
	.set _ZL30rocblas_trmm_outofplace_kernelIdLi32ELi2ELb1ELb0ELb0ELb0EdKddEv17rocblas_diagonal_iiT6_lPT7_lllS4_lllPT8_llli.has_indirect_call, 0
	.section	.AMDGPU.csdata,"",@progbits
; Kernel info:
; codeLenInByte = 3040
; TotalNumSgprs: 63
; NumVgprs: 86
; NumAgprs: 0
; TotalNumVgprs: 86
; ScratchSize: 0
; MemoryBound: 0
; FloatMode: 240
; IeeeMode: 1
; LDSByteSize: 16384 bytes/workgroup (compile time only)
; SGPRBlocks: 7
; VGPRBlocks: 10
; NumSGPRsForWavesPerEU: 63
; NumVGPRsForWavesPerEU: 86
; AccumOffset: 88
; Occupancy: 5
; WaveLimiterHint : 0
; COMPUTE_PGM_RSRC2:SCRATCH_EN: 0
; COMPUTE_PGM_RSRC2:USER_SGPR: 2
; COMPUTE_PGM_RSRC2:TRAP_HANDLER: 0
; COMPUTE_PGM_RSRC2:TGID_X_EN: 1
; COMPUTE_PGM_RSRC2:TGID_Y_EN: 1
; COMPUTE_PGM_RSRC2:TGID_Z_EN: 1
; COMPUTE_PGM_RSRC2:TIDIG_COMP_CNT: 1
; COMPUTE_PGM_RSRC3_GFX90A:ACCUM_OFFSET: 21
; COMPUTE_PGM_RSRC3_GFX90A:TG_SPLIT: 0
	.section	.text._ZL30rocblas_trmm_outofplace_kernelIdLi32ELi2ELb1ELb1ELb0ELb0EPKdS0_dEv17rocblas_diagonal_iiT6_lPT7_lllS5_lllPT8_llli,"axG",@progbits,_ZL30rocblas_trmm_outofplace_kernelIdLi32ELi2ELb1ELb1ELb0ELb0EPKdS0_dEv17rocblas_diagonal_iiT6_lPT7_lllS5_lllPT8_llli,comdat
	.globl	_ZL30rocblas_trmm_outofplace_kernelIdLi32ELi2ELb1ELb1ELb0ELb0EPKdS0_dEv17rocblas_diagonal_iiT6_lPT7_lllS5_lllPT8_llli ; -- Begin function _ZL30rocblas_trmm_outofplace_kernelIdLi32ELi2ELb1ELb1ELb0ELb0EPKdS0_dEv17rocblas_diagonal_iiT6_lPT7_lllS5_lllPT8_llli
	.p2align	8
	.type	_ZL30rocblas_trmm_outofplace_kernelIdLi32ELi2ELb1ELb1ELb0ELb0EPKdS0_dEv17rocblas_diagonal_iiT6_lPT7_lllS5_lllPT8_llli,@function
_ZL30rocblas_trmm_outofplace_kernelIdLi32ELi2ELb1ELb1ELb0ELb0EPKdS0_dEv17rocblas_diagonal_iiT6_lPT7_lllS5_lllPT8_llli: ; @_ZL30rocblas_trmm_outofplace_kernelIdLi32ELi2ELb1ELb1ELb0ELb0EPKdS0_dEv17rocblas_diagonal_iiT6_lPT7_lllS5_lllPT8_llli
; %bb.0:
	s_load_dwordx16 s[36:51], s[0:1], 0x10
	s_waitcnt lgkmcnt(0)
	s_mul_i32 s5, s39, s4
	s_mul_hi_u32 s6, s38, s4
	s_add_i32 s7, s6, s5
	s_mul_i32 s6, s38, s4
	s_lshl_b64 s[6:7], s[6:7], 3
	s_add_u32 s6, s36, s6
	s_addc_u32 s7, s37, s7
	s_load_dwordx2 s[22:23], s[6:7], 0x0
	s_waitcnt lgkmcnt(0)
	v_cmp_eq_f64_e64 s[6:7], s[22:23], 0
	s_and_b64 vcc, exec, s[6:7]
	s_cbranch_vccnz .LBB38_52
; %bb.1:
	s_load_dwordx4 s[36:39], s[0:1], 0x0
	s_waitcnt lgkmcnt(0)
	s_add_i32 s5, s38, -1
	s_ashr_i32 s6, s5, 31
	s_lshr_b32 s6, s6, 27
	s_add_i32 s5, s5, s6
	s_ashr_i32 s33, s5, 5
	s_cmp_gt_i32 s3, s33
	s_cbranch_scc1 .LBB38_52
; %bb.2:
	s_load_dwordx8 s[24:31], s[0:1], 0x50
	s_load_dwordx4 s[52:55], s[0:1], 0x70
	s_mul_i32 s5, s47, s4
	s_mul_hi_u32 s6, s46, s4
	s_add_i32 s7, s6, s5
	s_mul_i32 s6, s46, s4
	s_lshl_b64 s[8:9], s[6:7], 3
	s_add_u32 s5, s40, s8
	s_addc_u32 s7, s41, s9
	s_lshl_b64 s[10:11], s[42:43], 3
	s_add_u32 s6, s5, s10
	s_load_dword s39, s[0:1], 0x8c
	s_waitcnt lgkmcnt(0)
	s_mul_i32 s0, s55, s4
	s_mul_hi_u32 s1, s54, s4
	s_addc_u32 s7, s7, s11
	s_add_i32 s1, s1, s0
	s_mul_i32 s0, s54, s4
	s_lshl_b64 s[0:1], s[0:1], 3
	s_add_u32 s5, s28, s0
	s_addc_u32 s12, s29, s1
	s_lshl_b64 s[0:1], s[30:31], 3
	s_add_u32 s28, s5, s0
	v_bfe_u32 v54, v0, 10, 10
	s_addc_u32 s29, s12, s1
	s_lshl_b32 s2, s2, 5
	v_and_b32_e32 v2, 0x3ff, v0
	v_add_u32_e32 v4, s2, v54
	v_add_u32_e32 v6, s2, v2
	s_sub_i32 s2, s37, s2
	s_cmp_gt_i32 s2, 0
	s_cselect_b64 s[30:31], -1, 0
	s_cmpk_eq_i32 s36, 0x84
	s_cselect_b64 s[34:35], -1, 0
	s_ashr_i32 s43, s37, 31
	s_ashr_i32 s56, s38, 31
	s_lshl_b64 s[46:47], s[44:45], 8
	s_add_u32 s54, s37, -16
	s_addc_u32 s55, s43, -1
	v_ashrrev_i32_e32 v5, 31, v4
	s_add_u32 s5, s40, s10
	v_mul_lo_u32 v3, s44, v5
	v_mul_lo_u32 v8, s45, v4
	v_mad_u64_u32 v[0:1], s[0:1], s44, v4, 0
	s_addc_u32 s10, s41, s11
	v_add3_u32 v1, v1, v3, v8
	s_add_u32 s8, s5, s8
	v_lshl_add_u64 v[8:9], v[0:1], 3, s[6:7]
	v_lshlrev_b32_e32 v0, 8, v54
	v_lshlrev_b32_e32 v55, 3, v2
	v_mov_b64_e32 v[22:23], 0x80
	s_addc_u32 s9, s10, s9
	v_add_u32_e32 v56, v55, v0
	v_add_u32_e32 v57, 0x2000, v0
	v_lshl_add_u64 v[0:1], v[4:5], 3, v[22:23]
	v_mov_b64_e32 v[2:3], s[8:9]
	v_mad_u64_u32 v[24:25], s[8:9], s44, v0, v[2:3]
	s_mul_i32 s5, s27, s4
	s_mul_hi_u32 s8, s26, s4
	s_add_i32 s5, s8, s5
	s_mul_i32 s4, s26, s4
	s_lshl_b64 s[4:5], s[4:5], 3
	s_lshl_b64 s[8:9], s[50:51], 3
	s_add_u32 s4, s4, s8
	s_addc_u32 s5, s5, s9
	s_add_u32 s26, s48, s4
	v_ashrrev_i32_e32 v7, 31, v6
	v_sub_co_u32_e32 v14, vcc, v6, v4
	s_addc_u32 s27, s49, s5
	s_mov_b32 s42, s37
	v_lshl_add_u64 v[10:11], v[6:7], 0, 16
	v_add_u32_e32 v12, 16, v6
	v_subb_co_u32_e32 v15, vcc, v7, v5, vcc
	v_mul_lo_u32 v1, s44, v1
	v_mul_lo_u32 v0, s45, v0
	s_add_u32 s36, s26, 0x80
	v_mov_b32_e32 v28, 0
	v_add_u32_e32 v58, v57, v55
	v_cmp_le_i32_e64 s[0:1], s37, v6
	v_cmp_le_i64_e64 s[18:19], s[42:43], v[10:11]
	v_cmp_gt_i32_e64 s[20:21], s37, v6
	v_cmp_gt_i32_e64 s[6:7], s37, v12
	v_ashrrev_i32_e32 v13, 31, v12
	v_lshl_add_u64 v[16:17], v[14:15], 0, 16
	v_lshl_add_u64 v[18:19], v[14:15], 0, -16
	v_lshlrev_b64 v[20:21], 3, v[6:7]
	v_add3_u32 v25, v0, v25, v1
	s_addc_u32 s37, s27, 0
	s_lshl_b64 s[40:41], s[24:25], 3
	v_lshl_add_u32 v26, s3, 5, v54
	s_lshl_b32 s50, s39, 5
	s_mov_b64 s[44:45], 0x100
	v_mov_b32_e32 v31, 0x3ff00000
	v_mov_b32_e32 v32, 0
	;; [unrolled: 1-line block ×4, first 2 shown]
	v_add_u32_e32 v59, 0x800, v55
	v_add_u32_e32 v60, 0x1000, v55
	;; [unrolled: 1-line block ×3, first 2 shown]
	s_branch .LBB38_4
.LBB38_3:                               ;   in Loop: Header=BB38_4 Depth=1
	s_or_b64 exec, exec, s[4:5]
	s_add_i32 s3, s39, s3
	s_cmp_le_i32 s3, s33
	v_add_u32_e32 v26, s50, v26
	s_cbranch_scc0 .LBB38_52
.LBB38_4:                               ; =>This Loop Header: Depth=1
                                        ;     Child Loop BB38_7 Depth 2
	v_lshl_add_u32 v34, s3, 5, v54
	s_andn2_b64 vcc, exec, s[30:31]
	v_ashrrev_i32_e32 v35, 31, v34
	s_cbranch_vccnz .LBB38_43
; %bb.5:                                ;   in Loop: Header=BB38_4 Depth=1
	v_ashrrev_i32_e32 v27, 31, v26
	v_mov_b64_e32 v[0:1], s[36:37]
	v_mad_u64_u32 v[44:45], s[4:5], s40, v26, v[0:1]
	v_mul_lo_u32 v0, s41, v26
	v_mul_lo_u32 v1, s40, v27
	v_add3_u32 v45, v0, v45, v1
	v_lshl_add_u64 v[0:1], v[26:27], 3, v[22:23]
	v_mov_b64_e32 v[2:3], s[26:27]
	v_mul_lo_u32 v1, s24, v1
	v_mul_lo_u32 v27, s25, v0
	v_mad_u64_u32 v[46:47], s[4:5], s24, v0, v[2:3]
	v_add3_u32 v47, v27, v47, v1
	v_mov_b32_e32 v1, s56
	v_sub_co_u32_e32 v0, vcc, s38, v34
	s_mov_b64 s[48:49], 0
	s_nop 0
	v_subb_co_u32_e32 v1, vcc, v1, v35, vcc
	v_cmp_lt_i64_e32 vcc, 0, v[0:1]
	v_cmp_lt_i64_e64 s[8:9], 16, v[0:1]
	v_mov_b64_e32 v[36:37], 0
	v_mov_b64_e32 v[48:49], v[8:9]
	;; [unrolled: 1-line block ×6, first 2 shown]
	s_branch .LBB38_7
.LBB38_6:                               ;   in Loop: Header=BB38_7 Depth=2
	s_or_b64 exec, exec, s[4:5]
	s_waitcnt lgkmcnt(0)
	s_barrier
	ds_read_b128 v[62:65], v57
	ds_read_b128 v[66:69], v57 offset:16
	ds_read_b128 v[70:73], v57 offset:32
	;; [unrolled: 1-line block ×3, first 2 shown]
	ds_read2_b64 v[74:77], v55 offset1:16
	ds_read_b128 v[78:81], v57 offset:4096
	s_add_u32 s48, s48, 32
	s_addc_u32 s49, s49, 0
	v_lshl_add_u64 v[50:51], v[50:51], 0, s[46:47]
	s_waitcnt lgkmcnt(1)
	v_fmac_f64_e32 v[42:43], v[74:75], v[62:63]
	v_fmac_f64_e32 v[40:41], v[76:77], v[62:63]
	s_waitcnt lgkmcnt(0)
	v_fmac_f64_e32 v[38:39], v[74:75], v[78:79]
	v_fmac_f64_e32 v[36:37], v[76:77], v[78:79]
	ds_read2_b64 v[74:77], v55 offset0:32 offset1:48
	v_lshl_add_u64 v[44:45], v[44:45], 0, s[44:45]
	v_lshl_add_u64 v[48:49], v[48:49], 0, s[46:47]
	;; [unrolled: 1-line block ×3, first 2 shown]
	s_cmp_ge_i32 s48, s2
	s_waitcnt lgkmcnt(0)
	v_fmac_f64_e32 v[42:43], v[74:75], v[64:65]
	v_fmac_f64_e32 v[40:41], v[76:77], v[64:65]
	v_fmac_f64_e32 v[38:39], v[74:75], v[80:81]
	v_fmac_f64_e32 v[36:37], v[76:77], v[80:81]
	ds_read2_b64 v[62:65], v55 offset0:64 offset1:80
	ds_read_b128 v[74:77], v57 offset:4112
	s_waitcnt lgkmcnt(1)
	v_fmac_f64_e32 v[42:43], v[62:63], v[66:67]
	v_fmac_f64_e32 v[40:41], v[64:65], v[66:67]
	s_waitcnt lgkmcnt(0)
	v_fmac_f64_e32 v[38:39], v[62:63], v[74:75]
	v_fmac_f64_e32 v[36:37], v[64:65], v[74:75]
	ds_read2_b64 v[62:65], v55 offset0:96 offset1:112
	s_waitcnt lgkmcnt(0)
	v_fmac_f64_e32 v[42:43], v[62:63], v[68:69]
	v_fmac_f64_e32 v[40:41], v[64:65], v[68:69]
	v_fmac_f64_e32 v[38:39], v[62:63], v[76:77]
	v_fmac_f64_e32 v[36:37], v[64:65], v[76:77]
	ds_read2_b64 v[62:65], v55 offset0:128 offset1:144
	ds_read_b128 v[66:69], v57 offset:4128
	s_waitcnt lgkmcnt(1)
	v_fmac_f64_e32 v[42:43], v[62:63], v[70:71]
	v_fmac_f64_e32 v[40:41], v[64:65], v[70:71]
	s_waitcnt lgkmcnt(0)
	v_fmac_f64_e32 v[38:39], v[62:63], v[66:67]
	v_fmac_f64_e32 v[36:37], v[64:65], v[66:67]
	ds_read2_b64 v[62:65], v55 offset0:160 offset1:176
	;; [unrolled: 14-line block ×3, first 2 shown]
	s_waitcnt lgkmcnt(0)
	v_fmac_f64_e32 v[42:43], v[62:63], v[2:3]
	v_fmac_f64_e32 v[40:41], v[64:65], v[2:3]
	v_fmac_f64_e32 v[38:39], v[62:63], v[68:69]
	v_fmac_f64_e32 v[36:37], v[64:65], v[68:69]
	ds_read_b128 v[0:3], v57 offset:64
	ds_read2_b64 v[62:65], v59 offset1:16
	ds_read_b128 v[66:69], v57 offset:4160
	s_waitcnt lgkmcnt(1)
	v_fmac_f64_e32 v[42:43], v[62:63], v[0:1]
	v_fmac_f64_e32 v[40:41], v[64:65], v[0:1]
	s_waitcnt lgkmcnt(0)
	v_fmac_f64_e32 v[38:39], v[62:63], v[66:67]
	v_fmac_f64_e32 v[36:37], v[64:65], v[66:67]
	ds_read2_b64 v[62:65], v59 offset0:32 offset1:48
	s_waitcnt lgkmcnt(0)
	v_fmac_f64_e32 v[42:43], v[62:63], v[2:3]
	v_fmac_f64_e32 v[40:41], v[64:65], v[2:3]
	v_fmac_f64_e32 v[38:39], v[62:63], v[68:69]
	v_fmac_f64_e32 v[36:37], v[64:65], v[68:69]
	ds_read_b128 v[0:3], v57 offset:80
	ds_read2_b64 v[62:65], v59 offset0:64 offset1:80
	ds_read_b128 v[66:69], v57 offset:4176
	s_waitcnt lgkmcnt(1)
	v_fmac_f64_e32 v[42:43], v[62:63], v[0:1]
	v_fmac_f64_e32 v[40:41], v[64:65], v[0:1]
	s_waitcnt lgkmcnt(0)
	v_fmac_f64_e32 v[38:39], v[62:63], v[66:67]
	v_fmac_f64_e32 v[36:37], v[64:65], v[66:67]
	ds_read2_b64 v[62:65], v59 offset0:96 offset1:112
	s_waitcnt lgkmcnt(0)
	v_fmac_f64_e32 v[42:43], v[62:63], v[2:3]
	v_fmac_f64_e32 v[40:41], v[64:65], v[2:3]
	v_fmac_f64_e32 v[38:39], v[62:63], v[68:69]
	v_fmac_f64_e32 v[36:37], v[64:65], v[68:69]
	ds_read_b128 v[0:3], v57 offset:96
	ds_read2_b64 v[62:65], v59 offset0:128 offset1:144
	ds_read_b128 v[66:69], v57 offset:4192
	s_waitcnt lgkmcnt(1)
	v_fmac_f64_e32 v[42:43], v[62:63], v[0:1]
	v_fmac_f64_e32 v[40:41], v[64:65], v[0:1]
	s_waitcnt lgkmcnt(0)
	v_fmac_f64_e32 v[38:39], v[62:63], v[66:67]
	v_fmac_f64_e32 v[36:37], v[64:65], v[66:67]
	ds_read2_b64 v[62:65], v59 offset0:160 offset1:176
	s_waitcnt lgkmcnt(0)
	v_fmac_f64_e32 v[42:43], v[62:63], v[2:3]
	v_fmac_f64_e32 v[40:41], v[64:65], v[2:3]
	v_fmac_f64_e32 v[38:39], v[62:63], v[68:69]
	v_fmac_f64_e32 v[36:37], v[64:65], v[68:69]
	ds_read_b128 v[0:3], v57 offset:112
	ds_read2_b64 v[62:65], v59 offset0:192 offset1:208
	ds_read_b128 v[66:69], v57 offset:4208
	s_waitcnt lgkmcnt(1)
	v_fmac_f64_e32 v[42:43], v[62:63], v[0:1]
	v_fmac_f64_e32 v[40:41], v[64:65], v[0:1]
	s_waitcnt lgkmcnt(0)
	v_fmac_f64_e32 v[38:39], v[62:63], v[66:67]
	v_fmac_f64_e32 v[36:37], v[64:65], v[66:67]
	ds_read2_b64 v[62:65], v59 offset0:224 offset1:240
	s_waitcnt lgkmcnt(0)
	v_fmac_f64_e32 v[42:43], v[62:63], v[2:3]
	v_fmac_f64_e32 v[40:41], v[64:65], v[2:3]
	v_fmac_f64_e32 v[38:39], v[62:63], v[68:69]
	v_fmac_f64_e32 v[36:37], v[64:65], v[68:69]
	ds_read_b128 v[0:3], v57 offset:128
	ds_read2_b64 v[62:65], v60 offset1:16
	ds_read_b128 v[66:69], v57 offset:4224
	s_waitcnt lgkmcnt(1)
	v_fmac_f64_e32 v[42:43], v[62:63], v[0:1]
	v_fmac_f64_e32 v[40:41], v[64:65], v[0:1]
	s_waitcnt lgkmcnt(0)
	v_fmac_f64_e32 v[38:39], v[62:63], v[66:67]
	v_fmac_f64_e32 v[36:37], v[64:65], v[66:67]
	ds_read2_b64 v[62:65], v60 offset0:32 offset1:48
	s_waitcnt lgkmcnt(0)
	v_fmac_f64_e32 v[42:43], v[62:63], v[2:3]
	v_fmac_f64_e32 v[40:41], v[64:65], v[2:3]
	v_fmac_f64_e32 v[38:39], v[62:63], v[68:69]
	v_fmac_f64_e32 v[36:37], v[64:65], v[68:69]
	ds_read_b128 v[0:3], v57 offset:144
	ds_read2_b64 v[62:65], v60 offset0:64 offset1:80
	ds_read_b128 v[66:69], v57 offset:4240
	s_waitcnt lgkmcnt(1)
	v_fmac_f64_e32 v[42:43], v[62:63], v[0:1]
	v_fmac_f64_e32 v[40:41], v[64:65], v[0:1]
	s_waitcnt lgkmcnt(0)
	v_fmac_f64_e32 v[38:39], v[62:63], v[66:67]
	v_fmac_f64_e32 v[36:37], v[64:65], v[66:67]
	ds_read2_b64 v[62:65], v60 offset0:96 offset1:112
	s_waitcnt lgkmcnt(0)
	v_fmac_f64_e32 v[42:43], v[62:63], v[2:3]
	v_fmac_f64_e32 v[40:41], v[64:65], v[2:3]
	v_fmac_f64_e32 v[38:39], v[62:63], v[68:69]
	v_fmac_f64_e32 v[36:37], v[64:65], v[68:69]
	ds_read_b128 v[0:3], v57 offset:160
	ds_read2_b64 v[62:65], v60 offset0:128 offset1:144
	ds_read_b128 v[66:69], v57 offset:4256
	s_waitcnt lgkmcnt(1)
	v_fmac_f64_e32 v[42:43], v[62:63], v[0:1]
	v_fmac_f64_e32 v[40:41], v[64:65], v[0:1]
	s_waitcnt lgkmcnt(0)
	v_fmac_f64_e32 v[38:39], v[62:63], v[66:67]
	v_fmac_f64_e32 v[36:37], v[64:65], v[66:67]
	ds_read2_b64 v[62:65], v60 offset0:160 offset1:176
	s_waitcnt lgkmcnt(0)
	v_fmac_f64_e32 v[42:43], v[62:63], v[2:3]
	v_fmac_f64_e32 v[40:41], v[64:65], v[2:3]
	v_fmac_f64_e32 v[38:39], v[62:63], v[68:69]
	v_fmac_f64_e32 v[36:37], v[64:65], v[68:69]
	ds_read_b128 v[0:3], v57 offset:176
	ds_read2_b64 v[62:65], v60 offset0:192 offset1:208
	ds_read_b128 v[66:69], v57 offset:4272
	s_waitcnt lgkmcnt(1)
	v_fmac_f64_e32 v[42:43], v[62:63], v[0:1]
	v_fmac_f64_e32 v[40:41], v[64:65], v[0:1]
	s_waitcnt lgkmcnt(0)
	v_fmac_f64_e32 v[38:39], v[62:63], v[66:67]
	v_fmac_f64_e32 v[36:37], v[64:65], v[66:67]
	ds_read2_b64 v[62:65], v60 offset0:224 offset1:240
	;; [unrolled: 60-line block ×3, first 2 shown]
	s_waitcnt lgkmcnt(0)
	s_barrier
	v_fmac_f64_e32 v[42:43], v[62:63], v[2:3]
	v_fmac_f64_e32 v[40:41], v[64:65], v[2:3]
	;; [unrolled: 1-line block ×4, first 2 shown]
	s_cbranch_scc1 .LBB38_44
.LBB38_7:                               ;   Parent Loop BB38_4 Depth=1
                                        ; =>  This Inner Loop Header: Depth=2
	v_lshl_add_u64 v[0:1], v[4:5], 0, s[48:49]
	v_cmp_le_i64_e64 s[14:15], s[42:43], v[0:1]
	v_cmp_eq_u64_e64 s[4:5], s[48:49], v[14:15]
	v_cmp_lt_i64_e64 s[12:13], v[0:1], v[6:7]
	s_and_b64 s[10:11], s[34:35], s[4:5]
	s_or_b64 s[4:5], s[14:15], s[12:13]
	s_or_b64 s[4:5], s[4:5], s[10:11]
	v_lshl_add_u64 v[2:3], v[48:49], 0, v[20:21]
	s_nor_b64 s[4:5], s[0:1], s[4:5]
                                        ; implicit-def: $vgpr52_vgpr53
	s_and_saveexec_b64 s[16:17], s[4:5]
	s_xor_b64 s[4:5], exec, s[16:17]
	s_cbranch_execz .LBB38_9
; %bb.8:                                ;   in Loop: Header=BB38_7 Depth=2
	global_load_dwordx2 v[52:53], v[2:3], off
.LBB38_9:                               ;   in Loop: Header=BB38_7 Depth=2
	s_andn2_saveexec_b64 s[4:5], s[4:5]
	s_cbranch_execz .LBB38_11
; %bb.10:                               ;   in Loop: Header=BB38_7 Depth=2
	v_cndmask_b32_e64 v29, 0, v31, s[10:11]
	s_waitcnt vmcnt(0)
	v_mov_b64_e32 v[52:53], v[28:29]
.LBB38_11:                              ;   in Loop: Header=BB38_7 Depth=2
	s_or_b64 exec, exec, s[4:5]
	v_cmp_eq_u64_e64 s[4:5], s[48:49], v[16:17]
	s_and_b64 s[16:17], s[34:35], s[4:5]
	v_cmp_gt_i64_e64 s[4:5], v[10:11], v[0:1]
	s_or_b64 s[4:5], s[14:15], s[4:5]
	s_or_b64 s[4:5], s[4:5], s[16:17]
	s_nor_b64 s[4:5], s[18:19], s[4:5]
	s_waitcnt vmcnt(0)
	ds_write_b64 v56, v[52:53]
	s_and_saveexec_b64 s[14:15], s[4:5]
	s_xor_b64 s[4:5], exec, s[14:15]
	s_cbranch_execz .LBB38_13
; %bb.12:                               ;   in Loop: Header=BB38_7 Depth=2
	global_load_dwordx2 v[2:3], v[2:3], off offset:128
	s_waitcnt vmcnt(0)
	ds_write_b64 v56, v[2:3] offset:128
.LBB38_13:                              ;   in Loop: Header=BB38_7 Depth=2
	s_andn2_saveexec_b64 s[4:5], s[4:5]
	s_cbranch_execz .LBB38_19
; %bb.14:                               ;   in Loop: Header=BB38_7 Depth=2
	s_xor_b64 s[14:15], s[16:17], -1
	s_and_saveexec_b64 s[16:17], s[14:15]
	s_xor_b64 s[14:15], exec, s[16:17]
; %bb.15:                               ;   in Loop: Header=BB38_7 Depth=2
	ds_write_b64 v56, v[32:33] offset:128
; %bb.16:                               ;   in Loop: Header=BB38_7 Depth=2
	s_andn2_saveexec_b64 s[14:15], s[14:15]
; %bb.17:                               ;   in Loop: Header=BB38_7 Depth=2
	ds_write_b64 v56, v[30:31] offset:128
; %bb.18:                               ;   in Loop: Header=BB38_7 Depth=2
	s_or_b64 exec, exec, s[14:15]
.LBB38_19:                              ;   in Loop: Header=BB38_7 Depth=2
	s_or_b64 exec, exec, s[4:5]
	v_lshl_add_u64 v[2:3], v[0:1], 0, 16
	v_cmp_eq_u64_e64 s[4:5], s[48:49], v[18:19]
	v_cmp_le_i64_e64 s[14:15], s[42:43], v[2:3]
	s_and_b64 s[16:17], s[34:35], s[4:5]
	v_cmp_lt_i64_e64 s[4:5], v[2:3], v[6:7]
	s_or_b64 s[4:5], s[14:15], s[4:5]
	s_or_b64 s[4:5], s[4:5], s[16:17]
	v_lshl_add_u64 v[0:1], v[50:51], 0, v[20:21]
	s_nor_b64 s[4:5], s[0:1], s[4:5]
                                        ; implicit-def: $vgpr2_vgpr3
	s_and_saveexec_b64 s[58:59], s[4:5]
	s_xor_b64 s[4:5], exec, s[58:59]
	s_cbranch_execz .LBB38_21
; %bb.20:                               ;   in Loop: Header=BB38_7 Depth=2
	global_load_dwordx2 v[2:3], v[0:1], off
.LBB38_21:                              ;   in Loop: Header=BB38_7 Depth=2
	s_andn2_saveexec_b64 s[4:5], s[4:5]
	s_cbranch_execz .LBB38_23
; %bb.22:                               ;   in Loop: Header=BB38_7 Depth=2
	v_cndmask_b32_e64 v29, 0, v31, s[16:17]
	s_waitcnt vmcnt(0)
	v_mov_b64_e32 v[2:3], v[28:29]
.LBB38_23:                              ;   in Loop: Header=BB38_7 Depth=2
	s_or_b64 exec, exec, s[4:5]
	s_or_b64 s[4:5], s[14:15], s[12:13]
	s_or_b64 s[4:5], s[4:5], s[10:11]
	s_nor_b64 s[4:5], s[18:19], s[4:5]
	s_waitcnt vmcnt(0)
	ds_write_b64 v56, v[2:3] offset:4096
	s_and_saveexec_b64 s[12:13], s[4:5]
	s_xor_b64 s[4:5], exec, s[12:13]
	s_cbranch_execz .LBB38_25
; %bb.24:                               ;   in Loop: Header=BB38_7 Depth=2
	global_load_dwordx2 v[0:1], v[0:1], off offset:128
	s_waitcnt vmcnt(0)
	ds_write_b64 v56, v[0:1] offset:4224
.LBB38_25:                              ;   in Loop: Header=BB38_7 Depth=2
	s_andn2_saveexec_b64 s[4:5], s[4:5]
	s_cbranch_execz .LBB38_31
; %bb.26:                               ;   in Loop: Header=BB38_7 Depth=2
	s_xor_b64 s[10:11], s[10:11], -1
	s_and_saveexec_b64 s[12:13], s[10:11]
	s_xor_b64 s[10:11], exec, s[12:13]
; %bb.27:                               ;   in Loop: Header=BB38_7 Depth=2
	ds_write_b64 v56, v[32:33] offset:4224
; %bb.28:                               ;   in Loop: Header=BB38_7 Depth=2
	s_andn2_saveexec_b64 s[10:11], s[10:11]
; %bb.29:                               ;   in Loop: Header=BB38_7 Depth=2
	ds_write_b64 v56, v[30:31] offset:4224
; %bb.30:                               ;   in Loop: Header=BB38_7 Depth=2
	s_or_b64 exec, exec, s[10:11]
.LBB38_31:                              ;   in Loop: Header=BB38_7 Depth=2
	s_or_b64 exec, exec, s[4:5]
	v_lshl_add_u64 v[2:3], v[6:7], 0, s[48:49]
	v_cmp_gt_i64_e64 s[10:11], s[42:43], v[2:3]
	v_lshl_add_u64 v[0:1], v[44:45], 0, v[20:21]
	s_and_b64 s[12:13], vcc, s[10:11]
	v_mov_b64_e32 v[52:53], 0
	s_and_saveexec_b64 s[4:5], s[12:13]
	s_cbranch_execz .LBB38_33
; %bb.32:                               ;   in Loop: Header=BB38_7 Depth=2
	global_load_dwordx2 v[52:53], v[0:1], off offset:-128
.LBB38_33:                              ;   in Loop: Header=BB38_7 Depth=2
	s_or_b64 exec, exec, s[4:5]
	v_cmp_gt_i64_e64 s[12:13], s[54:55], v[2:3]
	s_and_b64 s[4:5], vcc, s[12:13]
	s_xor_b64 s[4:5], s[4:5], -1
	s_waitcnt vmcnt(0)
	ds_write_b64 v58, v[52:53]
	s_and_saveexec_b64 s[14:15], s[4:5]
	s_xor_b64 s[4:5], exec, s[14:15]
; %bb.34:                               ;   in Loop: Header=BB38_7 Depth=2
	ds_write_b64 v58, v[32:33] offset:128
                                        ; implicit-def: $vgpr0_vgpr1
; %bb.35:                               ;   in Loop: Header=BB38_7 Depth=2
	s_andn2_saveexec_b64 s[4:5], s[4:5]
	s_cbranch_execz .LBB38_37
; %bb.36:                               ;   in Loop: Header=BB38_7 Depth=2
	global_load_dwordx2 v[0:1], v[0:1], off
	s_waitcnt vmcnt(0)
	ds_write_b64 v58, v[0:1] offset:128
.LBB38_37:                              ;   in Loop: Header=BB38_7 Depth=2
	s_or_b64 exec, exec, s[4:5]
	v_lshl_add_u64 v[0:1], v[46:47], 0, v[20:21]
	s_and_b64 s[10:11], s[8:9], s[10:11]
	v_mov_b64_e32 v[2:3], 0
	s_and_saveexec_b64 s[4:5], s[10:11]
	s_cbranch_execz .LBB38_39
; %bb.38:                               ;   in Loop: Header=BB38_7 Depth=2
	global_load_dwordx2 v[2:3], v[0:1], off
.LBB38_39:                              ;   in Loop: Header=BB38_7 Depth=2
	s_or_b64 exec, exec, s[4:5]
	s_and_b64 s[4:5], s[8:9], s[12:13]
	s_xor_b64 s[4:5], s[4:5], -1
	s_waitcnt vmcnt(0)
	ds_write_b64 v58, v[2:3] offset:4096
	s_and_saveexec_b64 s[10:11], s[4:5]
	s_xor_b64 s[4:5], exec, s[10:11]
; %bb.40:                               ;   in Loop: Header=BB38_7 Depth=2
	ds_write_b64 v58, v[32:33] offset:4224
                                        ; implicit-def: $vgpr0_vgpr1
; %bb.41:                               ;   in Loop: Header=BB38_7 Depth=2
	s_andn2_saveexec_b64 s[4:5], s[4:5]
	s_cbranch_execz .LBB38_6
; %bb.42:                               ;   in Loop: Header=BB38_7 Depth=2
	global_load_dwordx2 v[0:1], v[0:1], off offset:128
	s_waitcnt vmcnt(0)
	ds_write_b64 v58, v[0:1] offset:4224
	s_branch .LBB38_6
.LBB38_43:                              ;   in Loop: Header=BB38_4 Depth=1
	v_mov_b64_e32 v[42:43], 0
	v_mov_b64_e32 v[40:41], 0
	;; [unrolled: 1-line block ×4, first 2 shown]
.LBB38_44:                              ;   in Loop: Header=BB38_4 Depth=1
	v_mul_lo_u32 v2, s53, v34
	v_mul_lo_u32 v3, s52, v35
	v_mad_u64_u32 v[0:1], s[4:5], s52, v34, 0
	v_cmp_gt_i32_e32 vcc, s38, v34
	v_add3_u32 v1, v1, v3, v2
	v_lshl_add_u64 v[0:1], v[0:1], 3, s[28:29]
	s_and_b64 s[8:9], s[20:21], vcc
	s_and_saveexec_b64 s[4:5], s[8:9]
	s_cbranch_execz .LBB38_46
; %bb.45:                               ;   in Loop: Header=BB38_4 Depth=1
	v_lshl_add_u64 v[2:3], v[6:7], 3, v[0:1]
	global_load_dwordx2 v[44:45], v[2:3], off
	s_waitcnt vmcnt(0)
	v_fmac_f64_e32 v[44:45], s[22:23], v[42:43]
	global_store_dwordx2 v[2:3], v[44:45], off
.LBB38_46:                              ;   in Loop: Header=BB38_4 Depth=1
	s_or_b64 exec, exec, s[4:5]
	s_and_b64 s[8:9], s[6:7], vcc
	s_and_saveexec_b64 s[4:5], s[8:9]
	s_cbranch_execz .LBB38_48
; %bb.47:                               ;   in Loop: Header=BB38_4 Depth=1
	v_lshl_add_u64 v[0:1], v[12:13], 3, v[0:1]
	global_load_dwordx2 v[2:3], v[0:1], off
	s_waitcnt vmcnt(0)
	v_fmac_f64_e32 v[2:3], s[22:23], v[40:41]
	global_store_dwordx2 v[0:1], v[2:3], off
.LBB38_48:                              ;   in Loop: Header=BB38_4 Depth=1
	s_or_b64 exec, exec, s[4:5]
	v_add_u32_e32 v0, 16, v34
	v_ashrrev_i32_e32 v1, 31, v0
	v_cmp_gt_i32_e32 vcc, s38, v0
	v_mul_lo_u32 v2, s52, v1
	v_mul_lo_u32 v3, s53, v0
	v_mad_u64_u32 v[0:1], s[4:5], s52, v0, 0
	v_add3_u32 v1, v1, v2, v3
	v_lshl_add_u64 v[0:1], v[0:1], 3, s[28:29]
	s_and_b64 s[8:9], s[20:21], vcc
	s_and_saveexec_b64 s[4:5], s[8:9]
	s_cbranch_execz .LBB38_50
; %bb.49:                               ;   in Loop: Header=BB38_4 Depth=1
	v_lshl_add_u64 v[2:3], v[6:7], 3, v[0:1]
	global_load_dwordx2 v[34:35], v[2:3], off
	s_waitcnt vmcnt(0)
	v_fmac_f64_e32 v[34:35], s[22:23], v[38:39]
	global_store_dwordx2 v[2:3], v[34:35], off
.LBB38_50:                              ;   in Loop: Header=BB38_4 Depth=1
	s_or_b64 exec, exec, s[4:5]
	s_and_b64 s[8:9], s[6:7], vcc
	s_and_saveexec_b64 s[4:5], s[8:9]
	s_cbranch_execz .LBB38_3
; %bb.51:                               ;   in Loop: Header=BB38_4 Depth=1
	v_lshl_add_u64 v[0:1], v[12:13], 3, v[0:1]
	global_load_dwordx2 v[2:3], v[0:1], off
	s_waitcnt vmcnt(0)
	v_fmac_f64_e32 v[2:3], s[22:23], v[36:37]
	global_store_dwordx2 v[0:1], v[2:3], off
	s_branch .LBB38_3
.LBB38_52:
	s_endpgm
	.section	.rodata,"a",@progbits
	.p2align	6, 0x0
	.amdhsa_kernel _ZL30rocblas_trmm_outofplace_kernelIdLi32ELi2ELb1ELb1ELb0ELb0EPKdS0_dEv17rocblas_diagonal_iiT6_lPT7_lllS5_lllPT8_llli
		.amdhsa_group_segment_fixed_size 16384
		.amdhsa_private_segment_fixed_size 0
		.amdhsa_kernarg_size 392
		.amdhsa_user_sgpr_count 2
		.amdhsa_user_sgpr_dispatch_ptr 0
		.amdhsa_user_sgpr_queue_ptr 0
		.amdhsa_user_sgpr_kernarg_segment_ptr 1
		.amdhsa_user_sgpr_dispatch_id 0
		.amdhsa_user_sgpr_kernarg_preload_length 0
		.amdhsa_user_sgpr_kernarg_preload_offset 0
		.amdhsa_user_sgpr_private_segment_size 0
		.amdhsa_uses_dynamic_stack 0
		.amdhsa_enable_private_segment 0
		.amdhsa_system_sgpr_workgroup_id_x 1
		.amdhsa_system_sgpr_workgroup_id_y 1
		.amdhsa_system_sgpr_workgroup_id_z 1
		.amdhsa_system_sgpr_workgroup_info 0
		.amdhsa_system_vgpr_workitem_id 1
		.amdhsa_next_free_vgpr 82
		.amdhsa_next_free_sgpr 60
		.amdhsa_accum_offset 84
		.amdhsa_reserve_vcc 1
		.amdhsa_float_round_mode_32 0
		.amdhsa_float_round_mode_16_64 0
		.amdhsa_float_denorm_mode_32 3
		.amdhsa_float_denorm_mode_16_64 3
		.amdhsa_dx10_clamp 1
		.amdhsa_ieee_mode 1
		.amdhsa_fp16_overflow 0
		.amdhsa_tg_split 0
		.amdhsa_exception_fp_ieee_invalid_op 0
		.amdhsa_exception_fp_denorm_src 0
		.amdhsa_exception_fp_ieee_div_zero 0
		.amdhsa_exception_fp_ieee_overflow 0
		.amdhsa_exception_fp_ieee_underflow 0
		.amdhsa_exception_fp_ieee_inexact 0
		.amdhsa_exception_int_div_zero 0
	.end_amdhsa_kernel
	.section	.text._ZL30rocblas_trmm_outofplace_kernelIdLi32ELi2ELb1ELb1ELb0ELb0EPKdS0_dEv17rocblas_diagonal_iiT6_lPT7_lllS5_lllPT8_llli,"axG",@progbits,_ZL30rocblas_trmm_outofplace_kernelIdLi32ELi2ELb1ELb1ELb0ELb0EPKdS0_dEv17rocblas_diagonal_iiT6_lPT7_lllS5_lllPT8_llli,comdat
.Lfunc_end38:
	.size	_ZL30rocblas_trmm_outofplace_kernelIdLi32ELi2ELb1ELb1ELb0ELb0EPKdS0_dEv17rocblas_diagonal_iiT6_lPT7_lllS5_lllPT8_llli, .Lfunc_end38-_ZL30rocblas_trmm_outofplace_kernelIdLi32ELi2ELb1ELb1ELb0ELb0EPKdS0_dEv17rocblas_diagonal_iiT6_lPT7_lllS5_lllPT8_llli
                                        ; -- End function
	.set _ZL30rocblas_trmm_outofplace_kernelIdLi32ELi2ELb1ELb1ELb0ELb0EPKdS0_dEv17rocblas_diagonal_iiT6_lPT7_lllS5_lllPT8_llli.num_vgpr, 82
	.set _ZL30rocblas_trmm_outofplace_kernelIdLi32ELi2ELb1ELb1ELb0ELb0EPKdS0_dEv17rocblas_diagonal_iiT6_lPT7_lllS5_lllPT8_llli.num_agpr, 0
	.set _ZL30rocblas_trmm_outofplace_kernelIdLi32ELi2ELb1ELb1ELb0ELb0EPKdS0_dEv17rocblas_diagonal_iiT6_lPT7_lllS5_lllPT8_llli.numbered_sgpr, 60
	.set _ZL30rocblas_trmm_outofplace_kernelIdLi32ELi2ELb1ELb1ELb0ELb0EPKdS0_dEv17rocblas_diagonal_iiT6_lPT7_lllS5_lllPT8_llli.num_named_barrier, 0
	.set _ZL30rocblas_trmm_outofplace_kernelIdLi32ELi2ELb1ELb1ELb0ELb0EPKdS0_dEv17rocblas_diagonal_iiT6_lPT7_lllS5_lllPT8_llli.private_seg_size, 0
	.set _ZL30rocblas_trmm_outofplace_kernelIdLi32ELi2ELb1ELb1ELb0ELb0EPKdS0_dEv17rocblas_diagonal_iiT6_lPT7_lllS5_lllPT8_llli.uses_vcc, 1
	.set _ZL30rocblas_trmm_outofplace_kernelIdLi32ELi2ELb1ELb1ELb0ELb0EPKdS0_dEv17rocblas_diagonal_iiT6_lPT7_lllS5_lllPT8_llli.uses_flat_scratch, 0
	.set _ZL30rocblas_trmm_outofplace_kernelIdLi32ELi2ELb1ELb1ELb0ELb0EPKdS0_dEv17rocblas_diagonal_iiT6_lPT7_lllS5_lllPT8_llli.has_dyn_sized_stack, 0
	.set _ZL30rocblas_trmm_outofplace_kernelIdLi32ELi2ELb1ELb1ELb0ELb0EPKdS0_dEv17rocblas_diagonal_iiT6_lPT7_lllS5_lllPT8_llli.has_recursion, 0
	.set _ZL30rocblas_trmm_outofplace_kernelIdLi32ELi2ELb1ELb1ELb0ELb0EPKdS0_dEv17rocblas_diagonal_iiT6_lPT7_lllS5_lllPT8_llli.has_indirect_call, 0
	.section	.AMDGPU.csdata,"",@progbits
; Kernel info:
; codeLenInByte = 3076
; TotalNumSgprs: 66
; NumVgprs: 82
; NumAgprs: 0
; TotalNumVgprs: 82
; ScratchSize: 0
; MemoryBound: 0
; FloatMode: 240
; IeeeMode: 1
; LDSByteSize: 16384 bytes/workgroup (compile time only)
; SGPRBlocks: 8
; VGPRBlocks: 10
; NumSGPRsForWavesPerEU: 66
; NumVGPRsForWavesPerEU: 82
; AccumOffset: 84
; Occupancy: 5
; WaveLimiterHint : 0
; COMPUTE_PGM_RSRC2:SCRATCH_EN: 0
; COMPUTE_PGM_RSRC2:USER_SGPR: 2
; COMPUTE_PGM_RSRC2:TRAP_HANDLER: 0
; COMPUTE_PGM_RSRC2:TGID_X_EN: 1
; COMPUTE_PGM_RSRC2:TGID_Y_EN: 1
; COMPUTE_PGM_RSRC2:TGID_Z_EN: 1
; COMPUTE_PGM_RSRC2:TIDIG_COMP_CNT: 1
; COMPUTE_PGM_RSRC3_GFX90A:ACCUM_OFFSET: 20
; COMPUTE_PGM_RSRC3_GFX90A:TG_SPLIT: 0
	.section	.text._ZL30rocblas_trmm_outofplace_kernelIdLi32ELi2ELb1ELb1ELb0ELb0EdKddEv17rocblas_diagonal_iiT6_lPT7_lllS4_lllPT8_llli,"axG",@progbits,_ZL30rocblas_trmm_outofplace_kernelIdLi32ELi2ELb1ELb1ELb0ELb0EdKddEv17rocblas_diagonal_iiT6_lPT7_lllS4_lllPT8_llli,comdat
	.globl	_ZL30rocblas_trmm_outofplace_kernelIdLi32ELi2ELb1ELb1ELb0ELb0EdKddEv17rocblas_diagonal_iiT6_lPT7_lllS4_lllPT8_llli ; -- Begin function _ZL30rocblas_trmm_outofplace_kernelIdLi32ELi2ELb1ELb1ELb0ELb0EdKddEv17rocblas_diagonal_iiT6_lPT7_lllS4_lllPT8_llli
	.p2align	8
	.type	_ZL30rocblas_trmm_outofplace_kernelIdLi32ELi2ELb1ELb1ELb0ELb0EdKddEv17rocblas_diagonal_iiT6_lPT7_lllS4_lllPT8_llli,@function
_ZL30rocblas_trmm_outofplace_kernelIdLi32ELi2ELb1ELb1ELb0ELb0EdKddEv17rocblas_diagonal_iiT6_lPT7_lllS4_lllPT8_llli: ; @_ZL30rocblas_trmm_outofplace_kernelIdLi32ELi2ELb1ELb1ELb0ELb0EdKddEv17rocblas_diagonal_iiT6_lPT7_lllS4_lllPT8_llli
; %bb.0:
	s_load_dwordx2 s[34:35], s[0:1], 0x10
	s_waitcnt lgkmcnt(0)
	v_cmp_eq_f64_e64 s[6:7], s[34:35], 0
	s_and_b64 vcc, exec, s[6:7]
	s_cbranch_vccnz .LBB39_52
; %bb.1:
	s_load_dwordx4 s[28:31], s[0:1], 0x0
	s_waitcnt lgkmcnt(0)
	s_add_i32 s5, s30, -1
	s_ashr_i32 s6, s5, 31
	s_lshr_b32 s6, s6, 27
	s_add_i32 s5, s5, s6
	s_ashr_i32 s31, s5, 5
	s_cmp_gt_i32 s3, s31
	s_cbranch_scc1 .LBB39_52
; %bb.2:
	s_load_dwordx16 s[36:51], s[0:1], 0x20
	s_load_dwordx8 s[20:27], s[0:1], 0x60
	v_bfe_u32 v54, v0, 10, 10
	v_and_b32_e32 v2, 0x3ff, v0
	v_lshlrev_b32_e32 v55, 3, v2
	s_waitcnt lgkmcnt(0)
	s_mul_i32 s5, s43, s4
	s_mul_hi_u32 s7, s42, s4
	s_mul_i32 s6, s42, s4
	s_add_i32 s7, s7, s5
	s_lshl_b64 s[8:9], s[6:7], 3
	s_add_u32 s5, s36, s8
	s_addc_u32 s7, s37, s9
	s_lshl_b64 s[10:11], s[38:39], 3
	s_add_u32 s6, s5, s10
	s_mul_i32 s5, s27, s4
	s_mul_hi_u32 s12, s26, s4
	s_addc_u32 s7, s7, s11
	s_add_i32 s13, s12, s5
	s_mul_i32 s12, s26, s4
	s_lshl_b64 s[12:13], s[12:13], 3
	s_add_u32 s5, s20, s12
	s_addc_u32 s14, s21, s13
	s_lshl_b64 s[12:13], s[22:23], 3
	s_add_u32 s22, s5, s12
	s_addc_u32 s23, s14, s13
	s_lshl_b32 s2, s2, 5
	v_add_u32_e32 v4, s2, v54
	v_add_u32_e32 v6, s2, v2
	s_sub_i32 s2, s29, s2
	s_cmp_gt_i32 s2, 0
	s_cselect_b64 s[26:27], -1, 0
	s_cmpk_eq_i32 s28, 0x84
	s_cselect_b64 s[38:39], -1, 0
	s_ashr_i32 s43, s29, 31
	s_ashr_i32 s33, s30, 31
	s_lshl_b64 s[52:53], s[40:41], 8
	s_add_u32 s54, s29, -16
	s_addc_u32 s55, s43, -1
	v_ashrrev_i32_e32 v5, 31, v4
	s_add_u32 s5, s36, s10
	v_mul_lo_u32 v3, s40, v5
	v_mul_lo_u32 v8, s41, v4
	v_mad_u64_u32 v[0:1], s[12:13], s40, v4, 0
	s_addc_u32 s10, s37, s11
	v_add3_u32 v1, v1, v3, v8
	s_add_u32 s8, s5, s8
	v_lshl_add_u64 v[8:9], v[0:1], 3, s[6:7]
	v_lshlrev_b32_e32 v0, 8, v54
	v_mov_b64_e32 v[22:23], 0x80
	s_addc_u32 s9, s10, s9
	v_add_u32_e32 v56, v55, v0
	v_add_u32_e32 v57, 0x2000, v0
	v_lshl_add_u64 v[0:1], v[4:5], 3, v[22:23]
	v_mov_b64_e32 v[2:3], s[8:9]
	v_mad_u64_u32 v[24:25], s[8:9], s40, v0, v[2:3]
	s_mul_i32 s5, s51, s4
	s_mul_hi_u32 s8, s50, s4
	s_add_i32 s5, s8, s5
	s_mul_i32 s4, s50, s4
	s_lshl_b64 s[4:5], s[4:5], 3
	s_lshl_b64 s[8:9], s[46:47], 3
	s_load_dword s56, s[0:1], 0x8c
	s_add_u32 s4, s4, s8
	s_addc_u32 s5, s5, s9
	v_add_u32_e32 v12, 16, v6
	s_add_u32 s28, s44, s4
	v_ashrrev_i32_e32 v7, 31, v6
	s_mov_b32 s42, s29
	v_cmp_le_i32_e64 s[0:1], s29, v6
	v_cmp_gt_i32_e64 s[20:21], s29, v6
	v_cmp_gt_i32_e64 s[6:7], s29, v12
	v_sub_co_u32_e32 v14, vcc, v6, v4
	s_addc_u32 s29, s45, s5
	v_lshl_add_u64 v[10:11], v[6:7], 0, 16
	v_subb_co_u32_e32 v15, vcc, v7, v5, vcc
	v_mul_lo_u32 v1, s40, v1
	v_mul_lo_u32 v0, s41, v0
	s_add_u32 s36, s28, 0x80
	v_mov_b32_e32 v28, 0
	v_add_u32_e32 v58, v57, v55
	v_cmp_le_i64_e64 s[18:19], s[42:43], v[10:11]
	v_ashrrev_i32_e32 v13, 31, v12
	v_lshl_add_u64 v[16:17], v[14:15], 0, 16
	v_lshl_add_u64 v[18:19], v[14:15], 0, -16
	v_lshlrev_b64 v[20:21], 3, v[6:7]
	v_add3_u32 v25, v0, v25, v1
	s_addc_u32 s37, s29, 0
	s_lshl_b64 s[40:41], s[48:49], 3
	v_lshl_add_u32 v26, s3, 5, v54
	s_waitcnt lgkmcnt(0)
	s_lshl_b32 s50, s56, 5
	s_mov_b64 s[44:45], 0x100
	v_mov_b32_e32 v31, 0x3ff00000
	v_mov_b32_e32 v32, 0
	;; [unrolled: 1-line block ×4, first 2 shown]
	v_add_u32_e32 v59, 0x800, v55
	v_add_u32_e32 v60, 0x1000, v55
	;; [unrolled: 1-line block ×3, first 2 shown]
	s_branch .LBB39_4
.LBB39_3:                               ;   in Loop: Header=BB39_4 Depth=1
	s_or_b64 exec, exec, s[4:5]
	s_add_i32 s3, s56, s3
	s_cmp_le_i32 s3, s31
	v_add_u32_e32 v26, s50, v26
	s_cbranch_scc0 .LBB39_52
.LBB39_4:                               ; =>This Loop Header: Depth=1
                                        ;     Child Loop BB39_7 Depth 2
	v_lshl_add_u32 v34, s3, 5, v54
	s_andn2_b64 vcc, exec, s[26:27]
	v_ashrrev_i32_e32 v35, 31, v34
	s_cbranch_vccnz .LBB39_43
; %bb.5:                                ;   in Loop: Header=BB39_4 Depth=1
	v_ashrrev_i32_e32 v27, 31, v26
	v_mov_b64_e32 v[0:1], s[36:37]
	v_mad_u64_u32 v[44:45], s[4:5], s40, v26, v[0:1]
	v_mul_lo_u32 v0, s41, v26
	v_mul_lo_u32 v1, s40, v27
	v_add3_u32 v45, v0, v45, v1
	v_lshl_add_u64 v[0:1], v[26:27], 3, v[22:23]
	v_mov_b64_e32 v[2:3], s[28:29]
	v_mul_lo_u32 v1, s48, v1
	v_mul_lo_u32 v27, s49, v0
	v_mad_u64_u32 v[46:47], s[4:5], s48, v0, v[2:3]
	v_add3_u32 v47, v27, v47, v1
	v_mov_b32_e32 v1, s33
	v_sub_co_u32_e32 v0, vcc, s30, v34
	s_mov_b64 s[46:47], 0
	s_nop 0
	v_subb_co_u32_e32 v1, vcc, v1, v35, vcc
	v_cmp_lt_i64_e32 vcc, 0, v[0:1]
	v_cmp_lt_i64_e64 s[8:9], 16, v[0:1]
	v_mov_b64_e32 v[36:37], 0
	v_mov_b64_e32 v[48:49], v[8:9]
	;; [unrolled: 1-line block ×6, first 2 shown]
	s_branch .LBB39_7
.LBB39_6:                               ;   in Loop: Header=BB39_7 Depth=2
	s_or_b64 exec, exec, s[4:5]
	s_waitcnt lgkmcnt(0)
	s_barrier
	ds_read_b128 v[62:65], v57
	ds_read_b128 v[66:69], v57 offset:16
	ds_read_b128 v[70:73], v57 offset:32
	;; [unrolled: 1-line block ×3, first 2 shown]
	ds_read2_b64 v[74:77], v55 offset1:16
	ds_read_b128 v[78:81], v57 offset:4096
	s_add_u32 s46, s46, 32
	s_addc_u32 s47, s47, 0
	v_lshl_add_u64 v[50:51], v[50:51], 0, s[52:53]
	s_waitcnt lgkmcnt(1)
	v_fmac_f64_e32 v[42:43], v[74:75], v[62:63]
	v_fmac_f64_e32 v[40:41], v[76:77], v[62:63]
	s_waitcnt lgkmcnt(0)
	v_fmac_f64_e32 v[38:39], v[74:75], v[78:79]
	v_fmac_f64_e32 v[36:37], v[76:77], v[78:79]
	ds_read2_b64 v[74:77], v55 offset0:32 offset1:48
	v_lshl_add_u64 v[44:45], v[44:45], 0, s[44:45]
	v_lshl_add_u64 v[48:49], v[48:49], 0, s[52:53]
	;; [unrolled: 1-line block ×3, first 2 shown]
	s_cmp_ge_i32 s46, s2
	s_waitcnt lgkmcnt(0)
	v_fmac_f64_e32 v[42:43], v[74:75], v[64:65]
	v_fmac_f64_e32 v[40:41], v[76:77], v[64:65]
	v_fmac_f64_e32 v[38:39], v[74:75], v[80:81]
	v_fmac_f64_e32 v[36:37], v[76:77], v[80:81]
	ds_read2_b64 v[62:65], v55 offset0:64 offset1:80
	ds_read_b128 v[74:77], v57 offset:4112
	s_waitcnt lgkmcnt(1)
	v_fmac_f64_e32 v[42:43], v[62:63], v[66:67]
	v_fmac_f64_e32 v[40:41], v[64:65], v[66:67]
	s_waitcnt lgkmcnt(0)
	v_fmac_f64_e32 v[38:39], v[62:63], v[74:75]
	v_fmac_f64_e32 v[36:37], v[64:65], v[74:75]
	ds_read2_b64 v[62:65], v55 offset0:96 offset1:112
	s_waitcnt lgkmcnt(0)
	v_fmac_f64_e32 v[42:43], v[62:63], v[68:69]
	v_fmac_f64_e32 v[40:41], v[64:65], v[68:69]
	v_fmac_f64_e32 v[38:39], v[62:63], v[76:77]
	v_fmac_f64_e32 v[36:37], v[64:65], v[76:77]
	ds_read2_b64 v[62:65], v55 offset0:128 offset1:144
	ds_read_b128 v[66:69], v57 offset:4128
	s_waitcnt lgkmcnt(1)
	v_fmac_f64_e32 v[42:43], v[62:63], v[70:71]
	v_fmac_f64_e32 v[40:41], v[64:65], v[70:71]
	s_waitcnt lgkmcnt(0)
	v_fmac_f64_e32 v[38:39], v[62:63], v[66:67]
	v_fmac_f64_e32 v[36:37], v[64:65], v[66:67]
	ds_read2_b64 v[62:65], v55 offset0:160 offset1:176
	;; [unrolled: 14-line block ×3, first 2 shown]
	s_waitcnt lgkmcnt(0)
	v_fmac_f64_e32 v[42:43], v[62:63], v[2:3]
	v_fmac_f64_e32 v[40:41], v[64:65], v[2:3]
	v_fmac_f64_e32 v[38:39], v[62:63], v[68:69]
	v_fmac_f64_e32 v[36:37], v[64:65], v[68:69]
	ds_read_b128 v[0:3], v57 offset:64
	ds_read2_b64 v[62:65], v59 offset1:16
	ds_read_b128 v[66:69], v57 offset:4160
	s_waitcnt lgkmcnt(1)
	v_fmac_f64_e32 v[42:43], v[62:63], v[0:1]
	v_fmac_f64_e32 v[40:41], v[64:65], v[0:1]
	s_waitcnt lgkmcnt(0)
	v_fmac_f64_e32 v[38:39], v[62:63], v[66:67]
	v_fmac_f64_e32 v[36:37], v[64:65], v[66:67]
	ds_read2_b64 v[62:65], v59 offset0:32 offset1:48
	s_waitcnt lgkmcnt(0)
	v_fmac_f64_e32 v[42:43], v[62:63], v[2:3]
	v_fmac_f64_e32 v[40:41], v[64:65], v[2:3]
	v_fmac_f64_e32 v[38:39], v[62:63], v[68:69]
	v_fmac_f64_e32 v[36:37], v[64:65], v[68:69]
	ds_read_b128 v[0:3], v57 offset:80
	ds_read2_b64 v[62:65], v59 offset0:64 offset1:80
	ds_read_b128 v[66:69], v57 offset:4176
	s_waitcnt lgkmcnt(1)
	v_fmac_f64_e32 v[42:43], v[62:63], v[0:1]
	v_fmac_f64_e32 v[40:41], v[64:65], v[0:1]
	s_waitcnt lgkmcnt(0)
	v_fmac_f64_e32 v[38:39], v[62:63], v[66:67]
	v_fmac_f64_e32 v[36:37], v[64:65], v[66:67]
	ds_read2_b64 v[62:65], v59 offset0:96 offset1:112
	s_waitcnt lgkmcnt(0)
	v_fmac_f64_e32 v[42:43], v[62:63], v[2:3]
	v_fmac_f64_e32 v[40:41], v[64:65], v[2:3]
	v_fmac_f64_e32 v[38:39], v[62:63], v[68:69]
	v_fmac_f64_e32 v[36:37], v[64:65], v[68:69]
	ds_read_b128 v[0:3], v57 offset:96
	ds_read2_b64 v[62:65], v59 offset0:128 offset1:144
	ds_read_b128 v[66:69], v57 offset:4192
	s_waitcnt lgkmcnt(1)
	v_fmac_f64_e32 v[42:43], v[62:63], v[0:1]
	v_fmac_f64_e32 v[40:41], v[64:65], v[0:1]
	s_waitcnt lgkmcnt(0)
	v_fmac_f64_e32 v[38:39], v[62:63], v[66:67]
	v_fmac_f64_e32 v[36:37], v[64:65], v[66:67]
	ds_read2_b64 v[62:65], v59 offset0:160 offset1:176
	s_waitcnt lgkmcnt(0)
	v_fmac_f64_e32 v[42:43], v[62:63], v[2:3]
	v_fmac_f64_e32 v[40:41], v[64:65], v[2:3]
	v_fmac_f64_e32 v[38:39], v[62:63], v[68:69]
	v_fmac_f64_e32 v[36:37], v[64:65], v[68:69]
	ds_read_b128 v[0:3], v57 offset:112
	ds_read2_b64 v[62:65], v59 offset0:192 offset1:208
	ds_read_b128 v[66:69], v57 offset:4208
	s_waitcnt lgkmcnt(1)
	v_fmac_f64_e32 v[42:43], v[62:63], v[0:1]
	v_fmac_f64_e32 v[40:41], v[64:65], v[0:1]
	s_waitcnt lgkmcnt(0)
	v_fmac_f64_e32 v[38:39], v[62:63], v[66:67]
	v_fmac_f64_e32 v[36:37], v[64:65], v[66:67]
	ds_read2_b64 v[62:65], v59 offset0:224 offset1:240
	s_waitcnt lgkmcnt(0)
	v_fmac_f64_e32 v[42:43], v[62:63], v[2:3]
	v_fmac_f64_e32 v[40:41], v[64:65], v[2:3]
	v_fmac_f64_e32 v[38:39], v[62:63], v[68:69]
	v_fmac_f64_e32 v[36:37], v[64:65], v[68:69]
	ds_read_b128 v[0:3], v57 offset:128
	ds_read2_b64 v[62:65], v60 offset1:16
	ds_read_b128 v[66:69], v57 offset:4224
	s_waitcnt lgkmcnt(1)
	v_fmac_f64_e32 v[42:43], v[62:63], v[0:1]
	v_fmac_f64_e32 v[40:41], v[64:65], v[0:1]
	s_waitcnt lgkmcnt(0)
	v_fmac_f64_e32 v[38:39], v[62:63], v[66:67]
	v_fmac_f64_e32 v[36:37], v[64:65], v[66:67]
	ds_read2_b64 v[62:65], v60 offset0:32 offset1:48
	s_waitcnt lgkmcnt(0)
	v_fmac_f64_e32 v[42:43], v[62:63], v[2:3]
	v_fmac_f64_e32 v[40:41], v[64:65], v[2:3]
	v_fmac_f64_e32 v[38:39], v[62:63], v[68:69]
	v_fmac_f64_e32 v[36:37], v[64:65], v[68:69]
	ds_read_b128 v[0:3], v57 offset:144
	ds_read2_b64 v[62:65], v60 offset0:64 offset1:80
	ds_read_b128 v[66:69], v57 offset:4240
	s_waitcnt lgkmcnt(1)
	v_fmac_f64_e32 v[42:43], v[62:63], v[0:1]
	v_fmac_f64_e32 v[40:41], v[64:65], v[0:1]
	s_waitcnt lgkmcnt(0)
	v_fmac_f64_e32 v[38:39], v[62:63], v[66:67]
	v_fmac_f64_e32 v[36:37], v[64:65], v[66:67]
	ds_read2_b64 v[62:65], v60 offset0:96 offset1:112
	s_waitcnt lgkmcnt(0)
	v_fmac_f64_e32 v[42:43], v[62:63], v[2:3]
	v_fmac_f64_e32 v[40:41], v[64:65], v[2:3]
	v_fmac_f64_e32 v[38:39], v[62:63], v[68:69]
	v_fmac_f64_e32 v[36:37], v[64:65], v[68:69]
	ds_read_b128 v[0:3], v57 offset:160
	ds_read2_b64 v[62:65], v60 offset0:128 offset1:144
	ds_read_b128 v[66:69], v57 offset:4256
	s_waitcnt lgkmcnt(1)
	v_fmac_f64_e32 v[42:43], v[62:63], v[0:1]
	v_fmac_f64_e32 v[40:41], v[64:65], v[0:1]
	s_waitcnt lgkmcnt(0)
	v_fmac_f64_e32 v[38:39], v[62:63], v[66:67]
	v_fmac_f64_e32 v[36:37], v[64:65], v[66:67]
	ds_read2_b64 v[62:65], v60 offset0:160 offset1:176
	s_waitcnt lgkmcnt(0)
	v_fmac_f64_e32 v[42:43], v[62:63], v[2:3]
	v_fmac_f64_e32 v[40:41], v[64:65], v[2:3]
	v_fmac_f64_e32 v[38:39], v[62:63], v[68:69]
	v_fmac_f64_e32 v[36:37], v[64:65], v[68:69]
	ds_read_b128 v[0:3], v57 offset:176
	ds_read2_b64 v[62:65], v60 offset0:192 offset1:208
	ds_read_b128 v[66:69], v57 offset:4272
	s_waitcnt lgkmcnt(1)
	v_fmac_f64_e32 v[42:43], v[62:63], v[0:1]
	v_fmac_f64_e32 v[40:41], v[64:65], v[0:1]
	s_waitcnt lgkmcnt(0)
	v_fmac_f64_e32 v[38:39], v[62:63], v[66:67]
	v_fmac_f64_e32 v[36:37], v[64:65], v[66:67]
	ds_read2_b64 v[62:65], v60 offset0:224 offset1:240
	;; [unrolled: 60-line block ×3, first 2 shown]
	s_waitcnt lgkmcnt(0)
	s_barrier
	v_fmac_f64_e32 v[42:43], v[62:63], v[2:3]
	v_fmac_f64_e32 v[40:41], v[64:65], v[2:3]
	;; [unrolled: 1-line block ×4, first 2 shown]
	s_cbranch_scc1 .LBB39_44
.LBB39_7:                               ;   Parent Loop BB39_4 Depth=1
                                        ; =>  This Inner Loop Header: Depth=2
	v_lshl_add_u64 v[0:1], v[4:5], 0, s[46:47]
	v_cmp_le_i64_e64 s[14:15], s[42:43], v[0:1]
	v_cmp_eq_u64_e64 s[4:5], s[46:47], v[14:15]
	v_cmp_lt_i64_e64 s[12:13], v[0:1], v[6:7]
	s_and_b64 s[10:11], s[38:39], s[4:5]
	s_or_b64 s[4:5], s[14:15], s[12:13]
	s_or_b64 s[4:5], s[4:5], s[10:11]
	v_lshl_add_u64 v[2:3], v[48:49], 0, v[20:21]
	s_nor_b64 s[4:5], s[0:1], s[4:5]
                                        ; implicit-def: $vgpr52_vgpr53
	s_and_saveexec_b64 s[16:17], s[4:5]
	s_xor_b64 s[4:5], exec, s[16:17]
	s_cbranch_execz .LBB39_9
; %bb.8:                                ;   in Loop: Header=BB39_7 Depth=2
	global_load_dwordx2 v[52:53], v[2:3], off
.LBB39_9:                               ;   in Loop: Header=BB39_7 Depth=2
	s_andn2_saveexec_b64 s[4:5], s[4:5]
	s_cbranch_execz .LBB39_11
; %bb.10:                               ;   in Loop: Header=BB39_7 Depth=2
	v_cndmask_b32_e64 v29, 0, v31, s[10:11]
	s_waitcnt vmcnt(0)
	v_mov_b64_e32 v[52:53], v[28:29]
.LBB39_11:                              ;   in Loop: Header=BB39_7 Depth=2
	s_or_b64 exec, exec, s[4:5]
	v_cmp_eq_u64_e64 s[4:5], s[46:47], v[16:17]
	s_and_b64 s[16:17], s[38:39], s[4:5]
	v_cmp_gt_i64_e64 s[4:5], v[10:11], v[0:1]
	s_or_b64 s[4:5], s[14:15], s[4:5]
	s_or_b64 s[4:5], s[4:5], s[16:17]
	s_nor_b64 s[4:5], s[18:19], s[4:5]
	s_waitcnt vmcnt(0)
	ds_write_b64 v56, v[52:53]
	s_and_saveexec_b64 s[14:15], s[4:5]
	s_xor_b64 s[4:5], exec, s[14:15]
	s_cbranch_execz .LBB39_13
; %bb.12:                               ;   in Loop: Header=BB39_7 Depth=2
	global_load_dwordx2 v[2:3], v[2:3], off offset:128
	s_waitcnt vmcnt(0)
	ds_write_b64 v56, v[2:3] offset:128
.LBB39_13:                              ;   in Loop: Header=BB39_7 Depth=2
	s_andn2_saveexec_b64 s[4:5], s[4:5]
	s_cbranch_execz .LBB39_19
; %bb.14:                               ;   in Loop: Header=BB39_7 Depth=2
	s_xor_b64 s[14:15], s[16:17], -1
	s_and_saveexec_b64 s[16:17], s[14:15]
	s_xor_b64 s[14:15], exec, s[16:17]
; %bb.15:                               ;   in Loop: Header=BB39_7 Depth=2
	ds_write_b64 v56, v[32:33] offset:128
; %bb.16:                               ;   in Loop: Header=BB39_7 Depth=2
	s_andn2_saveexec_b64 s[14:15], s[14:15]
; %bb.17:                               ;   in Loop: Header=BB39_7 Depth=2
	ds_write_b64 v56, v[30:31] offset:128
; %bb.18:                               ;   in Loop: Header=BB39_7 Depth=2
	s_or_b64 exec, exec, s[14:15]
.LBB39_19:                              ;   in Loop: Header=BB39_7 Depth=2
	s_or_b64 exec, exec, s[4:5]
	v_lshl_add_u64 v[2:3], v[0:1], 0, 16
	v_cmp_eq_u64_e64 s[4:5], s[46:47], v[18:19]
	v_cmp_le_i64_e64 s[14:15], s[42:43], v[2:3]
	s_and_b64 s[16:17], s[38:39], s[4:5]
	v_cmp_lt_i64_e64 s[4:5], v[2:3], v[6:7]
	s_or_b64 s[4:5], s[14:15], s[4:5]
	s_or_b64 s[4:5], s[4:5], s[16:17]
	v_lshl_add_u64 v[0:1], v[50:51], 0, v[20:21]
	s_nor_b64 s[4:5], s[0:1], s[4:5]
                                        ; implicit-def: $vgpr2_vgpr3
	s_and_saveexec_b64 s[58:59], s[4:5]
	s_xor_b64 s[4:5], exec, s[58:59]
	s_cbranch_execz .LBB39_21
; %bb.20:                               ;   in Loop: Header=BB39_7 Depth=2
	global_load_dwordx2 v[2:3], v[0:1], off
.LBB39_21:                              ;   in Loop: Header=BB39_7 Depth=2
	s_andn2_saveexec_b64 s[4:5], s[4:5]
	s_cbranch_execz .LBB39_23
; %bb.22:                               ;   in Loop: Header=BB39_7 Depth=2
	v_cndmask_b32_e64 v29, 0, v31, s[16:17]
	s_waitcnt vmcnt(0)
	v_mov_b64_e32 v[2:3], v[28:29]
.LBB39_23:                              ;   in Loop: Header=BB39_7 Depth=2
	s_or_b64 exec, exec, s[4:5]
	s_or_b64 s[4:5], s[14:15], s[12:13]
	s_or_b64 s[4:5], s[4:5], s[10:11]
	s_nor_b64 s[4:5], s[18:19], s[4:5]
	s_waitcnt vmcnt(0)
	ds_write_b64 v56, v[2:3] offset:4096
	s_and_saveexec_b64 s[12:13], s[4:5]
	s_xor_b64 s[4:5], exec, s[12:13]
	s_cbranch_execz .LBB39_25
; %bb.24:                               ;   in Loop: Header=BB39_7 Depth=2
	global_load_dwordx2 v[0:1], v[0:1], off offset:128
	s_waitcnt vmcnt(0)
	ds_write_b64 v56, v[0:1] offset:4224
.LBB39_25:                              ;   in Loop: Header=BB39_7 Depth=2
	s_andn2_saveexec_b64 s[4:5], s[4:5]
	s_cbranch_execz .LBB39_31
; %bb.26:                               ;   in Loop: Header=BB39_7 Depth=2
	s_xor_b64 s[10:11], s[10:11], -1
	s_and_saveexec_b64 s[12:13], s[10:11]
	s_xor_b64 s[10:11], exec, s[12:13]
; %bb.27:                               ;   in Loop: Header=BB39_7 Depth=2
	ds_write_b64 v56, v[32:33] offset:4224
; %bb.28:                               ;   in Loop: Header=BB39_7 Depth=2
	s_andn2_saveexec_b64 s[10:11], s[10:11]
; %bb.29:                               ;   in Loop: Header=BB39_7 Depth=2
	ds_write_b64 v56, v[30:31] offset:4224
; %bb.30:                               ;   in Loop: Header=BB39_7 Depth=2
	s_or_b64 exec, exec, s[10:11]
.LBB39_31:                              ;   in Loop: Header=BB39_7 Depth=2
	s_or_b64 exec, exec, s[4:5]
	v_lshl_add_u64 v[2:3], v[6:7], 0, s[46:47]
	v_cmp_gt_i64_e64 s[10:11], s[42:43], v[2:3]
	v_lshl_add_u64 v[0:1], v[44:45], 0, v[20:21]
	s_and_b64 s[12:13], vcc, s[10:11]
	v_mov_b64_e32 v[52:53], 0
	s_and_saveexec_b64 s[4:5], s[12:13]
	s_cbranch_execz .LBB39_33
; %bb.32:                               ;   in Loop: Header=BB39_7 Depth=2
	global_load_dwordx2 v[52:53], v[0:1], off offset:-128
.LBB39_33:                              ;   in Loop: Header=BB39_7 Depth=2
	s_or_b64 exec, exec, s[4:5]
	v_cmp_gt_i64_e64 s[12:13], s[54:55], v[2:3]
	s_and_b64 s[4:5], vcc, s[12:13]
	s_xor_b64 s[4:5], s[4:5], -1
	s_waitcnt vmcnt(0)
	ds_write_b64 v58, v[52:53]
	s_and_saveexec_b64 s[14:15], s[4:5]
	s_xor_b64 s[4:5], exec, s[14:15]
; %bb.34:                               ;   in Loop: Header=BB39_7 Depth=2
	ds_write_b64 v58, v[32:33] offset:128
                                        ; implicit-def: $vgpr0_vgpr1
; %bb.35:                               ;   in Loop: Header=BB39_7 Depth=2
	s_andn2_saveexec_b64 s[4:5], s[4:5]
	s_cbranch_execz .LBB39_37
; %bb.36:                               ;   in Loop: Header=BB39_7 Depth=2
	global_load_dwordx2 v[0:1], v[0:1], off
	s_waitcnt vmcnt(0)
	ds_write_b64 v58, v[0:1] offset:128
.LBB39_37:                              ;   in Loop: Header=BB39_7 Depth=2
	s_or_b64 exec, exec, s[4:5]
	v_lshl_add_u64 v[0:1], v[46:47], 0, v[20:21]
	s_and_b64 s[10:11], s[8:9], s[10:11]
	v_mov_b64_e32 v[2:3], 0
	s_and_saveexec_b64 s[4:5], s[10:11]
	s_cbranch_execz .LBB39_39
; %bb.38:                               ;   in Loop: Header=BB39_7 Depth=2
	global_load_dwordx2 v[2:3], v[0:1], off
.LBB39_39:                              ;   in Loop: Header=BB39_7 Depth=2
	s_or_b64 exec, exec, s[4:5]
	s_and_b64 s[4:5], s[8:9], s[12:13]
	s_xor_b64 s[4:5], s[4:5], -1
	s_waitcnt vmcnt(0)
	ds_write_b64 v58, v[2:3] offset:4096
	s_and_saveexec_b64 s[10:11], s[4:5]
	s_xor_b64 s[4:5], exec, s[10:11]
; %bb.40:                               ;   in Loop: Header=BB39_7 Depth=2
	ds_write_b64 v58, v[32:33] offset:4224
                                        ; implicit-def: $vgpr0_vgpr1
; %bb.41:                               ;   in Loop: Header=BB39_7 Depth=2
	s_andn2_saveexec_b64 s[4:5], s[4:5]
	s_cbranch_execz .LBB39_6
; %bb.42:                               ;   in Loop: Header=BB39_7 Depth=2
	global_load_dwordx2 v[0:1], v[0:1], off offset:128
	s_waitcnt vmcnt(0)
	ds_write_b64 v58, v[0:1] offset:4224
	s_branch .LBB39_6
.LBB39_43:                              ;   in Loop: Header=BB39_4 Depth=1
	v_mov_b64_e32 v[42:43], 0
	v_mov_b64_e32 v[40:41], 0
	;; [unrolled: 1-line block ×4, first 2 shown]
.LBB39_44:                              ;   in Loop: Header=BB39_4 Depth=1
	v_mul_lo_u32 v2, s25, v34
	v_mul_lo_u32 v3, s24, v35
	v_mad_u64_u32 v[0:1], s[4:5], s24, v34, 0
	v_cmp_gt_i32_e32 vcc, s30, v34
	v_add3_u32 v1, v1, v3, v2
	v_lshl_add_u64 v[0:1], v[0:1], 3, s[22:23]
	s_and_b64 s[8:9], s[20:21], vcc
	s_and_saveexec_b64 s[4:5], s[8:9]
	s_cbranch_execz .LBB39_46
; %bb.45:                               ;   in Loop: Header=BB39_4 Depth=1
	v_lshl_add_u64 v[2:3], v[6:7], 3, v[0:1]
	global_load_dwordx2 v[44:45], v[2:3], off
	s_waitcnt vmcnt(0)
	v_fmac_f64_e32 v[44:45], s[34:35], v[42:43]
	global_store_dwordx2 v[2:3], v[44:45], off
.LBB39_46:                              ;   in Loop: Header=BB39_4 Depth=1
	s_or_b64 exec, exec, s[4:5]
	s_and_b64 s[8:9], s[6:7], vcc
	s_and_saveexec_b64 s[4:5], s[8:9]
	s_cbranch_execz .LBB39_48
; %bb.47:                               ;   in Loop: Header=BB39_4 Depth=1
	v_lshl_add_u64 v[0:1], v[12:13], 3, v[0:1]
	global_load_dwordx2 v[2:3], v[0:1], off
	s_waitcnt vmcnt(0)
	v_fmac_f64_e32 v[2:3], s[34:35], v[40:41]
	global_store_dwordx2 v[0:1], v[2:3], off
.LBB39_48:                              ;   in Loop: Header=BB39_4 Depth=1
	s_or_b64 exec, exec, s[4:5]
	v_add_u32_e32 v0, 16, v34
	v_ashrrev_i32_e32 v1, 31, v0
	v_cmp_gt_i32_e32 vcc, s30, v0
	v_mul_lo_u32 v2, s24, v1
	v_mul_lo_u32 v3, s25, v0
	v_mad_u64_u32 v[0:1], s[4:5], s24, v0, 0
	v_add3_u32 v1, v1, v2, v3
	v_lshl_add_u64 v[0:1], v[0:1], 3, s[22:23]
	s_and_b64 s[8:9], s[20:21], vcc
	s_and_saveexec_b64 s[4:5], s[8:9]
	s_cbranch_execz .LBB39_50
; %bb.49:                               ;   in Loop: Header=BB39_4 Depth=1
	v_lshl_add_u64 v[2:3], v[6:7], 3, v[0:1]
	global_load_dwordx2 v[34:35], v[2:3], off
	s_waitcnt vmcnt(0)
	v_fmac_f64_e32 v[34:35], s[34:35], v[38:39]
	global_store_dwordx2 v[2:3], v[34:35], off
.LBB39_50:                              ;   in Loop: Header=BB39_4 Depth=1
	s_or_b64 exec, exec, s[4:5]
	s_and_b64 s[8:9], s[6:7], vcc
	s_and_saveexec_b64 s[4:5], s[8:9]
	s_cbranch_execz .LBB39_3
; %bb.51:                               ;   in Loop: Header=BB39_4 Depth=1
	v_lshl_add_u64 v[0:1], v[12:13], 3, v[0:1]
	global_load_dwordx2 v[2:3], v[0:1], off
	s_waitcnt vmcnt(0)
	v_fmac_f64_e32 v[2:3], s[34:35], v[36:37]
	global_store_dwordx2 v[0:1], v[2:3], off
	s_branch .LBB39_3
.LBB39_52:
	s_endpgm
	.section	.rodata,"a",@progbits
	.p2align	6, 0x0
	.amdhsa_kernel _ZL30rocblas_trmm_outofplace_kernelIdLi32ELi2ELb1ELb1ELb0ELb0EdKddEv17rocblas_diagonal_iiT6_lPT7_lllS4_lllPT8_llli
		.amdhsa_group_segment_fixed_size 16384
		.amdhsa_private_segment_fixed_size 0
		.amdhsa_kernarg_size 392
		.amdhsa_user_sgpr_count 2
		.amdhsa_user_sgpr_dispatch_ptr 0
		.amdhsa_user_sgpr_queue_ptr 0
		.amdhsa_user_sgpr_kernarg_segment_ptr 1
		.amdhsa_user_sgpr_dispatch_id 0
		.amdhsa_user_sgpr_kernarg_preload_length 0
		.amdhsa_user_sgpr_kernarg_preload_offset 0
		.amdhsa_user_sgpr_private_segment_size 0
		.amdhsa_uses_dynamic_stack 0
		.amdhsa_enable_private_segment 0
		.amdhsa_system_sgpr_workgroup_id_x 1
		.amdhsa_system_sgpr_workgroup_id_y 1
		.amdhsa_system_sgpr_workgroup_id_z 1
		.amdhsa_system_sgpr_workgroup_info 0
		.amdhsa_system_vgpr_workitem_id 1
		.amdhsa_next_free_vgpr 82
		.amdhsa_next_free_sgpr 60
		.amdhsa_accum_offset 84
		.amdhsa_reserve_vcc 1
		.amdhsa_float_round_mode_32 0
		.amdhsa_float_round_mode_16_64 0
		.amdhsa_float_denorm_mode_32 3
		.amdhsa_float_denorm_mode_16_64 3
		.amdhsa_dx10_clamp 1
		.amdhsa_ieee_mode 1
		.amdhsa_fp16_overflow 0
		.amdhsa_tg_split 0
		.amdhsa_exception_fp_ieee_invalid_op 0
		.amdhsa_exception_fp_denorm_src 0
		.amdhsa_exception_fp_ieee_div_zero 0
		.amdhsa_exception_fp_ieee_overflow 0
		.amdhsa_exception_fp_ieee_underflow 0
		.amdhsa_exception_fp_ieee_inexact 0
		.amdhsa_exception_int_div_zero 0
	.end_amdhsa_kernel
	.section	.text._ZL30rocblas_trmm_outofplace_kernelIdLi32ELi2ELb1ELb1ELb0ELb0EdKddEv17rocblas_diagonal_iiT6_lPT7_lllS4_lllPT8_llli,"axG",@progbits,_ZL30rocblas_trmm_outofplace_kernelIdLi32ELi2ELb1ELb1ELb0ELb0EdKddEv17rocblas_diagonal_iiT6_lPT7_lllS4_lllPT8_llli,comdat
.Lfunc_end39:
	.size	_ZL30rocblas_trmm_outofplace_kernelIdLi32ELi2ELb1ELb1ELb0ELb0EdKddEv17rocblas_diagonal_iiT6_lPT7_lllS4_lllPT8_llli, .Lfunc_end39-_ZL30rocblas_trmm_outofplace_kernelIdLi32ELi2ELb1ELb1ELb0ELb0EdKddEv17rocblas_diagonal_iiT6_lPT7_lllS4_lllPT8_llli
                                        ; -- End function
	.set _ZL30rocblas_trmm_outofplace_kernelIdLi32ELi2ELb1ELb1ELb0ELb0EdKddEv17rocblas_diagonal_iiT6_lPT7_lllS4_lllPT8_llli.num_vgpr, 82
	.set _ZL30rocblas_trmm_outofplace_kernelIdLi32ELi2ELb1ELb1ELb0ELb0EdKddEv17rocblas_diagonal_iiT6_lPT7_lllS4_lllPT8_llli.num_agpr, 0
	.set _ZL30rocblas_trmm_outofplace_kernelIdLi32ELi2ELb1ELb1ELb0ELb0EdKddEv17rocblas_diagonal_iiT6_lPT7_lllS4_lllPT8_llli.numbered_sgpr, 60
	.set _ZL30rocblas_trmm_outofplace_kernelIdLi32ELi2ELb1ELb1ELb0ELb0EdKddEv17rocblas_diagonal_iiT6_lPT7_lllS4_lllPT8_llli.num_named_barrier, 0
	.set _ZL30rocblas_trmm_outofplace_kernelIdLi32ELi2ELb1ELb1ELb0ELb0EdKddEv17rocblas_diagonal_iiT6_lPT7_lllS4_lllPT8_llli.private_seg_size, 0
	.set _ZL30rocblas_trmm_outofplace_kernelIdLi32ELi2ELb1ELb1ELb0ELb0EdKddEv17rocblas_diagonal_iiT6_lPT7_lllS4_lllPT8_llli.uses_vcc, 1
	.set _ZL30rocblas_trmm_outofplace_kernelIdLi32ELi2ELb1ELb1ELb0ELb0EdKddEv17rocblas_diagonal_iiT6_lPT7_lllS4_lllPT8_llli.uses_flat_scratch, 0
	.set _ZL30rocblas_trmm_outofplace_kernelIdLi32ELi2ELb1ELb1ELb0ELb0EdKddEv17rocblas_diagonal_iiT6_lPT7_lllS4_lllPT8_llli.has_dyn_sized_stack, 0
	.set _ZL30rocblas_trmm_outofplace_kernelIdLi32ELi2ELb1ELb1ELb0ELb0EdKddEv17rocblas_diagonal_iiT6_lPT7_lllS4_lllPT8_llli.has_recursion, 0
	.set _ZL30rocblas_trmm_outofplace_kernelIdLi32ELi2ELb1ELb1ELb0ELb0EdKddEv17rocblas_diagonal_iiT6_lPT7_lllS4_lllPT8_llli.has_indirect_call, 0
	.section	.AMDGPU.csdata,"",@progbits
; Kernel info:
; codeLenInByte = 3040
; TotalNumSgprs: 66
; NumVgprs: 82
; NumAgprs: 0
; TotalNumVgprs: 82
; ScratchSize: 0
; MemoryBound: 0
; FloatMode: 240
; IeeeMode: 1
; LDSByteSize: 16384 bytes/workgroup (compile time only)
; SGPRBlocks: 8
; VGPRBlocks: 10
; NumSGPRsForWavesPerEU: 66
; NumVGPRsForWavesPerEU: 82
; AccumOffset: 84
; Occupancy: 5
; WaveLimiterHint : 0
; COMPUTE_PGM_RSRC2:SCRATCH_EN: 0
; COMPUTE_PGM_RSRC2:USER_SGPR: 2
; COMPUTE_PGM_RSRC2:TRAP_HANDLER: 0
; COMPUTE_PGM_RSRC2:TGID_X_EN: 1
; COMPUTE_PGM_RSRC2:TGID_Y_EN: 1
; COMPUTE_PGM_RSRC2:TGID_Z_EN: 1
; COMPUTE_PGM_RSRC2:TIDIG_COMP_CNT: 1
; COMPUTE_PGM_RSRC3_GFX90A:ACCUM_OFFSET: 20
; COMPUTE_PGM_RSRC3_GFX90A:TG_SPLIT: 0
	.section	.text._ZL30rocblas_trmm_outofplace_kernelIdLi32ELi2ELb1ELb0ELb1ELb0EPKdS0_dEv17rocblas_diagonal_iiT6_lPT7_lllS5_lllPT8_llli,"axG",@progbits,_ZL30rocblas_trmm_outofplace_kernelIdLi32ELi2ELb1ELb0ELb1ELb0EPKdS0_dEv17rocblas_diagonal_iiT6_lPT7_lllS5_lllPT8_llli,comdat
	.globl	_ZL30rocblas_trmm_outofplace_kernelIdLi32ELi2ELb1ELb0ELb1ELb0EPKdS0_dEv17rocblas_diagonal_iiT6_lPT7_lllS5_lllPT8_llli ; -- Begin function _ZL30rocblas_trmm_outofplace_kernelIdLi32ELi2ELb1ELb0ELb1ELb0EPKdS0_dEv17rocblas_diagonal_iiT6_lPT7_lllS5_lllPT8_llli
	.p2align	8
	.type	_ZL30rocblas_trmm_outofplace_kernelIdLi32ELi2ELb1ELb0ELb1ELb0EPKdS0_dEv17rocblas_diagonal_iiT6_lPT7_lllS5_lllPT8_llli,@function
_ZL30rocblas_trmm_outofplace_kernelIdLi32ELi2ELb1ELb0ELb1ELb0EPKdS0_dEv17rocblas_diagonal_iiT6_lPT7_lllS5_lllPT8_llli: ; @_ZL30rocblas_trmm_outofplace_kernelIdLi32ELi2ELb1ELb0ELb1ELb0EPKdS0_dEv17rocblas_diagonal_iiT6_lPT7_lllS5_lllPT8_llli
; %bb.0:
	s_load_dwordx16 s[36:51], s[0:1], 0x10
	s_waitcnt lgkmcnt(0)
	s_mul_i32 s5, s39, s4
	s_mul_hi_u32 s6, s38, s4
	s_add_i32 s7, s6, s5
	s_mul_i32 s6, s38, s4
	s_lshl_b64 s[6:7], s[6:7], 3
	s_add_u32 s6, s36, s6
	s_addc_u32 s7, s37, s7
	s_load_dwordx2 s[22:23], s[6:7], 0x0
	s_waitcnt lgkmcnt(0)
	v_cmp_eq_f64_e64 s[6:7], s[22:23], 0
	s_and_b64 vcc, exec, s[6:7]
	s_cbranch_vccnz .LBB40_52
; %bb.1:
	s_load_dwordx4 s[36:39], s[0:1], 0x0
	s_waitcnt lgkmcnt(0)
	s_add_i32 s5, s38, -1
	s_ashr_i32 s6, s5, 31
	s_lshr_b32 s6, s6, 27
	s_add_i32 s5, s5, s6
	s_ashr_i32 s33, s5, 5
	s_cmp_gt_i32 s3, s33
	s_cbranch_scc1 .LBB40_52
; %bb.2:
	s_load_dwordx8 s[24:31], s[0:1], 0x50
	s_load_dwordx4 s[52:55], s[0:1], 0x70
	s_mul_i32 s5, s47, s4
	s_mul_hi_u32 s6, s46, s4
	s_add_i32 s7, s6, s5
	s_mul_i32 s6, s46, s4
	s_lshl_b64 s[8:9], s[6:7], 3
	s_add_u32 s5, s40, s8
	s_addc_u32 s7, s41, s9
	s_lshl_b64 s[10:11], s[42:43], 3
	s_add_u32 s6, s5, s10
	s_load_dword s39, s[0:1], 0x8c
	s_waitcnt lgkmcnt(0)
	s_mul_i32 s0, s55, s4
	s_mul_hi_u32 s1, s54, s4
	s_addc_u32 s7, s7, s11
	s_add_i32 s1, s1, s0
	s_mul_i32 s0, s54, s4
	s_lshl_b64 s[0:1], s[0:1], 3
	s_add_u32 s5, s28, s0
	s_addc_u32 s12, s29, s1
	s_lshl_b64 s[0:1], s[30:31], 3
	s_add_u32 s28, s5, s0
	v_bfe_u32 v52, v0, 10, 10
	s_addc_u32 s29, s12, s1
	s_lshl_b32 s2, s2, 5
	v_and_b32_e32 v10, 0x3ff, v0
	v_add_u32_e32 v4, s2, v52
	v_add_u32_e32 v6, s2, v10
	s_sub_i32 s2, s37, s2
	s_cmp_gt_i32 s2, 0
	s_cselect_b64 s[30:31], -1, 0
	s_cmpk_eq_i32 s36, 0x84
	s_cselect_b64 s[34:35], -1, 0
	s_ashr_i32 s43, s37, 31
	s_ashr_i32 s54, s38, 31
	s_add_u32 s46, s37, -16
	s_mul_i32 s5, s27, s4
	s_mul_hi_u32 s12, s26, s4
	v_ashrrev_i32_e32 v7, 31, v6
	s_addc_u32 s47, s43, -1
	s_add_i32 s5, s12, s5
	s_mul_i32 s4, s26, s4
	v_mul_lo_u32 v2, s44, v7
	v_mul_lo_u32 v3, s45, v6
	v_mad_u64_u32 v[0:1], s[0:1], s44, v6, 0
	s_lshl_b64 s[4:5], s[4:5], 3
	s_lshl_b64 s[12:13], s[50:51], 3
	v_ashrrev_i32_e32 v5, 31, v4
	v_add3_u32 v1, v1, v2, v3
	s_add_u32 s4, s4, s12
	v_lshl_add_u64 v[0:1], v[0:1], 3, s[6:7]
	v_lshlrev_b64 v[2:3], 3, v[4:5]
	s_addc_u32 s5, s5, s13
	v_lshl_add_u64 v[8:9], v[0:1], 0, v[2:3]
	v_lshlrev_b32_e32 v0, 8, v52
	v_lshlrev_b32_e32 v53, 3, v10
	s_add_u32 s4, s48, s4
	v_add_u32_e32 v54, v53, v0
	v_add_u32_e32 v55, 0x2000, v0
	v_lshlrev_b64 v[0:1], 3, v[6:7]
	s_addc_u32 s5, s49, s5
	v_lshl_add_u64 v[20:21], s[4:5], 0, v[0:1]
	s_mov_b64 s[4:5], 0x80
	s_lshl_b64 s[26:27], s[24:25], 3
	s_lshl_b32 s48, s39, 5
	v_lshl_add_u64 v[22:23], v[20:21], 0, s[4:5]
	v_lshl_add_u64 v[0:1], v[0:1], 0, s[4:5]
	s_add_u32 s4, s10, s8
	s_addc_u32 s5, s11, s9
	v_mov_b64_e32 v[26:27], s[4:5]
	v_mul_lo_u32 v25, s44, v1
	v_mul_lo_u32 v28, s45, v0
	v_mad_u64_u32 v[0:1], s[4:5], s44, v0, v[26:27]
	v_sub_co_u32_e32 v14, vcc, v6, v4
	v_add3_u32 v1, v28, v1, v25
	s_mov_b32 s42, s37
	v_lshl_add_u64 v[10:11], v[6:7], 0, 16
	v_add_u32_e32 v12, 16, v6
	v_subb_co_u32_e32 v15, vcc, v7, v5, vcc
	v_lshl_add_u64 v[0:1], v[0:1], 0, v[2:3]
	v_mov_b32_e32 v28, 0
	v_add_u32_e32 v56, v55, v53
	v_cmp_le_i32_e64 s[0:1], s37, v6
	v_cmp_le_i64_e64 s[18:19], s[42:43], v[10:11]
	v_cmp_gt_i32_e64 s[20:21], s37, v6
	v_cmp_gt_i32_e64 s[6:7], s37, v12
	v_ashrrev_i32_e32 v13, 31, v12
	v_lshl_add_u64 v[16:17], v[14:15], 0, 16
	v_lshl_add_u64 v[18:19], v[14:15], 0, -16
	v_lshl_add_u32 v24, s3, 5, v52
	v_lshl_add_u64 v[26:27], s[40:41], 0, v[0:1]
	v_mov_b64_e32 v[30:31], 0x80
	v_mov_b32_e32 v33, 0x3ff00000
	v_mov_b32_e32 v34, 0
	;; [unrolled: 1-line block ×4, first 2 shown]
	v_add_u32_e32 v57, 0x800, v53
	v_add_u32_e32 v58, 0x1000, v53
	;; [unrolled: 1-line block ×3, first 2 shown]
	s_branch .LBB40_4
.LBB40_3:                               ;   in Loop: Header=BB40_4 Depth=1
	s_or_b64 exec, exec, s[4:5]
	s_add_i32 s3, s39, s3
	s_cmp_le_i32 s3, s33
	v_add_u32_e32 v24, s48, v24
	s_cbranch_scc0 .LBB40_52
.LBB40_4:                               ; =>This Loop Header: Depth=1
                                        ;     Child Loop BB40_7 Depth 2
	v_lshl_add_u32 v36, s3, 5, v52
	s_andn2_b64 vcc, exec, s[30:31]
	v_ashrrev_i32_e32 v37, 31, v36
	s_cbranch_vccnz .LBB40_43
; %bb.5:                                ;   in Loop: Header=BB40_4 Depth=1
	v_ashrrev_i32_e32 v25, 31, v24
	v_mad_u64_u32 v[46:47], s[4:5], s26, v24, v[22:23]
	v_mul_lo_u32 v0, s27, v24
	v_mul_lo_u32 v1, s26, v25
	v_add3_u32 v47, v0, v47, v1
	v_lshl_add_u64 v[0:1], v[24:25], 3, v[30:31]
	v_mul_lo_u32 v1, s24, v1
	v_mul_lo_u32 v2, s25, v0
	v_mad_u64_u32 v[48:49], s[4:5], s24, v0, v[20:21]
	v_add3_u32 v49, v2, v49, v1
	v_mov_b32_e32 v1, s54
	v_sub_co_u32_e32 v0, vcc, s38, v36
	s_mov_b64 s[36:37], 0
	s_nop 0
	v_subb_co_u32_e32 v1, vcc, v1, v37, vcc
	v_cmp_lt_i64_e32 vcc, 0, v[0:1]
	v_cmp_lt_i64_e64 s[8:9], 16, v[0:1]
	v_mov_b64_e32 v[38:39], 0
	s_mov_b64 s[40:41], 0
	v_mov_b64_e32 v[40:41], 0
	v_mov_b64_e32 v[42:43], 0
	;; [unrolled: 1-line block ×3, first 2 shown]
	s_branch .LBB40_7
.LBB40_6:                               ;   in Loop: Header=BB40_7 Depth=2
	s_or_b64 exec, exec, s[4:5]
	s_waitcnt lgkmcnt(0)
	s_barrier
	ds_read_b128 v[60:63], v55
	ds_read_b128 v[64:67], v55 offset:16
	ds_read_b128 v[68:71], v55 offset:32
	ds_read_b128 v[0:3], v55 offset:48
	ds_read2_b64 v[72:75], v53 offset1:16
	ds_read_b128 v[76:79], v55 offset:4096
	s_add_u32 s40, s40, 32
	s_addc_u32 s41, s41, 0
	s_add_u32 s36, s36, 0x100
	s_waitcnt lgkmcnt(1)
	v_fmac_f64_e32 v[44:45], v[72:73], v[60:61]
	v_fmac_f64_e32 v[42:43], v[74:75], v[60:61]
	s_waitcnt lgkmcnt(0)
	v_fmac_f64_e32 v[40:41], v[72:73], v[76:77]
	v_fmac_f64_e32 v[38:39], v[74:75], v[76:77]
	ds_read2_b64 v[72:75], v53 offset0:32 offset1:48
	s_addc_u32 s37, s37, 0
	s_cmp_ge_i32 s40, s2
	s_waitcnt lgkmcnt(0)
	v_fmac_f64_e32 v[44:45], v[72:73], v[62:63]
	v_fmac_f64_e32 v[42:43], v[74:75], v[62:63]
	v_fmac_f64_e32 v[40:41], v[72:73], v[78:79]
	v_fmac_f64_e32 v[38:39], v[74:75], v[78:79]
	ds_read2_b64 v[60:63], v53 offset0:64 offset1:80
	ds_read_b128 v[72:75], v55 offset:4112
	s_waitcnt lgkmcnt(1)
	v_fmac_f64_e32 v[44:45], v[60:61], v[64:65]
	v_fmac_f64_e32 v[42:43], v[62:63], v[64:65]
	s_waitcnt lgkmcnt(0)
	v_fmac_f64_e32 v[40:41], v[60:61], v[72:73]
	v_fmac_f64_e32 v[38:39], v[62:63], v[72:73]
	ds_read2_b64 v[60:63], v53 offset0:96 offset1:112
	s_waitcnt lgkmcnt(0)
	v_fmac_f64_e32 v[44:45], v[60:61], v[66:67]
	v_fmac_f64_e32 v[42:43], v[62:63], v[66:67]
	v_fmac_f64_e32 v[40:41], v[60:61], v[74:75]
	v_fmac_f64_e32 v[38:39], v[62:63], v[74:75]
	ds_read2_b64 v[60:63], v53 offset0:128 offset1:144
	ds_read_b128 v[64:67], v55 offset:4128
	s_waitcnt lgkmcnt(1)
	v_fmac_f64_e32 v[44:45], v[60:61], v[68:69]
	v_fmac_f64_e32 v[42:43], v[62:63], v[68:69]
	s_waitcnt lgkmcnt(0)
	v_fmac_f64_e32 v[40:41], v[60:61], v[64:65]
	v_fmac_f64_e32 v[38:39], v[62:63], v[64:65]
	ds_read2_b64 v[60:63], v53 offset0:160 offset1:176
	s_waitcnt lgkmcnt(0)
	v_fmac_f64_e32 v[44:45], v[60:61], v[70:71]
	v_fmac_f64_e32 v[42:43], v[62:63], v[70:71]
	v_fmac_f64_e32 v[40:41], v[60:61], v[66:67]
	v_fmac_f64_e32 v[38:39], v[62:63], v[66:67]
	ds_read2_b64 v[60:63], v53 offset0:192 offset1:208
	ds_read_b128 v[64:67], v55 offset:4144
	s_waitcnt lgkmcnt(1)
	v_fmac_f64_e32 v[44:45], v[60:61], v[0:1]
	v_fmac_f64_e32 v[42:43], v[62:63], v[0:1]
	s_waitcnt lgkmcnt(0)
	v_fmac_f64_e32 v[40:41], v[60:61], v[64:65]
	v_fmac_f64_e32 v[38:39], v[62:63], v[64:65]
	ds_read2_b64 v[60:63], v53 offset0:224 offset1:240
	s_waitcnt lgkmcnt(0)
	v_fmac_f64_e32 v[44:45], v[60:61], v[2:3]
	v_fmac_f64_e32 v[42:43], v[62:63], v[2:3]
	v_fmac_f64_e32 v[40:41], v[60:61], v[66:67]
	v_fmac_f64_e32 v[38:39], v[62:63], v[66:67]
	ds_read_b128 v[0:3], v55 offset:64
	ds_read2_b64 v[60:63], v57 offset1:16
	ds_read_b128 v[64:67], v55 offset:4160
	s_waitcnt lgkmcnt(1)
	v_fmac_f64_e32 v[44:45], v[60:61], v[0:1]
	v_fmac_f64_e32 v[42:43], v[62:63], v[0:1]
	s_waitcnt lgkmcnt(0)
	v_fmac_f64_e32 v[40:41], v[60:61], v[64:65]
	v_fmac_f64_e32 v[38:39], v[62:63], v[64:65]
	ds_read2_b64 v[60:63], v57 offset0:32 offset1:48
	s_waitcnt lgkmcnt(0)
	v_fmac_f64_e32 v[44:45], v[60:61], v[2:3]
	v_fmac_f64_e32 v[42:43], v[62:63], v[2:3]
	v_fmac_f64_e32 v[40:41], v[60:61], v[66:67]
	v_fmac_f64_e32 v[38:39], v[62:63], v[66:67]
	ds_read_b128 v[0:3], v55 offset:80
	ds_read2_b64 v[60:63], v57 offset0:64 offset1:80
	ds_read_b128 v[64:67], v55 offset:4176
	s_waitcnt lgkmcnt(1)
	v_fmac_f64_e32 v[44:45], v[60:61], v[0:1]
	v_fmac_f64_e32 v[42:43], v[62:63], v[0:1]
	s_waitcnt lgkmcnt(0)
	v_fmac_f64_e32 v[40:41], v[60:61], v[64:65]
	v_fmac_f64_e32 v[38:39], v[62:63], v[64:65]
	ds_read2_b64 v[60:63], v57 offset0:96 offset1:112
	s_waitcnt lgkmcnt(0)
	v_fmac_f64_e32 v[44:45], v[60:61], v[2:3]
	v_fmac_f64_e32 v[42:43], v[62:63], v[2:3]
	v_fmac_f64_e32 v[40:41], v[60:61], v[66:67]
	v_fmac_f64_e32 v[38:39], v[62:63], v[66:67]
	ds_read_b128 v[0:3], v55 offset:96
	ds_read2_b64 v[60:63], v57 offset0:128 offset1:144
	ds_read_b128 v[64:67], v55 offset:4192
	s_waitcnt lgkmcnt(1)
	v_fmac_f64_e32 v[44:45], v[60:61], v[0:1]
	v_fmac_f64_e32 v[42:43], v[62:63], v[0:1]
	s_waitcnt lgkmcnt(0)
	v_fmac_f64_e32 v[40:41], v[60:61], v[64:65]
	v_fmac_f64_e32 v[38:39], v[62:63], v[64:65]
	ds_read2_b64 v[60:63], v57 offset0:160 offset1:176
	s_waitcnt lgkmcnt(0)
	v_fmac_f64_e32 v[44:45], v[60:61], v[2:3]
	v_fmac_f64_e32 v[42:43], v[62:63], v[2:3]
	v_fmac_f64_e32 v[40:41], v[60:61], v[66:67]
	v_fmac_f64_e32 v[38:39], v[62:63], v[66:67]
	ds_read_b128 v[0:3], v55 offset:112
	ds_read2_b64 v[60:63], v57 offset0:192 offset1:208
	ds_read_b128 v[64:67], v55 offset:4208
	s_waitcnt lgkmcnt(1)
	v_fmac_f64_e32 v[44:45], v[60:61], v[0:1]
	v_fmac_f64_e32 v[42:43], v[62:63], v[0:1]
	s_waitcnt lgkmcnt(0)
	v_fmac_f64_e32 v[40:41], v[60:61], v[64:65]
	v_fmac_f64_e32 v[38:39], v[62:63], v[64:65]
	ds_read2_b64 v[60:63], v57 offset0:224 offset1:240
	s_waitcnt lgkmcnt(0)
	v_fmac_f64_e32 v[44:45], v[60:61], v[2:3]
	v_fmac_f64_e32 v[42:43], v[62:63], v[2:3]
	v_fmac_f64_e32 v[40:41], v[60:61], v[66:67]
	v_fmac_f64_e32 v[38:39], v[62:63], v[66:67]
	ds_read_b128 v[0:3], v55 offset:128
	ds_read2_b64 v[60:63], v58 offset1:16
	ds_read_b128 v[64:67], v55 offset:4224
	s_waitcnt lgkmcnt(1)
	v_fmac_f64_e32 v[44:45], v[60:61], v[0:1]
	v_fmac_f64_e32 v[42:43], v[62:63], v[0:1]
	s_waitcnt lgkmcnt(0)
	v_fmac_f64_e32 v[40:41], v[60:61], v[64:65]
	v_fmac_f64_e32 v[38:39], v[62:63], v[64:65]
	ds_read2_b64 v[60:63], v58 offset0:32 offset1:48
	s_waitcnt lgkmcnt(0)
	v_fmac_f64_e32 v[44:45], v[60:61], v[2:3]
	v_fmac_f64_e32 v[42:43], v[62:63], v[2:3]
	v_fmac_f64_e32 v[40:41], v[60:61], v[66:67]
	v_fmac_f64_e32 v[38:39], v[62:63], v[66:67]
	ds_read_b128 v[0:3], v55 offset:144
	ds_read2_b64 v[60:63], v58 offset0:64 offset1:80
	ds_read_b128 v[64:67], v55 offset:4240
	s_waitcnt lgkmcnt(1)
	v_fmac_f64_e32 v[44:45], v[60:61], v[0:1]
	v_fmac_f64_e32 v[42:43], v[62:63], v[0:1]
	s_waitcnt lgkmcnt(0)
	v_fmac_f64_e32 v[40:41], v[60:61], v[64:65]
	v_fmac_f64_e32 v[38:39], v[62:63], v[64:65]
	ds_read2_b64 v[60:63], v58 offset0:96 offset1:112
	s_waitcnt lgkmcnt(0)
	v_fmac_f64_e32 v[44:45], v[60:61], v[2:3]
	v_fmac_f64_e32 v[42:43], v[62:63], v[2:3]
	v_fmac_f64_e32 v[40:41], v[60:61], v[66:67]
	v_fmac_f64_e32 v[38:39], v[62:63], v[66:67]
	ds_read_b128 v[0:3], v55 offset:160
	ds_read2_b64 v[60:63], v58 offset0:128 offset1:144
	ds_read_b128 v[64:67], v55 offset:4256
	s_waitcnt lgkmcnt(1)
	v_fmac_f64_e32 v[44:45], v[60:61], v[0:1]
	v_fmac_f64_e32 v[42:43], v[62:63], v[0:1]
	s_waitcnt lgkmcnt(0)
	v_fmac_f64_e32 v[40:41], v[60:61], v[64:65]
	v_fmac_f64_e32 v[38:39], v[62:63], v[64:65]
	ds_read2_b64 v[60:63], v58 offset0:160 offset1:176
	s_waitcnt lgkmcnt(0)
	v_fmac_f64_e32 v[44:45], v[60:61], v[2:3]
	v_fmac_f64_e32 v[42:43], v[62:63], v[2:3]
	v_fmac_f64_e32 v[40:41], v[60:61], v[66:67]
	v_fmac_f64_e32 v[38:39], v[62:63], v[66:67]
	ds_read_b128 v[0:3], v55 offset:176
	ds_read2_b64 v[60:63], v58 offset0:192 offset1:208
	ds_read_b128 v[64:67], v55 offset:4272
	s_waitcnt lgkmcnt(1)
	v_fmac_f64_e32 v[44:45], v[60:61], v[0:1]
	v_fmac_f64_e32 v[42:43], v[62:63], v[0:1]
	s_waitcnt lgkmcnt(0)
	v_fmac_f64_e32 v[40:41], v[60:61], v[64:65]
	v_fmac_f64_e32 v[38:39], v[62:63], v[64:65]
	ds_read2_b64 v[60:63], v58 offset0:224 offset1:240
	;; [unrolled: 60-line block ×3, first 2 shown]
	s_waitcnt lgkmcnt(0)
	s_barrier
	v_fmac_f64_e32 v[44:45], v[60:61], v[2:3]
	v_fmac_f64_e32 v[42:43], v[62:63], v[2:3]
	;; [unrolled: 1-line block ×4, first 2 shown]
	s_cbranch_scc1 .LBB40_44
.LBB40_7:                               ;   Parent Loop BB40_4 Depth=1
                                        ; =>  This Inner Loop Header: Depth=2
	v_lshl_add_u64 v[50:51], v[4:5], 0, s[40:41]
	v_cmp_le_i64_e64 s[14:15], s[42:43], v[50:51]
	v_cmp_eq_u64_e64 s[4:5], s[40:41], v[14:15]
	v_cmp_lt_i64_e64 s[12:13], v[50:51], v[6:7]
	s_and_b64 s[10:11], s[34:35], s[4:5]
	s_or_b64 s[4:5], s[14:15], s[12:13]
	s_or_b64 s[4:5], s[4:5], s[10:11]
	v_lshl_add_u64 v[0:1], v[8:9], 0, s[36:37]
	s_nor_b64 s[4:5], s[0:1], s[4:5]
                                        ; implicit-def: $vgpr2_vgpr3
	s_and_saveexec_b64 s[16:17], s[4:5]
	s_xor_b64 s[4:5], exec, s[16:17]
	s_cbranch_execz .LBB40_9
; %bb.8:                                ;   in Loop: Header=BB40_7 Depth=2
	global_load_dwordx2 v[2:3], v[0:1], off
.LBB40_9:                               ;   in Loop: Header=BB40_7 Depth=2
	s_andn2_saveexec_b64 s[4:5], s[4:5]
	s_cbranch_execz .LBB40_11
; %bb.10:                               ;   in Loop: Header=BB40_7 Depth=2
	v_cndmask_b32_e64 v29, 0, v33, s[10:11]
	s_waitcnt vmcnt(0)
	v_mov_b64_e32 v[2:3], v[28:29]
.LBB40_11:                              ;   in Loop: Header=BB40_7 Depth=2
	s_or_b64 exec, exec, s[4:5]
	v_cmp_eq_u64_e64 s[4:5], s[40:41], v[16:17]
	s_and_b64 s[16:17], s[34:35], s[4:5]
	v_cmp_gt_i64_e64 s[4:5], v[10:11], v[50:51]
	s_or_b64 s[4:5], s[14:15], s[4:5]
	s_or_b64 s[4:5], s[4:5], s[16:17]
	s_waitcnt vmcnt(0)
	ds_write_b64 v54, v[2:3]
	s_nor_b64 s[4:5], s[18:19], s[4:5]
	v_lshl_add_u64 v[2:3], v[26:27], 0, s[36:37]
	s_and_saveexec_b64 s[14:15], s[4:5]
	s_xor_b64 s[4:5], exec, s[14:15]
	s_cbranch_execz .LBB40_13
; %bb.12:                               ;   in Loop: Header=BB40_7 Depth=2
	global_load_dwordx2 v[60:61], v[2:3], off
	s_waitcnt vmcnt(0)
	ds_write_b64 v54, v[60:61] offset:128
.LBB40_13:                              ;   in Loop: Header=BB40_7 Depth=2
	s_andn2_saveexec_b64 s[4:5], s[4:5]
	s_cbranch_execz .LBB40_19
; %bb.14:                               ;   in Loop: Header=BB40_7 Depth=2
	s_xor_b64 s[14:15], s[16:17], -1
	s_and_saveexec_b64 s[16:17], s[14:15]
	s_xor_b64 s[14:15], exec, s[16:17]
; %bb.15:                               ;   in Loop: Header=BB40_7 Depth=2
	ds_write_b64 v54, v[34:35] offset:128
; %bb.16:                               ;   in Loop: Header=BB40_7 Depth=2
	s_andn2_saveexec_b64 s[14:15], s[14:15]
; %bb.17:                               ;   in Loop: Header=BB40_7 Depth=2
	ds_write_b64 v54, v[32:33] offset:128
; %bb.18:                               ;   in Loop: Header=BB40_7 Depth=2
	s_or_b64 exec, exec, s[14:15]
.LBB40_19:                              ;   in Loop: Header=BB40_7 Depth=2
	s_or_b64 exec, exec, s[4:5]
	v_lshl_add_u64 v[50:51], v[50:51], 0, 16
	v_cmp_eq_u64_e64 s[4:5], s[40:41], v[18:19]
	v_cmp_le_i64_e64 s[14:15], s[42:43], v[50:51]
	s_and_b64 s[16:17], s[34:35], s[4:5]
	v_cmp_lt_i64_e64 s[4:5], v[50:51], v[6:7]
	s_or_b64 s[4:5], s[14:15], s[4:5]
	s_or_b64 s[4:5], s[4:5], s[16:17]
	s_nor_b64 s[4:5], s[0:1], s[4:5]
                                        ; implicit-def: $vgpr50_vgpr51
	s_and_saveexec_b64 s[44:45], s[4:5]
	s_xor_b64 s[4:5], exec, s[44:45]
	s_cbranch_execz .LBB40_21
; %bb.20:                               ;   in Loop: Header=BB40_7 Depth=2
	global_load_dwordx2 v[50:51], v[0:1], off offset:128
.LBB40_21:                              ;   in Loop: Header=BB40_7 Depth=2
	s_andn2_saveexec_b64 s[4:5], s[4:5]
	s_cbranch_execz .LBB40_23
; %bb.22:                               ;   in Loop: Header=BB40_7 Depth=2
	v_cndmask_b32_e64 v29, 0, v33, s[16:17]
	s_waitcnt vmcnt(0)
	v_mov_b64_e32 v[50:51], v[28:29]
.LBB40_23:                              ;   in Loop: Header=BB40_7 Depth=2
	s_or_b64 exec, exec, s[4:5]
	s_or_b64 s[4:5], s[14:15], s[12:13]
	s_or_b64 s[4:5], s[4:5], s[10:11]
	s_nor_b64 s[4:5], s[18:19], s[4:5]
	s_waitcnt vmcnt(0)
	ds_write_b64 v54, v[50:51] offset:4096
	s_and_saveexec_b64 s[12:13], s[4:5]
	s_xor_b64 s[4:5], exec, s[12:13]
	s_cbranch_execz .LBB40_25
; %bb.24:                               ;   in Loop: Header=BB40_7 Depth=2
	global_load_dwordx2 v[0:1], v[2:3], off offset:128
	s_waitcnt vmcnt(0)
	ds_write_b64 v54, v[0:1] offset:4224
.LBB40_25:                              ;   in Loop: Header=BB40_7 Depth=2
	s_andn2_saveexec_b64 s[4:5], s[4:5]
	s_cbranch_execz .LBB40_31
; %bb.26:                               ;   in Loop: Header=BB40_7 Depth=2
	s_xor_b64 s[10:11], s[10:11], -1
	s_and_saveexec_b64 s[12:13], s[10:11]
	s_xor_b64 s[10:11], exec, s[12:13]
; %bb.27:                               ;   in Loop: Header=BB40_7 Depth=2
	ds_write_b64 v54, v[34:35] offset:4224
; %bb.28:                               ;   in Loop: Header=BB40_7 Depth=2
	s_andn2_saveexec_b64 s[10:11], s[10:11]
; %bb.29:                               ;   in Loop: Header=BB40_7 Depth=2
	ds_write_b64 v54, v[32:33] offset:4224
; %bb.30:                               ;   in Loop: Header=BB40_7 Depth=2
	s_or_b64 exec, exec, s[10:11]
.LBB40_31:                              ;   in Loop: Header=BB40_7 Depth=2
	s_or_b64 exec, exec, s[4:5]
	v_lshl_add_u64 v[2:3], v[6:7], 0, s[40:41]
	v_cmp_gt_i64_e64 s[10:11], s[42:43], v[2:3]
	v_lshl_add_u64 v[0:1], v[46:47], 0, s[36:37]
	s_and_b64 s[12:13], vcc, s[10:11]
	v_mov_b64_e32 v[50:51], 0
	s_and_saveexec_b64 s[4:5], s[12:13]
	s_cbranch_execz .LBB40_33
; %bb.32:                               ;   in Loop: Header=BB40_7 Depth=2
	global_load_dwordx2 v[50:51], v[0:1], off offset:-128
.LBB40_33:                              ;   in Loop: Header=BB40_7 Depth=2
	s_or_b64 exec, exec, s[4:5]
	v_cmp_gt_i64_e64 s[12:13], s[46:47], v[2:3]
	s_and_b64 s[4:5], vcc, s[12:13]
	s_xor_b64 s[4:5], s[4:5], -1
	s_waitcnt vmcnt(0)
	ds_write_b64 v56, v[50:51]
	s_and_saveexec_b64 s[14:15], s[4:5]
	s_xor_b64 s[4:5], exec, s[14:15]
; %bb.34:                               ;   in Loop: Header=BB40_7 Depth=2
	ds_write_b64 v56, v[34:35] offset:128
                                        ; implicit-def: $vgpr0_vgpr1
; %bb.35:                               ;   in Loop: Header=BB40_7 Depth=2
	s_andn2_saveexec_b64 s[4:5], s[4:5]
	s_cbranch_execz .LBB40_37
; %bb.36:                               ;   in Loop: Header=BB40_7 Depth=2
	global_load_dwordx2 v[0:1], v[0:1], off
	s_waitcnt vmcnt(0)
	ds_write_b64 v56, v[0:1] offset:128
.LBB40_37:                              ;   in Loop: Header=BB40_7 Depth=2
	s_or_b64 exec, exec, s[4:5]
	v_lshl_add_u64 v[0:1], v[48:49], 0, s[36:37]
	s_and_b64 s[10:11], s[8:9], s[10:11]
	v_mov_b64_e32 v[2:3], 0
	s_and_saveexec_b64 s[4:5], s[10:11]
	s_cbranch_execz .LBB40_39
; %bb.38:                               ;   in Loop: Header=BB40_7 Depth=2
	global_load_dwordx2 v[2:3], v[0:1], off
.LBB40_39:                              ;   in Loop: Header=BB40_7 Depth=2
	s_or_b64 exec, exec, s[4:5]
	s_and_b64 s[4:5], s[8:9], s[12:13]
	s_xor_b64 s[4:5], s[4:5], -1
	s_waitcnt vmcnt(0)
	ds_write_b64 v56, v[2:3] offset:4096
	s_and_saveexec_b64 s[10:11], s[4:5]
	s_xor_b64 s[4:5], exec, s[10:11]
; %bb.40:                               ;   in Loop: Header=BB40_7 Depth=2
	ds_write_b64 v56, v[34:35] offset:4224
                                        ; implicit-def: $vgpr0_vgpr1
; %bb.41:                               ;   in Loop: Header=BB40_7 Depth=2
	s_andn2_saveexec_b64 s[4:5], s[4:5]
	s_cbranch_execz .LBB40_6
; %bb.42:                               ;   in Loop: Header=BB40_7 Depth=2
	global_load_dwordx2 v[0:1], v[0:1], off offset:128
	s_waitcnt vmcnt(0)
	ds_write_b64 v56, v[0:1] offset:4224
	s_branch .LBB40_6
.LBB40_43:                              ;   in Loop: Header=BB40_4 Depth=1
	v_mov_b64_e32 v[44:45], 0
	v_mov_b64_e32 v[42:43], 0
	;; [unrolled: 1-line block ×4, first 2 shown]
.LBB40_44:                              ;   in Loop: Header=BB40_4 Depth=1
	v_mul_lo_u32 v2, s53, v36
	v_mul_lo_u32 v3, s52, v37
	v_mad_u64_u32 v[0:1], s[4:5], s52, v36, 0
	v_cmp_gt_i32_e32 vcc, s38, v36
	v_add3_u32 v1, v1, v3, v2
	v_lshl_add_u64 v[0:1], v[0:1], 3, s[28:29]
	s_and_b64 s[8:9], s[20:21], vcc
	s_and_saveexec_b64 s[4:5], s[8:9]
	s_cbranch_execz .LBB40_46
; %bb.45:                               ;   in Loop: Header=BB40_4 Depth=1
	v_lshl_add_u64 v[2:3], v[6:7], 3, v[0:1]
	global_load_dwordx2 v[46:47], v[2:3], off
	s_waitcnt vmcnt(0)
	v_fmac_f64_e32 v[46:47], s[22:23], v[44:45]
	global_store_dwordx2 v[2:3], v[46:47], off
.LBB40_46:                              ;   in Loop: Header=BB40_4 Depth=1
	s_or_b64 exec, exec, s[4:5]
	s_and_b64 s[8:9], s[6:7], vcc
	s_and_saveexec_b64 s[4:5], s[8:9]
	s_cbranch_execz .LBB40_48
; %bb.47:                               ;   in Loop: Header=BB40_4 Depth=1
	v_lshl_add_u64 v[0:1], v[12:13], 3, v[0:1]
	global_load_dwordx2 v[2:3], v[0:1], off
	s_waitcnt vmcnt(0)
	v_fmac_f64_e32 v[2:3], s[22:23], v[42:43]
	global_store_dwordx2 v[0:1], v[2:3], off
.LBB40_48:                              ;   in Loop: Header=BB40_4 Depth=1
	s_or_b64 exec, exec, s[4:5]
	v_add_u32_e32 v0, 16, v36
	v_ashrrev_i32_e32 v1, 31, v0
	v_cmp_gt_i32_e32 vcc, s38, v0
	v_mul_lo_u32 v2, s52, v1
	v_mul_lo_u32 v3, s53, v0
	v_mad_u64_u32 v[0:1], s[4:5], s52, v0, 0
	v_add3_u32 v1, v1, v2, v3
	v_lshl_add_u64 v[0:1], v[0:1], 3, s[28:29]
	s_and_b64 s[8:9], s[20:21], vcc
	s_and_saveexec_b64 s[4:5], s[8:9]
	s_cbranch_execz .LBB40_50
; %bb.49:                               ;   in Loop: Header=BB40_4 Depth=1
	v_lshl_add_u64 v[2:3], v[6:7], 3, v[0:1]
	global_load_dwordx2 v[36:37], v[2:3], off
	s_waitcnt vmcnt(0)
	v_fmac_f64_e32 v[36:37], s[22:23], v[40:41]
	global_store_dwordx2 v[2:3], v[36:37], off
.LBB40_50:                              ;   in Loop: Header=BB40_4 Depth=1
	s_or_b64 exec, exec, s[4:5]
	s_and_b64 s[8:9], s[6:7], vcc
	s_and_saveexec_b64 s[4:5], s[8:9]
	s_cbranch_execz .LBB40_3
; %bb.51:                               ;   in Loop: Header=BB40_4 Depth=1
	v_lshl_add_u64 v[0:1], v[12:13], 3, v[0:1]
	global_load_dwordx2 v[2:3], v[0:1], off
	s_waitcnt vmcnt(0)
	v_fmac_f64_e32 v[2:3], s[22:23], v[38:39]
	global_store_dwordx2 v[0:1], v[2:3], off
	s_branch .LBB40_3
.LBB40_52:
	s_endpgm
	.section	.rodata,"a",@progbits
	.p2align	6, 0x0
	.amdhsa_kernel _ZL30rocblas_trmm_outofplace_kernelIdLi32ELi2ELb1ELb0ELb1ELb0EPKdS0_dEv17rocblas_diagonal_iiT6_lPT7_lllS5_lllPT8_llli
		.amdhsa_group_segment_fixed_size 16384
		.amdhsa_private_segment_fixed_size 0
		.amdhsa_kernarg_size 392
		.amdhsa_user_sgpr_count 2
		.amdhsa_user_sgpr_dispatch_ptr 0
		.amdhsa_user_sgpr_queue_ptr 0
		.amdhsa_user_sgpr_kernarg_segment_ptr 1
		.amdhsa_user_sgpr_dispatch_id 0
		.amdhsa_user_sgpr_kernarg_preload_length 0
		.amdhsa_user_sgpr_kernarg_preload_offset 0
		.amdhsa_user_sgpr_private_segment_size 0
		.amdhsa_uses_dynamic_stack 0
		.amdhsa_enable_private_segment 0
		.amdhsa_system_sgpr_workgroup_id_x 1
		.amdhsa_system_sgpr_workgroup_id_y 1
		.amdhsa_system_sgpr_workgroup_id_z 1
		.amdhsa_system_sgpr_workgroup_info 0
		.amdhsa_system_vgpr_workitem_id 1
		.amdhsa_next_free_vgpr 80
		.amdhsa_next_free_sgpr 56
		.amdhsa_accum_offset 80
		.amdhsa_reserve_vcc 1
		.amdhsa_float_round_mode_32 0
		.amdhsa_float_round_mode_16_64 0
		.amdhsa_float_denorm_mode_32 3
		.amdhsa_float_denorm_mode_16_64 3
		.amdhsa_dx10_clamp 1
		.amdhsa_ieee_mode 1
		.amdhsa_fp16_overflow 0
		.amdhsa_tg_split 0
		.amdhsa_exception_fp_ieee_invalid_op 0
		.amdhsa_exception_fp_denorm_src 0
		.amdhsa_exception_fp_ieee_div_zero 0
		.amdhsa_exception_fp_ieee_overflow 0
		.amdhsa_exception_fp_ieee_underflow 0
		.amdhsa_exception_fp_ieee_inexact 0
		.amdhsa_exception_int_div_zero 0
	.end_amdhsa_kernel
	.section	.text._ZL30rocblas_trmm_outofplace_kernelIdLi32ELi2ELb1ELb0ELb1ELb0EPKdS0_dEv17rocblas_diagonal_iiT6_lPT7_lllS5_lllPT8_llli,"axG",@progbits,_ZL30rocblas_trmm_outofplace_kernelIdLi32ELi2ELb1ELb0ELb1ELb0EPKdS0_dEv17rocblas_diagonal_iiT6_lPT7_lllS5_lllPT8_llli,comdat
.Lfunc_end40:
	.size	_ZL30rocblas_trmm_outofplace_kernelIdLi32ELi2ELb1ELb0ELb1ELb0EPKdS0_dEv17rocblas_diagonal_iiT6_lPT7_lllS5_lllPT8_llli, .Lfunc_end40-_ZL30rocblas_trmm_outofplace_kernelIdLi32ELi2ELb1ELb0ELb1ELb0EPKdS0_dEv17rocblas_diagonal_iiT6_lPT7_lllS5_lllPT8_llli
                                        ; -- End function
	.set _ZL30rocblas_trmm_outofplace_kernelIdLi32ELi2ELb1ELb0ELb1ELb0EPKdS0_dEv17rocblas_diagonal_iiT6_lPT7_lllS5_lllPT8_llli.num_vgpr, 80
	.set _ZL30rocblas_trmm_outofplace_kernelIdLi32ELi2ELb1ELb0ELb1ELb0EPKdS0_dEv17rocblas_diagonal_iiT6_lPT7_lllS5_lllPT8_llli.num_agpr, 0
	.set _ZL30rocblas_trmm_outofplace_kernelIdLi32ELi2ELb1ELb0ELb1ELb0EPKdS0_dEv17rocblas_diagonal_iiT6_lPT7_lllS5_lllPT8_llli.numbered_sgpr, 56
	.set _ZL30rocblas_trmm_outofplace_kernelIdLi32ELi2ELb1ELb0ELb1ELb0EPKdS0_dEv17rocblas_diagonal_iiT6_lPT7_lllS5_lllPT8_llli.num_named_barrier, 0
	.set _ZL30rocblas_trmm_outofplace_kernelIdLi32ELi2ELb1ELb0ELb1ELb0EPKdS0_dEv17rocblas_diagonal_iiT6_lPT7_lllS5_lllPT8_llli.private_seg_size, 0
	.set _ZL30rocblas_trmm_outofplace_kernelIdLi32ELi2ELb1ELb0ELb1ELb0EPKdS0_dEv17rocblas_diagonal_iiT6_lPT7_lllS5_lllPT8_llli.uses_vcc, 1
	.set _ZL30rocblas_trmm_outofplace_kernelIdLi32ELi2ELb1ELb0ELb1ELb0EPKdS0_dEv17rocblas_diagonal_iiT6_lPT7_lllS5_lllPT8_llli.uses_flat_scratch, 0
	.set _ZL30rocblas_trmm_outofplace_kernelIdLi32ELi2ELb1ELb0ELb1ELb0EPKdS0_dEv17rocblas_diagonal_iiT6_lPT7_lllS5_lllPT8_llli.has_dyn_sized_stack, 0
	.set _ZL30rocblas_trmm_outofplace_kernelIdLi32ELi2ELb1ELb0ELb1ELb0EPKdS0_dEv17rocblas_diagonal_iiT6_lPT7_lllS5_lllPT8_llli.has_recursion, 0
	.set _ZL30rocblas_trmm_outofplace_kernelIdLi32ELi2ELb1ELb0ELb1ELb0EPKdS0_dEv17rocblas_diagonal_iiT6_lPT7_lllS5_lllPT8_llli.has_indirect_call, 0
	.section	.AMDGPU.csdata,"",@progbits
; Kernel info:
; codeLenInByte = 3068
; TotalNumSgprs: 62
; NumVgprs: 80
; NumAgprs: 0
; TotalNumVgprs: 80
; ScratchSize: 0
; MemoryBound: 0
; FloatMode: 240
; IeeeMode: 1
; LDSByteSize: 16384 bytes/workgroup (compile time only)
; SGPRBlocks: 7
; VGPRBlocks: 9
; NumSGPRsForWavesPerEU: 62
; NumVGPRsForWavesPerEU: 80
; AccumOffset: 80
; Occupancy: 6
; WaveLimiterHint : 0
; COMPUTE_PGM_RSRC2:SCRATCH_EN: 0
; COMPUTE_PGM_RSRC2:USER_SGPR: 2
; COMPUTE_PGM_RSRC2:TRAP_HANDLER: 0
; COMPUTE_PGM_RSRC2:TGID_X_EN: 1
; COMPUTE_PGM_RSRC2:TGID_Y_EN: 1
; COMPUTE_PGM_RSRC2:TGID_Z_EN: 1
; COMPUTE_PGM_RSRC2:TIDIG_COMP_CNT: 1
; COMPUTE_PGM_RSRC3_GFX90A:ACCUM_OFFSET: 19
; COMPUTE_PGM_RSRC3_GFX90A:TG_SPLIT: 0
	.section	.text._ZL30rocblas_trmm_outofplace_kernelIdLi32ELi2ELb1ELb0ELb1ELb0EdKddEv17rocblas_diagonal_iiT6_lPT7_lllS4_lllPT8_llli,"axG",@progbits,_ZL30rocblas_trmm_outofplace_kernelIdLi32ELi2ELb1ELb0ELb1ELb0EdKddEv17rocblas_diagonal_iiT6_lPT7_lllS4_lllPT8_llli,comdat
	.globl	_ZL30rocblas_trmm_outofplace_kernelIdLi32ELi2ELb1ELb0ELb1ELb0EdKddEv17rocblas_diagonal_iiT6_lPT7_lllS4_lllPT8_llli ; -- Begin function _ZL30rocblas_trmm_outofplace_kernelIdLi32ELi2ELb1ELb0ELb1ELb0EdKddEv17rocblas_diagonal_iiT6_lPT7_lllS4_lllPT8_llli
	.p2align	8
	.type	_ZL30rocblas_trmm_outofplace_kernelIdLi32ELi2ELb1ELb0ELb1ELb0EdKddEv17rocblas_diagonal_iiT6_lPT7_lllS4_lllPT8_llli,@function
_ZL30rocblas_trmm_outofplace_kernelIdLi32ELi2ELb1ELb0ELb1ELb0EdKddEv17rocblas_diagonal_iiT6_lPT7_lllS4_lllPT8_llli: ; @_ZL30rocblas_trmm_outofplace_kernelIdLi32ELi2ELb1ELb0ELb1ELb0EdKddEv17rocblas_diagonal_iiT6_lPT7_lllS4_lllPT8_llli
; %bb.0:
	s_load_dwordx2 s[34:35], s[0:1], 0x10
	s_waitcnt lgkmcnt(0)
	v_cmp_eq_f64_e64 s[6:7], s[34:35], 0
	s_and_b64 vcc, exec, s[6:7]
	s_cbranch_vccnz .LBB41_52
; %bb.1:
	s_load_dwordx4 s[28:31], s[0:1], 0x0
	s_waitcnt lgkmcnt(0)
	s_add_i32 s5, s30, -1
	s_ashr_i32 s6, s5, 31
	s_lshr_b32 s6, s6, 27
	s_add_i32 s5, s5, s6
	s_ashr_i32 s31, s5, 5
	s_cmp_gt_i32 s3, s31
	s_cbranch_scc1 .LBB41_52
; %bb.2:
	s_load_dwordx16 s[36:51], s[0:1], 0x20
	s_load_dwordx8 s[20:27], s[0:1], 0x60
	v_bfe_u32 v52, v0, 10, 10
	v_and_b32_e32 v4, 0x3ff, v0
	s_load_dword s54, s[0:1], 0x8c
	s_waitcnt lgkmcnt(0)
	s_mul_i32 s5, s43, s4
	s_mul_hi_u32 s7, s42, s4
	s_mul_i32 s6, s42, s4
	s_add_i32 s7, s7, s5
	s_lshl_b64 s[8:9], s[6:7], 3
	s_add_u32 s5, s36, s8
	s_addc_u32 s7, s37, s9
	s_lshl_b64 s[10:11], s[38:39], 3
	s_add_u32 s6, s5, s10
	s_mul_i32 s5, s27, s4
	s_mul_hi_u32 s12, s26, s4
	s_addc_u32 s7, s7, s11
	s_add_i32 s13, s12, s5
	s_mul_i32 s12, s26, s4
	s_lshl_b64 s[12:13], s[12:13], 3
	s_add_u32 s5, s20, s12
	s_addc_u32 s14, s21, s13
	s_lshl_b64 s[12:13], s[22:23], 3
	s_add_u32 s26, s5, s12
	s_addc_u32 s27, s14, s13
	s_lshl_b32 s2, s2, 5
	v_add_u32_e32 v8, s2, v52
	v_add_u32_e32 v10, s2, v4
	s_sub_i32 s2, s29, s2
	v_mad_u64_u32 v[0:1], s[12:13], s40, v10, 0
	s_cmp_gt_i32 s2, 0
	s_cselect_b64 s[12:13], -1, 0
	s_cmpk_eq_i32 s28, 0x84
	s_cselect_b64 s[38:39], -1, 0
	s_ashr_i32 s43, s29, 31
	s_ashr_i32 s33, s30, 31
	s_add_u32 s52, s29, -16
	s_mul_i32 s5, s51, s4
	s_mul_hi_u32 s14, s50, s4
	v_ashrrev_i32_e32 v11, 31, v10
	s_addc_u32 s53, s43, -1
	s_add_i32 s5, s14, s5
	s_mul_i32 s4, s50, s4
	v_mul_lo_u32 v2, s40, v11
	v_mul_lo_u32 v3, s41, v10
	s_lshl_b64 s[4:5], s[4:5], 3
	s_lshl_b64 s[14:15], s[46:47], 3
	v_ashrrev_i32_e32 v9, 31, v8
	v_add3_u32 v1, v1, v2, v3
	s_add_u32 s4, s4, s14
	v_lshl_add_u64 v[0:1], v[0:1], 3, s[6:7]
	v_lshlrev_b64 v[2:3], 3, v[8:9]
	s_addc_u32 s5, s5, s15
	v_lshl_add_u64 v[12:13], v[0:1], 0, v[2:3]
	v_lshlrev_b32_e32 v0, 8, v52
	v_lshlrev_b32_e32 v53, 3, v4
	s_add_u32 s4, s44, s4
	v_add_u32_e32 v54, v53, v0
	v_add_u32_e32 v55, 0x2000, v0
	;; [unrolled: 1-line block ×3, first 2 shown]
	v_lshlrev_b64 v[0:1], 3, v[10:11]
	s_addc_u32 s5, s45, s5
	s_mov_b32 s42, s29
	v_cmp_le_i32_e64 s[0:1], s29, v10
	v_cmp_gt_i32_e64 s[22:23], s29, v10
	v_cmp_gt_i32_e64 s[6:7], s29, v16
	v_lshl_add_u64 v[24:25], s[4:5], 0, v[0:1]
	s_mov_b64 s[4:5], 0x80
	s_lshl_b64 s[28:29], s[48:49], 3
	s_lshl_b32 s44, s54, 5
	v_lshl_add_u64 v[26:27], v[24:25], 0, s[4:5]
	v_lshl_add_u64 v[0:1], v[0:1], 0, s[4:5]
	s_add_u32 s4, s10, s8
	s_addc_u32 s5, s11, s9
	v_mov_b64_e32 v[4:5], s[4:5]
	v_mul_lo_u32 v6, s40, v1
	v_mul_lo_u32 v7, s41, v0
	v_mad_u64_u32 v[0:1], s[4:5], s40, v0, v[4:5]
	v_add3_u32 v1, v7, v1, v6
	v_sub_co_u32_e32 v18, vcc, v10, v8
	v_lshl_add_u64 v[0:1], v[0:1], 0, v[2:3]
	v_lshl_add_u64 v[14:15], v[10:11], 0, 16
	v_subb_co_u32_e32 v19, vcc, v11, v9, vcc
	v_lshl_add_u64 v[30:31], s[36:37], 0, v[0:1]
	v_cndmask_b32_e64 v0, 0, 1, s[12:13]
	v_mov_b32_e32 v32, 0
	v_add_u32_e32 v56, v55, v53
	v_cmp_le_i64_e64 s[20:21], s[42:43], v[14:15]
	v_ashrrev_i32_e32 v17, 31, v16
	v_lshl_add_u64 v[20:21], v[18:19], 0, 16
	v_lshl_add_u64 v[22:23], v[18:19], 0, -16
	v_lshl_add_u32 v28, s3, 5, v52
	v_cmp_ne_u32_e64 s[8:9], 1, v0
	v_mov_b32_e32 v35, 0x3ff00000
	v_mov_b32_e32 v36, 0
	;; [unrolled: 1-line block ×4, first 2 shown]
	v_add_u32_e32 v57, 0x800, v53
	v_add_u32_e32 v58, 0x1000, v53
	;; [unrolled: 1-line block ×3, first 2 shown]
	s_branch .LBB41_4
.LBB41_3:                               ;   in Loop: Header=BB41_4 Depth=1
	s_or_b64 exec, exec, s[4:5]
	s_add_i32 s3, s54, s3
	s_cmp_le_i32 s3, s31
	v_add_u32_e32 v28, s44, v28
	s_cbranch_scc0 .LBB41_52
.LBB41_4:                               ; =>This Loop Header: Depth=1
                                        ;     Child Loop BB41_7 Depth 2
	v_lshl_add_u32 v38, s3, 5, v52
	s_and_b64 vcc, exec, s[8:9]
	v_ashrrev_i32_e32 v39, 31, v38
	s_cbranch_vccnz .LBB41_43
; %bb.5:                                ;   in Loop: Header=BB41_4 Depth=1
	v_ashrrev_i32_e32 v29, 31, v28
	v_mad_u64_u32 v[48:49], s[4:5], s28, v28, v[26:27]
	v_mul_lo_u32 v0, s29, v28
	v_mul_lo_u32 v1, s28, v29
	v_add3_u32 v49, v0, v49, v1
	v_mov_b64_e32 v[0:1], 0x80
	v_lshl_add_u64 v[0:1], v[28:29], 3, v[0:1]
	v_mul_lo_u32 v1, s48, v1
	v_mul_lo_u32 v2, s49, v0
	v_mad_u64_u32 v[50:51], s[4:5], s48, v0, v[24:25]
	v_add3_u32 v51, v2, v51, v1
	v_mov_b32_e32 v1, s33
	v_sub_co_u32_e32 v0, vcc, s30, v38
	s_mov_b64 s[36:37], 0
	s_nop 0
	v_subb_co_u32_e32 v1, vcc, v1, v39, vcc
	v_cmp_lt_i64_e32 vcc, 0, v[0:1]
	v_cmp_lt_i64_e64 s[10:11], 16, v[0:1]
	v_mov_b64_e32 v[40:41], 0
	s_mov_b64 s[40:41], 0
	v_mov_b64_e32 v[42:43], 0
	v_mov_b64_e32 v[44:45], 0
	;; [unrolled: 1-line block ×3, first 2 shown]
	s_branch .LBB41_7
.LBB41_6:                               ;   in Loop: Header=BB41_7 Depth=2
	s_or_b64 exec, exec, s[4:5]
	s_waitcnt lgkmcnt(0)
	s_barrier
	ds_read_b128 v[60:63], v55
	ds_read_b128 v[64:67], v55 offset:16
	ds_read_b128 v[4:7], v55 offset:32
	ds_read_b128 v[0:3], v55 offset:48
	ds_read2_b64 v[68:71], v53 offset1:16
	ds_read_b128 v[72:75], v55 offset:4096
	s_add_u32 s40, s40, 32
	s_addc_u32 s41, s41, 0
	s_add_u32 s36, s36, 0x100
	s_waitcnt lgkmcnt(1)
	v_fmac_f64_e32 v[46:47], v[68:69], v[60:61]
	v_fmac_f64_e32 v[44:45], v[70:71], v[60:61]
	s_waitcnt lgkmcnt(0)
	v_fmac_f64_e32 v[42:43], v[68:69], v[72:73]
	v_fmac_f64_e32 v[40:41], v[70:71], v[72:73]
	ds_read2_b64 v[68:71], v53 offset0:32 offset1:48
	s_addc_u32 s37, s37, 0
	s_cmp_ge_i32 s40, s2
	s_waitcnt lgkmcnt(0)
	v_fmac_f64_e32 v[46:47], v[68:69], v[62:63]
	v_fmac_f64_e32 v[44:45], v[70:71], v[62:63]
	v_fmac_f64_e32 v[42:43], v[68:69], v[74:75]
	v_fmac_f64_e32 v[40:41], v[70:71], v[74:75]
	ds_read2_b64 v[60:63], v53 offset0:64 offset1:80
	ds_read_b128 v[68:71], v55 offset:4112
	s_waitcnt lgkmcnt(1)
	v_fmac_f64_e32 v[46:47], v[60:61], v[64:65]
	v_fmac_f64_e32 v[44:45], v[62:63], v[64:65]
	s_waitcnt lgkmcnt(0)
	v_fmac_f64_e32 v[42:43], v[60:61], v[68:69]
	v_fmac_f64_e32 v[40:41], v[62:63], v[68:69]
	ds_read2_b64 v[60:63], v53 offset0:96 offset1:112
	s_waitcnt lgkmcnt(0)
	v_fmac_f64_e32 v[46:47], v[60:61], v[66:67]
	v_fmac_f64_e32 v[44:45], v[62:63], v[66:67]
	v_fmac_f64_e32 v[42:43], v[60:61], v[70:71]
	v_fmac_f64_e32 v[40:41], v[62:63], v[70:71]
	ds_read2_b64 v[60:63], v53 offset0:128 offset1:144
	ds_read_b128 v[64:67], v55 offset:4128
	s_waitcnt lgkmcnt(1)
	v_fmac_f64_e32 v[46:47], v[60:61], v[4:5]
	v_fmac_f64_e32 v[44:45], v[62:63], v[4:5]
	s_waitcnt lgkmcnt(0)
	v_fmac_f64_e32 v[42:43], v[60:61], v[64:65]
	v_fmac_f64_e32 v[40:41], v[62:63], v[64:65]
	ds_read2_b64 v[60:63], v53 offset0:160 offset1:176
	;; [unrolled: 14-line block ×3, first 2 shown]
	s_waitcnt lgkmcnt(0)
	v_fmac_f64_e32 v[46:47], v[4:5], v[2:3]
	v_fmac_f64_e32 v[44:45], v[6:7], v[2:3]
	v_fmac_f64_e32 v[42:43], v[4:5], v[62:63]
	v_fmac_f64_e32 v[40:41], v[6:7], v[62:63]
	ds_read_b128 v[0:3], v55 offset:64
	ds_read2_b64 v[4:7], v57 offset1:16
	ds_read_b128 v[60:63], v55 offset:4160
	s_waitcnt lgkmcnt(1)
	v_fmac_f64_e32 v[46:47], v[4:5], v[0:1]
	v_fmac_f64_e32 v[44:45], v[6:7], v[0:1]
	s_waitcnt lgkmcnt(0)
	v_fmac_f64_e32 v[42:43], v[4:5], v[60:61]
	v_fmac_f64_e32 v[40:41], v[6:7], v[60:61]
	ds_read2_b64 v[4:7], v57 offset0:32 offset1:48
	s_waitcnt lgkmcnt(0)
	v_fmac_f64_e32 v[46:47], v[4:5], v[2:3]
	v_fmac_f64_e32 v[44:45], v[6:7], v[2:3]
	v_fmac_f64_e32 v[42:43], v[4:5], v[62:63]
	v_fmac_f64_e32 v[40:41], v[6:7], v[62:63]
	ds_read_b128 v[0:3], v55 offset:80
	ds_read2_b64 v[4:7], v57 offset0:64 offset1:80
	ds_read_b128 v[60:63], v55 offset:4176
	s_waitcnt lgkmcnt(1)
	v_fmac_f64_e32 v[46:47], v[4:5], v[0:1]
	v_fmac_f64_e32 v[44:45], v[6:7], v[0:1]
	s_waitcnt lgkmcnt(0)
	v_fmac_f64_e32 v[42:43], v[4:5], v[60:61]
	v_fmac_f64_e32 v[40:41], v[6:7], v[60:61]
	ds_read2_b64 v[4:7], v57 offset0:96 offset1:112
	s_waitcnt lgkmcnt(0)
	v_fmac_f64_e32 v[46:47], v[4:5], v[2:3]
	v_fmac_f64_e32 v[44:45], v[6:7], v[2:3]
	v_fmac_f64_e32 v[42:43], v[4:5], v[62:63]
	v_fmac_f64_e32 v[40:41], v[6:7], v[62:63]
	ds_read_b128 v[0:3], v55 offset:96
	ds_read2_b64 v[4:7], v57 offset0:128 offset1:144
	ds_read_b128 v[60:63], v55 offset:4192
	s_waitcnt lgkmcnt(1)
	v_fmac_f64_e32 v[46:47], v[4:5], v[0:1]
	v_fmac_f64_e32 v[44:45], v[6:7], v[0:1]
	s_waitcnt lgkmcnt(0)
	v_fmac_f64_e32 v[42:43], v[4:5], v[60:61]
	v_fmac_f64_e32 v[40:41], v[6:7], v[60:61]
	ds_read2_b64 v[4:7], v57 offset0:160 offset1:176
	s_waitcnt lgkmcnt(0)
	v_fmac_f64_e32 v[46:47], v[4:5], v[2:3]
	v_fmac_f64_e32 v[44:45], v[6:7], v[2:3]
	v_fmac_f64_e32 v[42:43], v[4:5], v[62:63]
	v_fmac_f64_e32 v[40:41], v[6:7], v[62:63]
	ds_read_b128 v[0:3], v55 offset:112
	ds_read2_b64 v[4:7], v57 offset0:192 offset1:208
	ds_read_b128 v[60:63], v55 offset:4208
	s_waitcnt lgkmcnt(1)
	v_fmac_f64_e32 v[46:47], v[4:5], v[0:1]
	v_fmac_f64_e32 v[44:45], v[6:7], v[0:1]
	s_waitcnt lgkmcnt(0)
	v_fmac_f64_e32 v[42:43], v[4:5], v[60:61]
	v_fmac_f64_e32 v[40:41], v[6:7], v[60:61]
	ds_read2_b64 v[4:7], v57 offset0:224 offset1:240
	s_waitcnt lgkmcnt(0)
	v_fmac_f64_e32 v[46:47], v[4:5], v[2:3]
	v_fmac_f64_e32 v[44:45], v[6:7], v[2:3]
	v_fmac_f64_e32 v[42:43], v[4:5], v[62:63]
	v_fmac_f64_e32 v[40:41], v[6:7], v[62:63]
	ds_read_b128 v[0:3], v55 offset:128
	ds_read2_b64 v[4:7], v58 offset1:16
	ds_read_b128 v[60:63], v55 offset:4224
	s_waitcnt lgkmcnt(1)
	v_fmac_f64_e32 v[46:47], v[4:5], v[0:1]
	v_fmac_f64_e32 v[44:45], v[6:7], v[0:1]
	s_waitcnt lgkmcnt(0)
	v_fmac_f64_e32 v[42:43], v[4:5], v[60:61]
	v_fmac_f64_e32 v[40:41], v[6:7], v[60:61]
	ds_read2_b64 v[4:7], v58 offset0:32 offset1:48
	s_waitcnt lgkmcnt(0)
	v_fmac_f64_e32 v[46:47], v[4:5], v[2:3]
	v_fmac_f64_e32 v[44:45], v[6:7], v[2:3]
	v_fmac_f64_e32 v[42:43], v[4:5], v[62:63]
	v_fmac_f64_e32 v[40:41], v[6:7], v[62:63]
	ds_read_b128 v[0:3], v55 offset:144
	ds_read2_b64 v[4:7], v58 offset0:64 offset1:80
	ds_read_b128 v[60:63], v55 offset:4240
	s_waitcnt lgkmcnt(1)
	v_fmac_f64_e32 v[46:47], v[4:5], v[0:1]
	v_fmac_f64_e32 v[44:45], v[6:7], v[0:1]
	s_waitcnt lgkmcnt(0)
	v_fmac_f64_e32 v[42:43], v[4:5], v[60:61]
	v_fmac_f64_e32 v[40:41], v[6:7], v[60:61]
	ds_read2_b64 v[4:7], v58 offset0:96 offset1:112
	s_waitcnt lgkmcnt(0)
	v_fmac_f64_e32 v[46:47], v[4:5], v[2:3]
	v_fmac_f64_e32 v[44:45], v[6:7], v[2:3]
	v_fmac_f64_e32 v[42:43], v[4:5], v[62:63]
	v_fmac_f64_e32 v[40:41], v[6:7], v[62:63]
	ds_read_b128 v[0:3], v55 offset:160
	ds_read2_b64 v[4:7], v58 offset0:128 offset1:144
	ds_read_b128 v[60:63], v55 offset:4256
	s_waitcnt lgkmcnt(1)
	v_fmac_f64_e32 v[46:47], v[4:5], v[0:1]
	v_fmac_f64_e32 v[44:45], v[6:7], v[0:1]
	s_waitcnt lgkmcnt(0)
	v_fmac_f64_e32 v[42:43], v[4:5], v[60:61]
	v_fmac_f64_e32 v[40:41], v[6:7], v[60:61]
	ds_read2_b64 v[4:7], v58 offset0:160 offset1:176
	s_waitcnt lgkmcnt(0)
	v_fmac_f64_e32 v[46:47], v[4:5], v[2:3]
	v_fmac_f64_e32 v[44:45], v[6:7], v[2:3]
	v_fmac_f64_e32 v[42:43], v[4:5], v[62:63]
	v_fmac_f64_e32 v[40:41], v[6:7], v[62:63]
	ds_read_b128 v[0:3], v55 offset:176
	ds_read2_b64 v[4:7], v58 offset0:192 offset1:208
	ds_read_b128 v[60:63], v55 offset:4272
	s_waitcnt lgkmcnt(1)
	v_fmac_f64_e32 v[46:47], v[4:5], v[0:1]
	v_fmac_f64_e32 v[44:45], v[6:7], v[0:1]
	s_waitcnt lgkmcnt(0)
	v_fmac_f64_e32 v[42:43], v[4:5], v[60:61]
	v_fmac_f64_e32 v[40:41], v[6:7], v[60:61]
	ds_read2_b64 v[4:7], v58 offset0:224 offset1:240
	;; [unrolled: 60-line block ×3, first 2 shown]
	s_waitcnt lgkmcnt(0)
	s_barrier
	v_fmac_f64_e32 v[46:47], v[4:5], v[2:3]
	v_fmac_f64_e32 v[44:45], v[6:7], v[2:3]
	;; [unrolled: 1-line block ×4, first 2 shown]
	s_cbranch_scc1 .LBB41_44
.LBB41_7:                               ;   Parent Loop BB41_4 Depth=1
                                        ; =>  This Inner Loop Header: Depth=2
	v_lshl_add_u64 v[4:5], v[8:9], 0, s[40:41]
	v_cmp_le_i64_e64 s[16:17], s[42:43], v[4:5]
	v_cmp_eq_u64_e64 s[4:5], s[40:41], v[18:19]
	v_cmp_lt_i64_e64 s[14:15], v[4:5], v[10:11]
	s_and_b64 s[12:13], s[38:39], s[4:5]
	s_or_b64 s[4:5], s[16:17], s[14:15]
	s_or_b64 s[4:5], s[4:5], s[12:13]
	v_lshl_add_u64 v[0:1], v[12:13], 0, s[36:37]
	s_nor_b64 s[4:5], s[0:1], s[4:5]
                                        ; implicit-def: $vgpr2_vgpr3
	s_and_saveexec_b64 s[18:19], s[4:5]
	s_xor_b64 s[4:5], exec, s[18:19]
	s_cbranch_execz .LBB41_9
; %bb.8:                                ;   in Loop: Header=BB41_7 Depth=2
	global_load_dwordx2 v[2:3], v[0:1], off
.LBB41_9:                               ;   in Loop: Header=BB41_7 Depth=2
	s_andn2_saveexec_b64 s[4:5], s[4:5]
	s_cbranch_execz .LBB41_11
; %bb.10:                               ;   in Loop: Header=BB41_7 Depth=2
	v_cndmask_b32_e64 v33, 0, v35, s[12:13]
	s_waitcnt vmcnt(0)
	v_mov_b64_e32 v[2:3], v[32:33]
.LBB41_11:                              ;   in Loop: Header=BB41_7 Depth=2
	s_or_b64 exec, exec, s[4:5]
	v_cmp_eq_u64_e64 s[4:5], s[40:41], v[20:21]
	s_and_b64 s[18:19], s[38:39], s[4:5]
	v_cmp_gt_i64_e64 s[4:5], v[14:15], v[4:5]
	s_or_b64 s[4:5], s[16:17], s[4:5]
	s_or_b64 s[4:5], s[4:5], s[18:19]
	s_waitcnt vmcnt(0)
	ds_write_b64 v54, v[2:3]
	s_nor_b64 s[4:5], s[20:21], s[4:5]
	v_lshl_add_u64 v[2:3], v[30:31], 0, s[36:37]
	s_and_saveexec_b64 s[16:17], s[4:5]
	s_xor_b64 s[4:5], exec, s[16:17]
	s_cbranch_execz .LBB41_13
; %bb.12:                               ;   in Loop: Header=BB41_7 Depth=2
	global_load_dwordx2 v[6:7], v[2:3], off
	s_waitcnt vmcnt(0)
	ds_write_b64 v54, v[6:7] offset:128
.LBB41_13:                              ;   in Loop: Header=BB41_7 Depth=2
	s_andn2_saveexec_b64 s[4:5], s[4:5]
	s_cbranch_execz .LBB41_19
; %bb.14:                               ;   in Loop: Header=BB41_7 Depth=2
	s_xor_b64 s[16:17], s[18:19], -1
	s_and_saveexec_b64 s[18:19], s[16:17]
	s_xor_b64 s[16:17], exec, s[18:19]
; %bb.15:                               ;   in Loop: Header=BB41_7 Depth=2
	ds_write_b64 v54, v[36:37] offset:128
; %bb.16:                               ;   in Loop: Header=BB41_7 Depth=2
	s_andn2_saveexec_b64 s[16:17], s[16:17]
; %bb.17:                               ;   in Loop: Header=BB41_7 Depth=2
	ds_write_b64 v54, v[34:35] offset:128
; %bb.18:                               ;   in Loop: Header=BB41_7 Depth=2
	s_or_b64 exec, exec, s[16:17]
.LBB41_19:                              ;   in Loop: Header=BB41_7 Depth=2
	s_or_b64 exec, exec, s[4:5]
	v_lshl_add_u64 v[4:5], v[4:5], 0, 16
	v_cmp_eq_u64_e64 s[4:5], s[40:41], v[22:23]
	v_cmp_le_i64_e64 s[16:17], s[42:43], v[4:5]
	s_and_b64 s[18:19], s[38:39], s[4:5]
	v_cmp_lt_i64_e64 s[4:5], v[4:5], v[10:11]
	s_or_b64 s[4:5], s[16:17], s[4:5]
	s_or_b64 s[4:5], s[4:5], s[18:19]
	s_nor_b64 s[4:5], s[0:1], s[4:5]
                                        ; implicit-def: $vgpr4_vgpr5
	s_and_saveexec_b64 s[46:47], s[4:5]
	s_xor_b64 s[4:5], exec, s[46:47]
	s_cbranch_execz .LBB41_21
; %bb.20:                               ;   in Loop: Header=BB41_7 Depth=2
	global_load_dwordx2 v[4:5], v[0:1], off offset:128
.LBB41_21:                              ;   in Loop: Header=BB41_7 Depth=2
	s_andn2_saveexec_b64 s[4:5], s[4:5]
	s_cbranch_execz .LBB41_23
; %bb.22:                               ;   in Loop: Header=BB41_7 Depth=2
	v_cndmask_b32_e64 v33, 0, v35, s[18:19]
	s_waitcnt vmcnt(0)
	v_mov_b64_e32 v[4:5], v[32:33]
.LBB41_23:                              ;   in Loop: Header=BB41_7 Depth=2
	s_or_b64 exec, exec, s[4:5]
	s_or_b64 s[4:5], s[16:17], s[14:15]
	s_or_b64 s[4:5], s[4:5], s[12:13]
	s_nor_b64 s[4:5], s[20:21], s[4:5]
	s_waitcnt vmcnt(0)
	ds_write_b64 v54, v[4:5] offset:4096
	s_and_saveexec_b64 s[14:15], s[4:5]
	s_xor_b64 s[4:5], exec, s[14:15]
	s_cbranch_execz .LBB41_25
; %bb.24:                               ;   in Loop: Header=BB41_7 Depth=2
	global_load_dwordx2 v[0:1], v[2:3], off offset:128
	s_waitcnt vmcnt(0)
	ds_write_b64 v54, v[0:1] offset:4224
.LBB41_25:                              ;   in Loop: Header=BB41_7 Depth=2
	s_andn2_saveexec_b64 s[4:5], s[4:5]
	s_cbranch_execz .LBB41_31
; %bb.26:                               ;   in Loop: Header=BB41_7 Depth=2
	s_xor_b64 s[12:13], s[12:13], -1
	s_and_saveexec_b64 s[14:15], s[12:13]
	s_xor_b64 s[12:13], exec, s[14:15]
; %bb.27:                               ;   in Loop: Header=BB41_7 Depth=2
	ds_write_b64 v54, v[36:37] offset:4224
; %bb.28:                               ;   in Loop: Header=BB41_7 Depth=2
	s_andn2_saveexec_b64 s[12:13], s[12:13]
; %bb.29:                               ;   in Loop: Header=BB41_7 Depth=2
	ds_write_b64 v54, v[34:35] offset:4224
; %bb.30:                               ;   in Loop: Header=BB41_7 Depth=2
	s_or_b64 exec, exec, s[12:13]
.LBB41_31:                              ;   in Loop: Header=BB41_7 Depth=2
	s_or_b64 exec, exec, s[4:5]
	v_lshl_add_u64 v[2:3], v[10:11], 0, s[40:41]
	v_cmp_gt_i64_e64 s[12:13], s[42:43], v[2:3]
	v_lshl_add_u64 v[0:1], v[48:49], 0, s[36:37]
	s_and_b64 s[14:15], vcc, s[12:13]
	v_mov_b64_e32 v[4:5], 0
	s_and_saveexec_b64 s[4:5], s[14:15]
	s_cbranch_execz .LBB41_33
; %bb.32:                               ;   in Loop: Header=BB41_7 Depth=2
	global_load_dwordx2 v[4:5], v[0:1], off offset:-128
.LBB41_33:                              ;   in Loop: Header=BB41_7 Depth=2
	s_or_b64 exec, exec, s[4:5]
	v_cmp_gt_i64_e64 s[14:15], s[52:53], v[2:3]
	s_and_b64 s[4:5], vcc, s[14:15]
	s_xor_b64 s[4:5], s[4:5], -1
	s_waitcnt vmcnt(0)
	ds_write_b64 v56, v[4:5]
	s_and_saveexec_b64 s[16:17], s[4:5]
	s_xor_b64 s[4:5], exec, s[16:17]
; %bb.34:                               ;   in Loop: Header=BB41_7 Depth=2
	ds_write_b64 v56, v[36:37] offset:128
                                        ; implicit-def: $vgpr0_vgpr1
; %bb.35:                               ;   in Loop: Header=BB41_7 Depth=2
	s_andn2_saveexec_b64 s[4:5], s[4:5]
	s_cbranch_execz .LBB41_37
; %bb.36:                               ;   in Loop: Header=BB41_7 Depth=2
	global_load_dwordx2 v[0:1], v[0:1], off
	s_waitcnt vmcnt(0)
	ds_write_b64 v56, v[0:1] offset:128
.LBB41_37:                              ;   in Loop: Header=BB41_7 Depth=2
	s_or_b64 exec, exec, s[4:5]
	v_lshl_add_u64 v[0:1], v[50:51], 0, s[36:37]
	s_and_b64 s[12:13], s[10:11], s[12:13]
	v_mov_b64_e32 v[2:3], 0
	s_and_saveexec_b64 s[4:5], s[12:13]
	s_cbranch_execz .LBB41_39
; %bb.38:                               ;   in Loop: Header=BB41_7 Depth=2
	global_load_dwordx2 v[2:3], v[0:1], off
.LBB41_39:                              ;   in Loop: Header=BB41_7 Depth=2
	s_or_b64 exec, exec, s[4:5]
	s_and_b64 s[4:5], s[10:11], s[14:15]
	s_xor_b64 s[4:5], s[4:5], -1
	s_waitcnt vmcnt(0)
	ds_write_b64 v56, v[2:3] offset:4096
	s_and_saveexec_b64 s[12:13], s[4:5]
	s_xor_b64 s[4:5], exec, s[12:13]
; %bb.40:                               ;   in Loop: Header=BB41_7 Depth=2
	ds_write_b64 v56, v[36:37] offset:4224
                                        ; implicit-def: $vgpr0_vgpr1
; %bb.41:                               ;   in Loop: Header=BB41_7 Depth=2
	s_andn2_saveexec_b64 s[4:5], s[4:5]
	s_cbranch_execz .LBB41_6
; %bb.42:                               ;   in Loop: Header=BB41_7 Depth=2
	global_load_dwordx2 v[0:1], v[0:1], off offset:128
	s_waitcnt vmcnt(0)
	ds_write_b64 v56, v[0:1] offset:4224
	s_branch .LBB41_6
.LBB41_43:                              ;   in Loop: Header=BB41_4 Depth=1
	v_mov_b64_e32 v[46:47], 0
	v_mov_b64_e32 v[44:45], 0
	;; [unrolled: 1-line block ×4, first 2 shown]
.LBB41_44:                              ;   in Loop: Header=BB41_4 Depth=1
	v_mul_lo_u32 v2, s25, v38
	v_mul_lo_u32 v3, s24, v39
	v_mad_u64_u32 v[0:1], s[4:5], s24, v38, 0
	v_cmp_gt_i32_e32 vcc, s30, v38
	v_add3_u32 v1, v1, v3, v2
	v_lshl_add_u64 v[0:1], v[0:1], 3, s[26:27]
	s_and_b64 s[10:11], s[22:23], vcc
	s_and_saveexec_b64 s[4:5], s[10:11]
	s_cbranch_execz .LBB41_46
; %bb.45:                               ;   in Loop: Header=BB41_4 Depth=1
	v_lshl_add_u64 v[2:3], v[10:11], 3, v[0:1]
	global_load_dwordx2 v[4:5], v[2:3], off
	s_waitcnt vmcnt(0)
	v_fmac_f64_e32 v[4:5], s[34:35], v[46:47]
	global_store_dwordx2 v[2:3], v[4:5], off
.LBB41_46:                              ;   in Loop: Header=BB41_4 Depth=1
	s_or_b64 exec, exec, s[4:5]
	s_and_b64 s[10:11], s[6:7], vcc
	s_and_saveexec_b64 s[4:5], s[10:11]
	s_cbranch_execz .LBB41_48
; %bb.47:                               ;   in Loop: Header=BB41_4 Depth=1
	v_lshl_add_u64 v[0:1], v[16:17], 3, v[0:1]
	global_load_dwordx2 v[2:3], v[0:1], off
	s_waitcnt vmcnt(0)
	v_fmac_f64_e32 v[2:3], s[34:35], v[44:45]
	global_store_dwordx2 v[0:1], v[2:3], off
.LBB41_48:                              ;   in Loop: Header=BB41_4 Depth=1
	s_or_b64 exec, exec, s[4:5]
	v_add_u32_e32 v0, 16, v38
	v_ashrrev_i32_e32 v1, 31, v0
	v_cmp_gt_i32_e32 vcc, s30, v0
	v_mul_lo_u32 v2, s24, v1
	v_mul_lo_u32 v3, s25, v0
	v_mad_u64_u32 v[0:1], s[4:5], s24, v0, 0
	v_add3_u32 v1, v1, v2, v3
	v_lshl_add_u64 v[0:1], v[0:1], 3, s[26:27]
	s_and_b64 s[10:11], s[22:23], vcc
	s_and_saveexec_b64 s[4:5], s[10:11]
	s_cbranch_execz .LBB41_50
; %bb.49:                               ;   in Loop: Header=BB41_4 Depth=1
	v_lshl_add_u64 v[2:3], v[10:11], 3, v[0:1]
	global_load_dwordx2 v[4:5], v[2:3], off
	s_waitcnt vmcnt(0)
	v_fmac_f64_e32 v[4:5], s[34:35], v[42:43]
	global_store_dwordx2 v[2:3], v[4:5], off
.LBB41_50:                              ;   in Loop: Header=BB41_4 Depth=1
	s_or_b64 exec, exec, s[4:5]
	s_and_b64 s[10:11], s[6:7], vcc
	s_and_saveexec_b64 s[4:5], s[10:11]
	s_cbranch_execz .LBB41_3
; %bb.51:                               ;   in Loop: Header=BB41_4 Depth=1
	v_lshl_add_u64 v[0:1], v[16:17], 3, v[0:1]
	global_load_dwordx2 v[2:3], v[0:1], off
	s_waitcnt vmcnt(0)
	v_fmac_f64_e32 v[2:3], s[34:35], v[40:41]
	global_store_dwordx2 v[0:1], v[2:3], off
	s_branch .LBB41_3
.LBB41_52:
	s_endpgm
	.section	.rodata,"a",@progbits
	.p2align	6, 0x0
	.amdhsa_kernel _ZL30rocblas_trmm_outofplace_kernelIdLi32ELi2ELb1ELb0ELb1ELb0EdKddEv17rocblas_diagonal_iiT6_lPT7_lllS4_lllPT8_llli
		.amdhsa_group_segment_fixed_size 16384
		.amdhsa_private_segment_fixed_size 0
		.amdhsa_kernarg_size 392
		.amdhsa_user_sgpr_count 2
		.amdhsa_user_sgpr_dispatch_ptr 0
		.amdhsa_user_sgpr_queue_ptr 0
		.amdhsa_user_sgpr_kernarg_segment_ptr 1
		.amdhsa_user_sgpr_dispatch_id 0
		.amdhsa_user_sgpr_kernarg_preload_length 0
		.amdhsa_user_sgpr_kernarg_preload_offset 0
		.amdhsa_user_sgpr_private_segment_size 0
		.amdhsa_uses_dynamic_stack 0
		.amdhsa_enable_private_segment 0
		.amdhsa_system_sgpr_workgroup_id_x 1
		.amdhsa_system_sgpr_workgroup_id_y 1
		.amdhsa_system_sgpr_workgroup_id_z 1
		.amdhsa_system_sgpr_workgroup_info 0
		.amdhsa_system_vgpr_workitem_id 1
		.amdhsa_next_free_vgpr 76
		.amdhsa_next_free_sgpr 55
		.amdhsa_accum_offset 76
		.amdhsa_reserve_vcc 1
		.amdhsa_float_round_mode_32 0
		.amdhsa_float_round_mode_16_64 0
		.amdhsa_float_denorm_mode_32 3
		.amdhsa_float_denorm_mode_16_64 3
		.amdhsa_dx10_clamp 1
		.amdhsa_ieee_mode 1
		.amdhsa_fp16_overflow 0
		.amdhsa_tg_split 0
		.amdhsa_exception_fp_ieee_invalid_op 0
		.amdhsa_exception_fp_denorm_src 0
		.amdhsa_exception_fp_ieee_div_zero 0
		.amdhsa_exception_fp_ieee_overflow 0
		.amdhsa_exception_fp_ieee_underflow 0
		.amdhsa_exception_fp_ieee_inexact 0
		.amdhsa_exception_int_div_zero 0
	.end_amdhsa_kernel
	.section	.text._ZL30rocblas_trmm_outofplace_kernelIdLi32ELi2ELb1ELb0ELb1ELb0EdKddEv17rocblas_diagonal_iiT6_lPT7_lllS4_lllPT8_llli,"axG",@progbits,_ZL30rocblas_trmm_outofplace_kernelIdLi32ELi2ELb1ELb0ELb1ELb0EdKddEv17rocblas_diagonal_iiT6_lPT7_lllS4_lllPT8_llli,comdat
.Lfunc_end41:
	.size	_ZL30rocblas_trmm_outofplace_kernelIdLi32ELi2ELb1ELb0ELb1ELb0EdKddEv17rocblas_diagonal_iiT6_lPT7_lllS4_lllPT8_llli, .Lfunc_end41-_ZL30rocblas_trmm_outofplace_kernelIdLi32ELi2ELb1ELb0ELb1ELb0EdKddEv17rocblas_diagonal_iiT6_lPT7_lllS4_lllPT8_llli
                                        ; -- End function
	.set _ZL30rocblas_trmm_outofplace_kernelIdLi32ELi2ELb1ELb0ELb1ELb0EdKddEv17rocblas_diagonal_iiT6_lPT7_lllS4_lllPT8_llli.num_vgpr, 76
	.set _ZL30rocblas_trmm_outofplace_kernelIdLi32ELi2ELb1ELb0ELb1ELb0EdKddEv17rocblas_diagonal_iiT6_lPT7_lllS4_lllPT8_llli.num_agpr, 0
	.set _ZL30rocblas_trmm_outofplace_kernelIdLi32ELi2ELb1ELb0ELb1ELb0EdKddEv17rocblas_diagonal_iiT6_lPT7_lllS4_lllPT8_llli.numbered_sgpr, 55
	.set _ZL30rocblas_trmm_outofplace_kernelIdLi32ELi2ELb1ELb0ELb1ELb0EdKddEv17rocblas_diagonal_iiT6_lPT7_lllS4_lllPT8_llli.num_named_barrier, 0
	.set _ZL30rocblas_trmm_outofplace_kernelIdLi32ELi2ELb1ELb0ELb1ELb0EdKddEv17rocblas_diagonal_iiT6_lPT7_lllS4_lllPT8_llli.private_seg_size, 0
	.set _ZL30rocblas_trmm_outofplace_kernelIdLi32ELi2ELb1ELb0ELb1ELb0EdKddEv17rocblas_diagonal_iiT6_lPT7_lllS4_lllPT8_llli.uses_vcc, 1
	.set _ZL30rocblas_trmm_outofplace_kernelIdLi32ELi2ELb1ELb0ELb1ELb0EdKddEv17rocblas_diagonal_iiT6_lPT7_lllS4_lllPT8_llli.uses_flat_scratch, 0
	.set _ZL30rocblas_trmm_outofplace_kernelIdLi32ELi2ELb1ELb0ELb1ELb0EdKddEv17rocblas_diagonal_iiT6_lPT7_lllS4_lllPT8_llli.has_dyn_sized_stack, 0
	.set _ZL30rocblas_trmm_outofplace_kernelIdLi32ELi2ELb1ELb0ELb1ELb0EdKddEv17rocblas_diagonal_iiT6_lPT7_lllS4_lllPT8_llli.has_recursion, 0
	.set _ZL30rocblas_trmm_outofplace_kernelIdLi32ELi2ELb1ELb0ELb1ELb0EdKddEv17rocblas_diagonal_iiT6_lPT7_lllS4_lllPT8_llli.has_indirect_call, 0
	.section	.AMDGPU.csdata,"",@progbits
; Kernel info:
; codeLenInByte = 3044
; TotalNumSgprs: 61
; NumVgprs: 76
; NumAgprs: 0
; TotalNumVgprs: 76
; ScratchSize: 0
; MemoryBound: 0
; FloatMode: 240
; IeeeMode: 1
; LDSByteSize: 16384 bytes/workgroup (compile time only)
; SGPRBlocks: 7
; VGPRBlocks: 9
; NumSGPRsForWavesPerEU: 61
; NumVGPRsForWavesPerEU: 76
; AccumOffset: 76
; Occupancy: 6
; WaveLimiterHint : 0
; COMPUTE_PGM_RSRC2:SCRATCH_EN: 0
; COMPUTE_PGM_RSRC2:USER_SGPR: 2
; COMPUTE_PGM_RSRC2:TRAP_HANDLER: 0
; COMPUTE_PGM_RSRC2:TGID_X_EN: 1
; COMPUTE_PGM_RSRC2:TGID_Y_EN: 1
; COMPUTE_PGM_RSRC2:TGID_Z_EN: 1
; COMPUTE_PGM_RSRC2:TIDIG_COMP_CNT: 1
; COMPUTE_PGM_RSRC3_GFX90A:ACCUM_OFFSET: 18
; COMPUTE_PGM_RSRC3_GFX90A:TG_SPLIT: 0
	.section	.text._ZL30rocblas_trmm_outofplace_kernelIdLi32ELi2ELb1ELb1ELb1ELb0EPKdS0_dEv17rocblas_diagonal_iiT6_lPT7_lllS5_lllPT8_llli,"axG",@progbits,_ZL30rocblas_trmm_outofplace_kernelIdLi32ELi2ELb1ELb1ELb1ELb0EPKdS0_dEv17rocblas_diagonal_iiT6_lPT7_lllS5_lllPT8_llli,comdat
	.globl	_ZL30rocblas_trmm_outofplace_kernelIdLi32ELi2ELb1ELb1ELb1ELb0EPKdS0_dEv17rocblas_diagonal_iiT6_lPT7_lllS5_lllPT8_llli ; -- Begin function _ZL30rocblas_trmm_outofplace_kernelIdLi32ELi2ELb1ELb1ELb1ELb0EPKdS0_dEv17rocblas_diagonal_iiT6_lPT7_lllS5_lllPT8_llli
	.p2align	8
	.type	_ZL30rocblas_trmm_outofplace_kernelIdLi32ELi2ELb1ELb1ELb1ELb0EPKdS0_dEv17rocblas_diagonal_iiT6_lPT7_lllS5_lllPT8_llli,@function
_ZL30rocblas_trmm_outofplace_kernelIdLi32ELi2ELb1ELb1ELb1ELb0EPKdS0_dEv17rocblas_diagonal_iiT6_lPT7_lllS5_lllPT8_llli: ; @_ZL30rocblas_trmm_outofplace_kernelIdLi32ELi2ELb1ELb1ELb1ELb0EPKdS0_dEv17rocblas_diagonal_iiT6_lPT7_lllS5_lllPT8_llli
; %bb.0:
	s_load_dwordx16 s[36:51], s[0:1], 0x10
	s_waitcnt lgkmcnt(0)
	s_mul_i32 s5, s39, s4
	s_mul_hi_u32 s6, s38, s4
	s_add_i32 s7, s6, s5
	s_mul_i32 s6, s38, s4
	s_lshl_b64 s[6:7], s[6:7], 3
	s_add_u32 s6, s36, s6
	s_addc_u32 s7, s37, s7
	s_load_dwordx2 s[34:35], s[6:7], 0x0
	s_waitcnt lgkmcnt(0)
	v_cmp_eq_f64_e64 s[6:7], s[34:35], 0
	s_and_b64 vcc, exec, s[6:7]
	s_cbranch_vccnz .LBB42_51
; %bb.1:
	s_load_dwordx4 s[36:39], s[0:1], 0x0
	s_waitcnt lgkmcnt(0)
	s_add_i32 s5, s38, -1
	s_ashr_i32 s6, s5, 31
	s_lshr_b32 s6, s6, 27
	s_add_i32 s5, s5, s6
	s_ashr_i32 s33, s5, 5
	s_cmp_gt_i32 s3, s33
	s_cbranch_scc1 .LBB42_51
; %bb.2:
	s_load_dwordx8 s[24:31], s[0:1], 0x50
	s_load_dwordx4 s[52:55], s[0:1], 0x70
	s_mul_i32 s5, s47, s4
	s_mul_hi_u32 s6, s46, s4
	s_add_i32 s7, s6, s5
	s_mul_i32 s6, s46, s4
	s_lshl_b64 s[8:9], s[6:7], 3
	s_add_u32 s5, s40, s8
	s_addc_u32 s7, s41, s9
	s_lshl_b64 s[10:11], s[42:43], 3
	s_add_u32 s6, s5, s10
	s_load_dword s39, s[0:1], 0x8c
	s_waitcnt lgkmcnt(0)
	s_mul_i32 s0, s55, s4
	s_mul_hi_u32 s1, s54, s4
	s_addc_u32 s7, s7, s11
	s_add_i32 s1, s1, s0
	s_mul_i32 s0, s54, s4
	s_lshl_b64 s[0:1], s[0:1], 3
	s_add_u32 s5, s28, s0
	s_addc_u32 s12, s29, s1
	s_lshl_b64 s[0:1], s[30:31], 3
	s_add_u32 s28, s5, s0
	s_addc_u32 s29, s12, s1
	s_lshl_b32 s54, s2, 5
	s_cmp_gt_i32 s2, -1
	s_cselect_b64 s[12:13], -1, 0
	s_cmpk_eq_i32 s36, 0x84
	s_cselect_b64 s[30:31], -1, 0
	s_ashr_i32 s43, s37, 31
	s_ashr_i32 s2, s38, 31
	s_add_u32 s46, s37, -16
	s_mul_i32 s5, s27, s4
	s_mul_hi_u32 s14, s26, s4
	s_addc_u32 s47, s43, -1
	s_add_i32 s5, s14, s5
	s_mul_i32 s4, s26, s4
	s_lshl_b64 s[4:5], s[4:5], 3
	s_lshl_b64 s[14:15], s[50:51], 3
	v_and_b32_e32 v8, 0x3ff, v0
	s_add_u32 s4, s4, s14
	v_add_u32_e32 v10, s54, v8
	s_addc_u32 s5, s5, s15
	v_mov_b32_e32 v6, 0
	v_ashrrev_i32_e32 v11, 31, v10
	s_add_u32 s4, s48, s4
	v_bfe_u32 v4, v0, 10, 10
	v_mul_lo_u32 v2, s44, v11
	v_mul_lo_u32 v3, s45, v10
	v_mad_u64_u32 v[0:1], s[0:1], s44, v10, 0
	v_lshlrev_b32_e32 v14, 3, v8
	v_mov_b32_e32 v15, v6
	s_addc_u32 s5, s49, s5
	v_add3_u32 v1, v1, v2, v3
	v_lshl_add_u64 v[26:27], s[4:5], 0, v[14:15]
	s_mov_b64 s[4:5], 0x80
	s_lshl_b64 s[26:27], s[24:25], 3
	s_lshl_b32 s48, s39, 5
	v_lshl_add_u64 v[0:1], v[0:1], 3, s[6:7]
	v_lshlrev_b32_e32 v2, 3, v4
	v_mov_b32_e32 v3, v6
	v_lshl_add_u64 v[28:29], v[26:27], 0, s[4:5]
	s_add_u32 s4, s10, s8
	v_lshl_add_u64 v[12:13], v[0:1], 0, v[2:3]
	v_lshlrev_b32_e32 v0, 8, v4
	v_mov_b64_e32 v[32:33], 0x80
	s_addc_u32 s5, s11, s9
	v_add_u32_e32 v41, v14, v0
	v_add_u32_e32 v56, 0x2000, v0
	v_lshl_add_u64 v[0:1], v[10:11], 3, v[32:33]
	v_mov_b64_e32 v[34:35], s[4:5]
	v_mul_lo_u32 v7, s44, v1
	v_mul_lo_u32 v15, s45, v0
	v_mad_u64_u32 v[0:1], s[4:5], s44, v0, v[34:35]
	v_add3_u32 v1, v15, v1, v7
	v_sub_co_u32_e32 v20, vcc, v10, v4
	v_lshl_add_u64 v[0:1], v[0:1], 0, v[2:3]
	s_mov_b32 s42, s37
	v_lshl_add_u64 v[16:17], v[10:11], 0, 16
	v_add_u32_e32 v18, 16, v10
	v_subbrev_co_u32_e32 v21, vcc, 0, v11, vcc
	v_lshl_add_u64 v[34:35], s[40:41], 0, v[0:1]
	v_cndmask_b32_e64 v0, 0, 1, s[12:13]
	v_mov_b32_e32 v5, v6
	v_mov_b32_e32 v9, v6
	v_add_u32_e32 v57, v56, v14
	v_cmp_le_i32_e64 s[0:1], s37, v10
	v_cmp_le_i64_e64 s[20:21], s[42:43], v[16:17]
	v_cmp_gt_i32_e64 s[22:23], s37, v10
	v_cmp_gt_i32_e64 s[6:7], s37, v18
	v_ashrrev_i32_e32 v19, 31, v18
	v_lshl_add_u64 v[22:23], v[20:21], 0, 16
	v_lshl_add_u64 v[24:25], v[20:21], 0, -16
	v_lshl_add_u32 v30, s3, 5, v4
	v_cmp_ne_u32_e64 s[8:9], 1, v0
	v_mov_b32_e32 v37, 0x3ff00000
	v_mov_b32_e32 v38, 0
	;; [unrolled: 1-line block ×4, first 2 shown]
	v_add_u32_e32 v58, 0x800, v14
	v_add_u32_e32 v59, 0x1000, v14
	;; [unrolled: 1-line block ×3, first 2 shown]
	s_branch .LBB42_4
.LBB42_3:                               ;   in Loop: Header=BB42_4 Depth=1
	s_or_b64 exec, exec, s[4:5]
	s_add_i32 s3, s39, s3
	s_cmp_le_i32 s3, s33
	v_add_u32_e32 v30, s48, v30
	s_cbranch_scc0 .LBB42_51
.LBB42_4:                               ; =>This Loop Header: Depth=1
                                        ;     Child Loop BB42_7 Depth 2
	v_lshl_add_u32 v40, s3, 5, v4
	v_ashrrev_i32_e32 v15, 31, v40
	v_mov_b64_e32 v[48:49], 0
	s_and_b64 vcc, exec, s[8:9]
	v_mov_b64_e32 v[46:47], 0
	v_mov_b64_e32 v[44:45], 0
	;; [unrolled: 1-line block ×3, first 2 shown]
	s_cbranch_vccnz .LBB42_43
; %bb.5:                                ;   in Loop: Header=BB42_4 Depth=1
	v_ashrrev_i32_e32 v31, 31, v30
	v_mad_u64_u32 v[50:51], s[4:5], s26, v30, v[28:29]
	v_mul_lo_u32 v0, s27, v30
	v_mul_lo_u32 v1, s26, v31
	v_add3_u32 v51, v0, v51, v1
	v_lshl_add_u64 v[0:1], v[30:31], 3, v[32:33]
	v_mul_lo_u32 v1, s24, v1
	v_mul_lo_u32 v2, s25, v0
	v_mad_u64_u32 v[52:53], s[4:5], s24, v0, v[26:27]
	v_add3_u32 v53, v2, v53, v1
	v_mov_b32_e32 v1, s2
	v_sub_co_u32_e32 v0, vcc, s38, v40
	s_mov_b64 s[36:37], 0
	s_nop 0
	v_subb_co_u32_e32 v1, vcc, v1, v15, vcc
	v_cmp_lt_i64_e32 vcc, 0, v[0:1]
	v_cmp_lt_i64_e64 s[10:11], 16, v[0:1]
	v_mov_b64_e32 v[42:43], 0
	s_mov_b64 s[40:41], 0
	v_mov_b64_e32 v[44:45], 0
	v_mov_b64_e32 v[46:47], 0
	;; [unrolled: 1-line block ×3, first 2 shown]
	s_branch .LBB42_7
.LBB42_6:                               ;   in Loop: Header=BB42_7 Depth=2
	s_or_b64 exec, exec, s[4:5]
	s_waitcnt lgkmcnt(0)
	s_barrier
	ds_read_b128 v[62:65], v56
	ds_read_b128 v[66:69], v56 offset:16
	ds_read_b128 v[70:73], v56 offset:32
	;; [unrolled: 1-line block ×3, first 2 shown]
	ds_read2_b64 v[74:77], v14 offset1:16
	ds_read_b128 v[78:81], v56 offset:4096
	s_add_u32 s40, s40, 32
	s_addc_u32 s41, s41, 0
	s_sub_i32 s4, s40, 32
	s_waitcnt lgkmcnt(1)
	v_fmac_f64_e32 v[48:49], v[74:75], v[62:63]
	v_fmac_f64_e32 v[46:47], v[76:77], v[62:63]
	s_waitcnt lgkmcnt(0)
	v_fmac_f64_e32 v[44:45], v[74:75], v[78:79]
	v_fmac_f64_e32 v[42:43], v[76:77], v[78:79]
	ds_read2_b64 v[74:77], v14 offset0:32 offset1:48
	s_add_u32 s36, s36, 0x100
	s_addc_u32 s37, s37, 0
	s_cmp_ge_i32 s4, s54
	s_waitcnt lgkmcnt(0)
	v_fmac_f64_e32 v[48:49], v[74:75], v[64:65]
	v_fmac_f64_e32 v[46:47], v[76:77], v[64:65]
	v_fmac_f64_e32 v[44:45], v[74:75], v[80:81]
	v_fmac_f64_e32 v[42:43], v[76:77], v[80:81]
	ds_read2_b64 v[62:65], v14 offset0:64 offset1:80
	ds_read_b128 v[74:77], v56 offset:4112
	s_waitcnt lgkmcnt(1)
	v_fmac_f64_e32 v[48:49], v[62:63], v[66:67]
	v_fmac_f64_e32 v[46:47], v[64:65], v[66:67]
	s_waitcnt lgkmcnt(0)
	v_fmac_f64_e32 v[44:45], v[62:63], v[74:75]
	v_fmac_f64_e32 v[42:43], v[64:65], v[74:75]
	ds_read2_b64 v[62:65], v14 offset0:96 offset1:112
	s_waitcnt lgkmcnt(0)
	v_fmac_f64_e32 v[48:49], v[62:63], v[68:69]
	v_fmac_f64_e32 v[46:47], v[64:65], v[68:69]
	v_fmac_f64_e32 v[44:45], v[62:63], v[76:77]
	v_fmac_f64_e32 v[42:43], v[64:65], v[76:77]
	ds_read2_b64 v[62:65], v14 offset0:128 offset1:144
	ds_read_b128 v[66:69], v56 offset:4128
	s_waitcnt lgkmcnt(1)
	v_fmac_f64_e32 v[48:49], v[62:63], v[70:71]
	v_fmac_f64_e32 v[46:47], v[64:65], v[70:71]
	s_waitcnt lgkmcnt(0)
	v_fmac_f64_e32 v[44:45], v[62:63], v[66:67]
	v_fmac_f64_e32 v[42:43], v[64:65], v[66:67]
	ds_read2_b64 v[62:65], v14 offset0:160 offset1:176
	;; [unrolled: 14-line block ×3, first 2 shown]
	s_waitcnt lgkmcnt(0)
	v_fmac_f64_e32 v[48:49], v[62:63], v[2:3]
	v_fmac_f64_e32 v[46:47], v[64:65], v[2:3]
	v_fmac_f64_e32 v[44:45], v[62:63], v[68:69]
	v_fmac_f64_e32 v[42:43], v[64:65], v[68:69]
	ds_read_b128 v[0:3], v56 offset:64
	ds_read2_b64 v[62:65], v58 offset1:16
	ds_read_b128 v[66:69], v56 offset:4160
	s_waitcnt lgkmcnt(1)
	v_fmac_f64_e32 v[48:49], v[62:63], v[0:1]
	v_fmac_f64_e32 v[46:47], v[64:65], v[0:1]
	s_waitcnt lgkmcnt(0)
	v_fmac_f64_e32 v[44:45], v[62:63], v[66:67]
	v_fmac_f64_e32 v[42:43], v[64:65], v[66:67]
	ds_read2_b64 v[62:65], v58 offset0:32 offset1:48
	s_waitcnt lgkmcnt(0)
	v_fmac_f64_e32 v[48:49], v[62:63], v[2:3]
	v_fmac_f64_e32 v[46:47], v[64:65], v[2:3]
	v_fmac_f64_e32 v[44:45], v[62:63], v[68:69]
	v_fmac_f64_e32 v[42:43], v[64:65], v[68:69]
	ds_read_b128 v[0:3], v56 offset:80
	ds_read2_b64 v[62:65], v58 offset0:64 offset1:80
	ds_read_b128 v[66:69], v56 offset:4176
	s_waitcnt lgkmcnt(1)
	v_fmac_f64_e32 v[48:49], v[62:63], v[0:1]
	v_fmac_f64_e32 v[46:47], v[64:65], v[0:1]
	s_waitcnt lgkmcnt(0)
	v_fmac_f64_e32 v[44:45], v[62:63], v[66:67]
	v_fmac_f64_e32 v[42:43], v[64:65], v[66:67]
	ds_read2_b64 v[62:65], v58 offset0:96 offset1:112
	s_waitcnt lgkmcnt(0)
	v_fmac_f64_e32 v[48:49], v[62:63], v[2:3]
	v_fmac_f64_e32 v[46:47], v[64:65], v[2:3]
	v_fmac_f64_e32 v[44:45], v[62:63], v[68:69]
	v_fmac_f64_e32 v[42:43], v[64:65], v[68:69]
	ds_read_b128 v[0:3], v56 offset:96
	ds_read2_b64 v[62:65], v58 offset0:128 offset1:144
	ds_read_b128 v[66:69], v56 offset:4192
	s_waitcnt lgkmcnt(1)
	v_fmac_f64_e32 v[48:49], v[62:63], v[0:1]
	v_fmac_f64_e32 v[46:47], v[64:65], v[0:1]
	s_waitcnt lgkmcnt(0)
	v_fmac_f64_e32 v[44:45], v[62:63], v[66:67]
	v_fmac_f64_e32 v[42:43], v[64:65], v[66:67]
	ds_read2_b64 v[62:65], v58 offset0:160 offset1:176
	s_waitcnt lgkmcnt(0)
	v_fmac_f64_e32 v[48:49], v[62:63], v[2:3]
	v_fmac_f64_e32 v[46:47], v[64:65], v[2:3]
	v_fmac_f64_e32 v[44:45], v[62:63], v[68:69]
	v_fmac_f64_e32 v[42:43], v[64:65], v[68:69]
	ds_read_b128 v[0:3], v56 offset:112
	ds_read2_b64 v[62:65], v58 offset0:192 offset1:208
	ds_read_b128 v[66:69], v56 offset:4208
	s_waitcnt lgkmcnt(1)
	v_fmac_f64_e32 v[48:49], v[62:63], v[0:1]
	v_fmac_f64_e32 v[46:47], v[64:65], v[0:1]
	s_waitcnt lgkmcnt(0)
	v_fmac_f64_e32 v[44:45], v[62:63], v[66:67]
	v_fmac_f64_e32 v[42:43], v[64:65], v[66:67]
	ds_read2_b64 v[62:65], v58 offset0:224 offset1:240
	s_waitcnt lgkmcnt(0)
	v_fmac_f64_e32 v[48:49], v[62:63], v[2:3]
	v_fmac_f64_e32 v[46:47], v[64:65], v[2:3]
	v_fmac_f64_e32 v[44:45], v[62:63], v[68:69]
	v_fmac_f64_e32 v[42:43], v[64:65], v[68:69]
	ds_read_b128 v[0:3], v56 offset:128
	ds_read2_b64 v[62:65], v59 offset1:16
	ds_read_b128 v[66:69], v56 offset:4224
	s_waitcnt lgkmcnt(1)
	v_fmac_f64_e32 v[48:49], v[62:63], v[0:1]
	v_fmac_f64_e32 v[46:47], v[64:65], v[0:1]
	s_waitcnt lgkmcnt(0)
	v_fmac_f64_e32 v[44:45], v[62:63], v[66:67]
	v_fmac_f64_e32 v[42:43], v[64:65], v[66:67]
	ds_read2_b64 v[62:65], v59 offset0:32 offset1:48
	s_waitcnt lgkmcnt(0)
	v_fmac_f64_e32 v[48:49], v[62:63], v[2:3]
	v_fmac_f64_e32 v[46:47], v[64:65], v[2:3]
	v_fmac_f64_e32 v[44:45], v[62:63], v[68:69]
	v_fmac_f64_e32 v[42:43], v[64:65], v[68:69]
	ds_read_b128 v[0:3], v56 offset:144
	ds_read2_b64 v[62:65], v59 offset0:64 offset1:80
	ds_read_b128 v[66:69], v56 offset:4240
	s_waitcnt lgkmcnt(1)
	v_fmac_f64_e32 v[48:49], v[62:63], v[0:1]
	v_fmac_f64_e32 v[46:47], v[64:65], v[0:1]
	s_waitcnt lgkmcnt(0)
	v_fmac_f64_e32 v[44:45], v[62:63], v[66:67]
	v_fmac_f64_e32 v[42:43], v[64:65], v[66:67]
	ds_read2_b64 v[62:65], v59 offset0:96 offset1:112
	s_waitcnt lgkmcnt(0)
	v_fmac_f64_e32 v[48:49], v[62:63], v[2:3]
	v_fmac_f64_e32 v[46:47], v[64:65], v[2:3]
	v_fmac_f64_e32 v[44:45], v[62:63], v[68:69]
	v_fmac_f64_e32 v[42:43], v[64:65], v[68:69]
	ds_read_b128 v[0:3], v56 offset:160
	ds_read2_b64 v[62:65], v59 offset0:128 offset1:144
	ds_read_b128 v[66:69], v56 offset:4256
	s_waitcnt lgkmcnt(1)
	v_fmac_f64_e32 v[48:49], v[62:63], v[0:1]
	v_fmac_f64_e32 v[46:47], v[64:65], v[0:1]
	s_waitcnt lgkmcnt(0)
	v_fmac_f64_e32 v[44:45], v[62:63], v[66:67]
	v_fmac_f64_e32 v[42:43], v[64:65], v[66:67]
	ds_read2_b64 v[62:65], v59 offset0:160 offset1:176
	s_waitcnt lgkmcnt(0)
	v_fmac_f64_e32 v[48:49], v[62:63], v[2:3]
	v_fmac_f64_e32 v[46:47], v[64:65], v[2:3]
	v_fmac_f64_e32 v[44:45], v[62:63], v[68:69]
	v_fmac_f64_e32 v[42:43], v[64:65], v[68:69]
	ds_read_b128 v[0:3], v56 offset:176
	ds_read2_b64 v[62:65], v59 offset0:192 offset1:208
	ds_read_b128 v[66:69], v56 offset:4272
	s_waitcnt lgkmcnt(1)
	v_fmac_f64_e32 v[48:49], v[62:63], v[0:1]
	v_fmac_f64_e32 v[46:47], v[64:65], v[0:1]
	s_waitcnt lgkmcnt(0)
	v_fmac_f64_e32 v[44:45], v[62:63], v[66:67]
	v_fmac_f64_e32 v[42:43], v[64:65], v[66:67]
	ds_read2_b64 v[62:65], v59 offset0:224 offset1:240
	;; [unrolled: 60-line block ×3, first 2 shown]
	s_waitcnt lgkmcnt(0)
	s_barrier
	v_fmac_f64_e32 v[48:49], v[62:63], v[2:3]
	v_fmac_f64_e32 v[46:47], v[64:65], v[2:3]
	;; [unrolled: 1-line block ×4, first 2 shown]
	s_cbranch_scc1 .LBB42_43
.LBB42_7:                               ;   Parent Loop BB42_4 Depth=1
                                        ; =>  This Inner Loop Header: Depth=2
	v_lshl_add_u64 v[54:55], v[4:5], 0, s[40:41]
	v_cmp_le_i64_e64 s[16:17], s[42:43], v[54:55]
	v_cmp_eq_u64_e64 s[4:5], s[40:41], v[20:21]
	v_cmp_gt_i64_e64 s[14:15], v[54:55], v[10:11]
	s_and_b64 s[12:13], s[30:31], s[4:5]
	s_or_b64 s[4:5], s[16:17], s[14:15]
	s_or_b64 s[4:5], s[4:5], s[12:13]
	v_lshl_add_u64 v[0:1], v[12:13], 0, s[36:37]
	s_nor_b64 s[4:5], s[0:1], s[4:5]
                                        ; implicit-def: $vgpr2_vgpr3
	s_and_saveexec_b64 s[18:19], s[4:5]
	s_xor_b64 s[4:5], exec, s[18:19]
	s_cbranch_execz .LBB42_9
; %bb.8:                                ;   in Loop: Header=BB42_7 Depth=2
	global_load_dwordx2 v[2:3], v[0:1], off
.LBB42_9:                               ;   in Loop: Header=BB42_7 Depth=2
	s_andn2_saveexec_b64 s[4:5], s[4:5]
	s_cbranch_execz .LBB42_11
; %bb.10:                               ;   in Loop: Header=BB42_7 Depth=2
	v_cndmask_b32_e64 v7, 0, v37, s[12:13]
	s_waitcnt vmcnt(0)
	v_mov_b64_e32 v[2:3], v[6:7]
.LBB42_11:                              ;   in Loop: Header=BB42_7 Depth=2
	s_or_b64 exec, exec, s[4:5]
	v_cmp_eq_u64_e64 s[4:5], s[40:41], v[22:23]
	s_and_b64 s[18:19], s[30:31], s[4:5]
	v_cmp_lt_i64_e64 s[4:5], v[16:17], v[54:55]
	s_or_b64 s[4:5], s[16:17], s[4:5]
	s_or_b64 s[4:5], s[4:5], s[18:19]
	s_waitcnt vmcnt(0)
	ds_write_b64 v41, v[2:3]
	s_nor_b64 s[4:5], s[20:21], s[4:5]
	v_lshl_add_u64 v[2:3], v[34:35], 0, s[36:37]
	s_and_saveexec_b64 s[16:17], s[4:5]
	s_xor_b64 s[4:5], exec, s[16:17]
	s_cbranch_execz .LBB42_13
; %bb.12:                               ;   in Loop: Header=BB42_7 Depth=2
	global_load_dwordx2 v[62:63], v[2:3], off
	s_waitcnt vmcnt(0)
	ds_write_b64 v41, v[62:63] offset:128
.LBB42_13:                              ;   in Loop: Header=BB42_7 Depth=2
	s_andn2_saveexec_b64 s[4:5], s[4:5]
	s_cbranch_execz .LBB42_19
; %bb.14:                               ;   in Loop: Header=BB42_7 Depth=2
	s_xor_b64 s[16:17], s[18:19], -1
	s_and_saveexec_b64 s[18:19], s[16:17]
	s_xor_b64 s[16:17], exec, s[18:19]
; %bb.15:                               ;   in Loop: Header=BB42_7 Depth=2
	ds_write_b64 v41, v[38:39] offset:128
; %bb.16:                               ;   in Loop: Header=BB42_7 Depth=2
	s_andn2_saveexec_b64 s[16:17], s[16:17]
; %bb.17:                               ;   in Loop: Header=BB42_7 Depth=2
	ds_write_b64 v41, v[36:37] offset:128
; %bb.18:                               ;   in Loop: Header=BB42_7 Depth=2
	s_or_b64 exec, exec, s[16:17]
.LBB42_19:                              ;   in Loop: Header=BB42_7 Depth=2
	s_or_b64 exec, exec, s[4:5]
	v_lshl_add_u64 v[54:55], v[54:55], 0, 16
	v_cmp_eq_u64_e64 s[4:5], s[40:41], v[24:25]
	v_cmp_le_i64_e64 s[16:17], s[42:43], v[54:55]
	s_and_b64 s[18:19], s[30:31], s[4:5]
	v_cmp_gt_i64_e64 s[4:5], v[54:55], v[10:11]
	s_or_b64 s[4:5], s[16:17], s[4:5]
	s_or_b64 s[4:5], s[4:5], s[18:19]
	s_nor_b64 s[4:5], s[0:1], s[4:5]
                                        ; implicit-def: $vgpr54_vgpr55
	s_and_saveexec_b64 s[44:45], s[4:5]
	s_xor_b64 s[4:5], exec, s[44:45]
	s_cbranch_execz .LBB42_21
; %bb.20:                               ;   in Loop: Header=BB42_7 Depth=2
	global_load_dwordx2 v[54:55], v[0:1], off offset:128
.LBB42_21:                              ;   in Loop: Header=BB42_7 Depth=2
	s_andn2_saveexec_b64 s[4:5], s[4:5]
	s_cbranch_execz .LBB42_23
; %bb.22:                               ;   in Loop: Header=BB42_7 Depth=2
	v_cndmask_b32_e64 v7, 0, v37, s[18:19]
	s_waitcnt vmcnt(0)
	v_mov_b64_e32 v[54:55], v[6:7]
.LBB42_23:                              ;   in Loop: Header=BB42_7 Depth=2
	s_or_b64 exec, exec, s[4:5]
	s_or_b64 s[4:5], s[16:17], s[14:15]
	s_or_b64 s[4:5], s[4:5], s[12:13]
	s_nor_b64 s[4:5], s[20:21], s[4:5]
	s_waitcnt vmcnt(0)
	ds_write_b64 v41, v[54:55] offset:4096
	s_and_saveexec_b64 s[14:15], s[4:5]
	s_xor_b64 s[4:5], exec, s[14:15]
	s_cbranch_execz .LBB42_25
; %bb.24:                               ;   in Loop: Header=BB42_7 Depth=2
	global_load_dwordx2 v[0:1], v[2:3], off offset:128
	s_waitcnt vmcnt(0)
	ds_write_b64 v41, v[0:1] offset:4224
.LBB42_25:                              ;   in Loop: Header=BB42_7 Depth=2
	s_andn2_saveexec_b64 s[4:5], s[4:5]
	s_cbranch_execz .LBB42_31
; %bb.26:                               ;   in Loop: Header=BB42_7 Depth=2
	s_xor_b64 s[12:13], s[12:13], -1
	s_and_saveexec_b64 s[14:15], s[12:13]
	s_xor_b64 s[12:13], exec, s[14:15]
; %bb.27:                               ;   in Loop: Header=BB42_7 Depth=2
	ds_write_b64 v41, v[38:39] offset:4224
; %bb.28:                               ;   in Loop: Header=BB42_7 Depth=2
	s_andn2_saveexec_b64 s[12:13], s[12:13]
; %bb.29:                               ;   in Loop: Header=BB42_7 Depth=2
	ds_write_b64 v41, v[36:37] offset:4224
; %bb.30:                               ;   in Loop: Header=BB42_7 Depth=2
	s_or_b64 exec, exec, s[12:13]
.LBB42_31:                              ;   in Loop: Header=BB42_7 Depth=2
	s_or_b64 exec, exec, s[4:5]
	v_lshl_add_u64 v[2:3], v[8:9], 0, s[40:41]
	v_cmp_gt_i64_e64 s[12:13], s[42:43], v[2:3]
	v_lshl_add_u64 v[0:1], v[50:51], 0, s[36:37]
	s_and_b64 s[14:15], vcc, s[12:13]
	v_mov_b64_e32 v[54:55], 0
	s_and_saveexec_b64 s[4:5], s[14:15]
	s_cbranch_execz .LBB42_33
; %bb.32:                               ;   in Loop: Header=BB42_7 Depth=2
	global_load_dwordx2 v[54:55], v[0:1], off offset:-128
.LBB42_33:                              ;   in Loop: Header=BB42_7 Depth=2
	s_or_b64 exec, exec, s[4:5]
	v_cmp_gt_i64_e64 s[14:15], s[46:47], v[2:3]
	s_and_b64 s[4:5], vcc, s[14:15]
	s_xor_b64 s[4:5], s[4:5], -1
	s_waitcnt vmcnt(0)
	ds_write_b64 v57, v[54:55]
	s_and_saveexec_b64 s[16:17], s[4:5]
	s_xor_b64 s[4:5], exec, s[16:17]
; %bb.34:                               ;   in Loop: Header=BB42_7 Depth=2
	ds_write_b64 v57, v[38:39] offset:128
                                        ; implicit-def: $vgpr0_vgpr1
; %bb.35:                               ;   in Loop: Header=BB42_7 Depth=2
	s_andn2_saveexec_b64 s[4:5], s[4:5]
	s_cbranch_execz .LBB42_37
; %bb.36:                               ;   in Loop: Header=BB42_7 Depth=2
	global_load_dwordx2 v[0:1], v[0:1], off
	s_waitcnt vmcnt(0)
	ds_write_b64 v57, v[0:1] offset:128
.LBB42_37:                              ;   in Loop: Header=BB42_7 Depth=2
	s_or_b64 exec, exec, s[4:5]
	v_lshl_add_u64 v[0:1], v[52:53], 0, s[36:37]
	s_and_b64 s[12:13], s[10:11], s[12:13]
	v_mov_b64_e32 v[2:3], 0
	s_and_saveexec_b64 s[4:5], s[12:13]
	s_cbranch_execz .LBB42_39
; %bb.38:                               ;   in Loop: Header=BB42_7 Depth=2
	global_load_dwordx2 v[2:3], v[0:1], off
.LBB42_39:                              ;   in Loop: Header=BB42_7 Depth=2
	s_or_b64 exec, exec, s[4:5]
	s_and_b64 s[4:5], s[10:11], s[14:15]
	s_xor_b64 s[4:5], s[4:5], -1
	s_waitcnt vmcnt(0)
	ds_write_b64 v57, v[2:3] offset:4096
	s_and_saveexec_b64 s[12:13], s[4:5]
	s_xor_b64 s[4:5], exec, s[12:13]
; %bb.40:                               ;   in Loop: Header=BB42_7 Depth=2
	ds_write_b64 v57, v[38:39] offset:4224
                                        ; implicit-def: $vgpr0_vgpr1
; %bb.41:                               ;   in Loop: Header=BB42_7 Depth=2
	s_andn2_saveexec_b64 s[4:5], s[4:5]
	s_cbranch_execz .LBB42_6
; %bb.42:                               ;   in Loop: Header=BB42_7 Depth=2
	global_load_dwordx2 v[0:1], v[0:1], off offset:128
	s_waitcnt vmcnt(0)
	ds_write_b64 v57, v[0:1] offset:4224
	s_branch .LBB42_6
.LBB42_43:                              ;   in Loop: Header=BB42_4 Depth=1
	v_mul_lo_u32 v2, s53, v40
	v_mul_lo_u32 v3, s52, v15
	v_mad_u64_u32 v[0:1], s[4:5], s52, v40, 0
	v_cmp_gt_i32_e32 vcc, s38, v40
	v_add3_u32 v1, v1, v3, v2
	v_lshl_add_u64 v[0:1], v[0:1], 3, s[28:29]
	s_and_b64 s[10:11], s[22:23], vcc
	s_and_saveexec_b64 s[4:5], s[10:11]
	s_cbranch_execz .LBB42_45
; %bb.44:                               ;   in Loop: Header=BB42_4 Depth=1
	v_lshl_add_u64 v[2:3], v[10:11], 3, v[0:1]
	global_load_dwordx2 v[50:51], v[2:3], off
	s_waitcnt vmcnt(0)
	v_fmac_f64_e32 v[50:51], s[34:35], v[48:49]
	global_store_dwordx2 v[2:3], v[50:51], off
.LBB42_45:                              ;   in Loop: Header=BB42_4 Depth=1
	s_or_b64 exec, exec, s[4:5]
	s_and_b64 s[10:11], s[6:7], vcc
	s_and_saveexec_b64 s[4:5], s[10:11]
	s_cbranch_execz .LBB42_47
; %bb.46:                               ;   in Loop: Header=BB42_4 Depth=1
	v_lshl_add_u64 v[0:1], v[18:19], 3, v[0:1]
	global_load_dwordx2 v[2:3], v[0:1], off
	s_waitcnt vmcnt(0)
	v_fmac_f64_e32 v[2:3], s[34:35], v[46:47]
	global_store_dwordx2 v[0:1], v[2:3], off
.LBB42_47:                              ;   in Loop: Header=BB42_4 Depth=1
	s_or_b64 exec, exec, s[4:5]
	v_add_u32_e32 v0, 16, v40
	v_ashrrev_i32_e32 v1, 31, v0
	v_cmp_gt_i32_e32 vcc, s38, v0
	v_mul_lo_u32 v2, s52, v1
	v_mul_lo_u32 v3, s53, v0
	v_mad_u64_u32 v[0:1], s[4:5], s52, v0, 0
	v_add3_u32 v1, v1, v2, v3
	v_lshl_add_u64 v[0:1], v[0:1], 3, s[28:29]
	s_and_b64 s[10:11], s[22:23], vcc
	s_and_saveexec_b64 s[4:5], s[10:11]
	s_cbranch_execz .LBB42_49
; %bb.48:                               ;   in Loop: Header=BB42_4 Depth=1
	v_lshl_add_u64 v[2:3], v[10:11], 3, v[0:1]
	global_load_dwordx2 v[46:47], v[2:3], off
	s_waitcnt vmcnt(0)
	v_fmac_f64_e32 v[46:47], s[34:35], v[44:45]
	global_store_dwordx2 v[2:3], v[46:47], off
.LBB42_49:                              ;   in Loop: Header=BB42_4 Depth=1
	s_or_b64 exec, exec, s[4:5]
	s_and_b64 s[10:11], s[6:7], vcc
	s_and_saveexec_b64 s[4:5], s[10:11]
	s_cbranch_execz .LBB42_3
; %bb.50:                               ;   in Loop: Header=BB42_4 Depth=1
	v_lshl_add_u64 v[0:1], v[18:19], 3, v[0:1]
	global_load_dwordx2 v[2:3], v[0:1], off
	s_waitcnt vmcnt(0)
	v_fmac_f64_e32 v[2:3], s[34:35], v[42:43]
	global_store_dwordx2 v[0:1], v[2:3], off
	s_branch .LBB42_3
.LBB42_51:
	s_endpgm
	.section	.rodata,"a",@progbits
	.p2align	6, 0x0
	.amdhsa_kernel _ZL30rocblas_trmm_outofplace_kernelIdLi32ELi2ELb1ELb1ELb1ELb0EPKdS0_dEv17rocblas_diagonal_iiT6_lPT7_lllS5_lllPT8_llli
		.amdhsa_group_segment_fixed_size 16384
		.amdhsa_private_segment_fixed_size 0
		.amdhsa_kernarg_size 392
		.amdhsa_user_sgpr_count 2
		.amdhsa_user_sgpr_dispatch_ptr 0
		.amdhsa_user_sgpr_queue_ptr 0
		.amdhsa_user_sgpr_kernarg_segment_ptr 1
		.amdhsa_user_sgpr_dispatch_id 0
		.amdhsa_user_sgpr_kernarg_preload_length 0
		.amdhsa_user_sgpr_kernarg_preload_offset 0
		.amdhsa_user_sgpr_private_segment_size 0
		.amdhsa_uses_dynamic_stack 0
		.amdhsa_enable_private_segment 0
		.amdhsa_system_sgpr_workgroup_id_x 1
		.amdhsa_system_sgpr_workgroup_id_y 1
		.amdhsa_system_sgpr_workgroup_id_z 1
		.amdhsa_system_sgpr_workgroup_info 0
		.amdhsa_system_vgpr_workitem_id 1
		.amdhsa_next_free_vgpr 82
		.amdhsa_next_free_sgpr 56
		.amdhsa_accum_offset 84
		.amdhsa_reserve_vcc 1
		.amdhsa_float_round_mode_32 0
		.amdhsa_float_round_mode_16_64 0
		.amdhsa_float_denorm_mode_32 3
		.amdhsa_float_denorm_mode_16_64 3
		.amdhsa_dx10_clamp 1
		.amdhsa_ieee_mode 1
		.amdhsa_fp16_overflow 0
		.amdhsa_tg_split 0
		.amdhsa_exception_fp_ieee_invalid_op 0
		.amdhsa_exception_fp_denorm_src 0
		.amdhsa_exception_fp_ieee_div_zero 0
		.amdhsa_exception_fp_ieee_overflow 0
		.amdhsa_exception_fp_ieee_underflow 0
		.amdhsa_exception_fp_ieee_inexact 0
		.amdhsa_exception_int_div_zero 0
	.end_amdhsa_kernel
	.section	.text._ZL30rocblas_trmm_outofplace_kernelIdLi32ELi2ELb1ELb1ELb1ELb0EPKdS0_dEv17rocblas_diagonal_iiT6_lPT7_lllS5_lllPT8_llli,"axG",@progbits,_ZL30rocblas_trmm_outofplace_kernelIdLi32ELi2ELb1ELb1ELb1ELb0EPKdS0_dEv17rocblas_diagonal_iiT6_lPT7_lllS5_lllPT8_llli,comdat
.Lfunc_end42:
	.size	_ZL30rocblas_trmm_outofplace_kernelIdLi32ELi2ELb1ELb1ELb1ELb0EPKdS0_dEv17rocblas_diagonal_iiT6_lPT7_lllS5_lllPT8_llli, .Lfunc_end42-_ZL30rocblas_trmm_outofplace_kernelIdLi32ELi2ELb1ELb1ELb1ELb0EPKdS0_dEv17rocblas_diagonal_iiT6_lPT7_lllS5_lllPT8_llli
                                        ; -- End function
	.set _ZL30rocblas_trmm_outofplace_kernelIdLi32ELi2ELb1ELb1ELb1ELb0EPKdS0_dEv17rocblas_diagonal_iiT6_lPT7_lllS5_lllPT8_llli.num_vgpr, 82
	.set _ZL30rocblas_trmm_outofplace_kernelIdLi32ELi2ELb1ELb1ELb1ELb0EPKdS0_dEv17rocblas_diagonal_iiT6_lPT7_lllS5_lllPT8_llli.num_agpr, 0
	.set _ZL30rocblas_trmm_outofplace_kernelIdLi32ELi2ELb1ELb1ELb1ELb0EPKdS0_dEv17rocblas_diagonal_iiT6_lPT7_lllS5_lllPT8_llli.numbered_sgpr, 56
	.set _ZL30rocblas_trmm_outofplace_kernelIdLi32ELi2ELb1ELb1ELb1ELb0EPKdS0_dEv17rocblas_diagonal_iiT6_lPT7_lllS5_lllPT8_llli.num_named_barrier, 0
	.set _ZL30rocblas_trmm_outofplace_kernelIdLi32ELi2ELb1ELb1ELb1ELb0EPKdS0_dEv17rocblas_diagonal_iiT6_lPT7_lllS5_lllPT8_llli.private_seg_size, 0
	.set _ZL30rocblas_trmm_outofplace_kernelIdLi32ELi2ELb1ELb1ELb1ELb0EPKdS0_dEv17rocblas_diagonal_iiT6_lPT7_lllS5_lllPT8_llli.uses_vcc, 1
	.set _ZL30rocblas_trmm_outofplace_kernelIdLi32ELi2ELb1ELb1ELb1ELb0EPKdS0_dEv17rocblas_diagonal_iiT6_lPT7_lllS5_lllPT8_llli.uses_flat_scratch, 0
	.set _ZL30rocblas_trmm_outofplace_kernelIdLi32ELi2ELb1ELb1ELb1ELb0EPKdS0_dEv17rocblas_diagonal_iiT6_lPT7_lllS5_lllPT8_llli.has_dyn_sized_stack, 0
	.set _ZL30rocblas_trmm_outofplace_kernelIdLi32ELi2ELb1ELb1ELb1ELb0EPKdS0_dEv17rocblas_diagonal_iiT6_lPT7_lllS5_lllPT8_llli.has_recursion, 0
	.set _ZL30rocblas_trmm_outofplace_kernelIdLi32ELi2ELb1ELb1ELb1ELb0EPKdS0_dEv17rocblas_diagonal_iiT6_lPT7_lllS5_lllPT8_llli.has_indirect_call, 0
	.section	.AMDGPU.csdata,"",@progbits
; Kernel info:
; codeLenInByte = 3080
; TotalNumSgprs: 62
; NumVgprs: 82
; NumAgprs: 0
; TotalNumVgprs: 82
; ScratchSize: 0
; MemoryBound: 0
; FloatMode: 240
; IeeeMode: 1
; LDSByteSize: 16384 bytes/workgroup (compile time only)
; SGPRBlocks: 7
; VGPRBlocks: 10
; NumSGPRsForWavesPerEU: 62
; NumVGPRsForWavesPerEU: 82
; AccumOffset: 84
; Occupancy: 5
; WaveLimiterHint : 0
; COMPUTE_PGM_RSRC2:SCRATCH_EN: 0
; COMPUTE_PGM_RSRC2:USER_SGPR: 2
; COMPUTE_PGM_RSRC2:TRAP_HANDLER: 0
; COMPUTE_PGM_RSRC2:TGID_X_EN: 1
; COMPUTE_PGM_RSRC2:TGID_Y_EN: 1
; COMPUTE_PGM_RSRC2:TGID_Z_EN: 1
; COMPUTE_PGM_RSRC2:TIDIG_COMP_CNT: 1
; COMPUTE_PGM_RSRC3_GFX90A:ACCUM_OFFSET: 20
; COMPUTE_PGM_RSRC3_GFX90A:TG_SPLIT: 0
	.section	.text._ZL30rocblas_trmm_outofplace_kernelIdLi32ELi2ELb1ELb1ELb1ELb0EdKddEv17rocblas_diagonal_iiT6_lPT7_lllS4_lllPT8_llli,"axG",@progbits,_ZL30rocblas_trmm_outofplace_kernelIdLi32ELi2ELb1ELb1ELb1ELb0EdKddEv17rocblas_diagonal_iiT6_lPT7_lllS4_lllPT8_llli,comdat
	.globl	_ZL30rocblas_trmm_outofplace_kernelIdLi32ELi2ELb1ELb1ELb1ELb0EdKddEv17rocblas_diagonal_iiT6_lPT7_lllS4_lllPT8_llli ; -- Begin function _ZL30rocblas_trmm_outofplace_kernelIdLi32ELi2ELb1ELb1ELb1ELb0EdKddEv17rocblas_diagonal_iiT6_lPT7_lllS4_lllPT8_llli
	.p2align	8
	.type	_ZL30rocblas_trmm_outofplace_kernelIdLi32ELi2ELb1ELb1ELb1ELb0EdKddEv17rocblas_diagonal_iiT6_lPT7_lllS4_lllPT8_llli,@function
_ZL30rocblas_trmm_outofplace_kernelIdLi32ELi2ELb1ELb1ELb1ELb0EdKddEv17rocblas_diagonal_iiT6_lPT7_lllS4_lllPT8_llli: ; @_ZL30rocblas_trmm_outofplace_kernelIdLi32ELi2ELb1ELb1ELb1ELb0EdKddEv17rocblas_diagonal_iiT6_lPT7_lllS4_lllPT8_llli
; %bb.0:
	s_load_dwordx2 s[34:35], s[0:1], 0x10
	s_waitcnt lgkmcnt(0)
	v_cmp_eq_f64_e64 s[6:7], s[34:35], 0
	s_and_b64 vcc, exec, s[6:7]
	s_cbranch_vccnz .LBB43_51
; %bb.1:
	s_load_dwordx4 s[28:31], s[0:1], 0x0
	s_waitcnt lgkmcnt(0)
	s_add_i32 s5, s30, -1
	s_ashr_i32 s6, s5, 31
	s_lshr_b32 s6, s6, 27
	s_add_i32 s5, s5, s6
	s_ashr_i32 s31, s5, 5
	s_cmp_gt_i32 s3, s31
	s_cbranch_scc1 .LBB43_51
; %bb.2:
	s_load_dwordx16 s[36:51], s[0:1], 0x20
	s_load_dwordx8 s[20:27], s[0:1], 0x60
	v_and_b32_e32 v8, 0x3ff, v0
	v_bfe_u32 v4, v0, 10, 10
	s_load_dword s54, s[0:1], 0x8c
	s_waitcnt lgkmcnt(0)
	s_mul_i32 s5, s43, s4
	s_mul_hi_u32 s7, s42, s4
	s_mul_i32 s6, s42, s4
	s_add_i32 s7, s7, s5
	s_lshl_b64 s[8:9], s[6:7], 3
	s_add_u32 s5, s36, s8
	s_addc_u32 s7, s37, s9
	s_lshl_b64 s[10:11], s[38:39], 3
	s_add_u32 s6, s5, s10
	s_mul_i32 s5, s27, s4
	s_mul_hi_u32 s12, s26, s4
	s_addc_u32 s7, s7, s11
	s_add_i32 s13, s12, s5
	s_mul_i32 s12, s26, s4
	s_lshl_b64 s[12:13], s[12:13], 3
	s_add_u32 s5, s20, s12
	s_addc_u32 s14, s21, s13
	s_lshl_b64 s[12:13], s[22:23], 3
	s_add_u32 s26, s5, s12
	s_addc_u32 s27, s14, s13
	s_lshl_b32 s33, s2, 5
	v_add_u32_e32 v10, s33, v8
	v_mad_u64_u32 v[0:1], s[12:13], s40, v10, 0
	s_cmp_gt_i32 s2, -1
	s_cselect_b64 s[12:13], -1, 0
	s_cmpk_eq_i32 s28, 0x84
	s_cselect_b64 s[38:39], -1, 0
	s_ashr_i32 s43, s29, 31
	s_ashr_i32 s2, s30, 31
	s_add_u32 s52, s29, -16
	s_mul_i32 s5, s51, s4
	s_mul_hi_u32 s14, s50, s4
	s_addc_u32 s53, s43, -1
	s_add_i32 s5, s14, s5
	s_mul_i32 s4, s50, s4
	s_lshl_b64 s[4:5], s[4:5], 3
	s_lshl_b64 s[14:15], s[46:47], 3
	s_add_u32 s4, s4, s14
	v_ashrrev_i32_e32 v11, 31, v10
	s_addc_u32 s5, s5, s15
	v_mov_b32_e32 v6, 0
	v_mul_lo_u32 v2, s40, v11
	v_mul_lo_u32 v3, s41, v10
	s_add_u32 s4, s44, s4
	v_add3_u32 v1, v1, v2, v3
	v_lshlrev_b32_e32 v14, 3, v8
	v_add_u32_e32 v18, 16, v10
	v_mov_b32_e32 v15, v6
	s_addc_u32 s5, s45, s5
	v_lshl_add_u64 v[0:1], v[0:1], 3, s[6:7]
	s_mov_b32 s42, s29
	v_cmp_le_i32_e64 s[0:1], s29, v10
	v_cmp_gt_i32_e64 s[22:23], s29, v10
	v_cmp_gt_i32_e64 s[6:7], s29, v18
	v_lshl_add_u64 v[26:27], s[4:5], 0, v[14:15]
	s_mov_b64 s[4:5], 0x80
	s_lshl_b64 s[28:29], s[48:49], 3
	s_lshl_b32 s44, s54, 5
	v_lshlrev_b32_e32 v2, 3, v4
	v_mov_b32_e32 v3, v6
	v_lshl_add_u64 v[28:29], v[26:27], 0, s[4:5]
	s_add_u32 s4, s10, s8
	v_lshl_add_u64 v[12:13], v[0:1], 0, v[2:3]
	v_lshlrev_b32_e32 v0, 8, v4
	v_mov_b64_e32 v[32:33], 0x80
	s_addc_u32 s5, s11, s9
	v_add_u32_e32 v41, v14, v0
	v_add_u32_e32 v56, 0x2000, v0
	v_lshl_add_u64 v[0:1], v[10:11], 3, v[32:33]
	v_mov_b64_e32 v[34:35], s[4:5]
	v_mul_lo_u32 v7, s40, v1
	v_mul_lo_u32 v15, s41, v0
	v_mad_u64_u32 v[0:1], s[4:5], s40, v0, v[34:35]
	v_add3_u32 v1, v15, v1, v7
	v_sub_co_u32_e32 v20, vcc, v10, v4
	v_lshl_add_u64 v[0:1], v[0:1], 0, v[2:3]
	v_lshl_add_u64 v[16:17], v[10:11], 0, 16
	v_subbrev_co_u32_e32 v21, vcc, 0, v11, vcc
	v_lshl_add_u64 v[34:35], s[36:37], 0, v[0:1]
	v_cndmask_b32_e64 v0, 0, 1, s[12:13]
	v_mov_b32_e32 v5, v6
	v_mov_b32_e32 v9, v6
	v_add_u32_e32 v57, v56, v14
	v_cmp_le_i64_e64 s[20:21], s[42:43], v[16:17]
	v_ashrrev_i32_e32 v19, 31, v18
	v_lshl_add_u64 v[22:23], v[20:21], 0, 16
	v_lshl_add_u64 v[24:25], v[20:21], 0, -16
	v_lshl_add_u32 v30, s3, 5, v4
	v_cmp_ne_u32_e64 s[8:9], 1, v0
	v_mov_b32_e32 v37, 0x3ff00000
	v_mov_b32_e32 v38, 0
	;; [unrolled: 1-line block ×4, first 2 shown]
	v_add_u32_e32 v58, 0x800, v14
	v_add_u32_e32 v59, 0x1000, v14
	;; [unrolled: 1-line block ×3, first 2 shown]
	s_branch .LBB43_4
.LBB43_3:                               ;   in Loop: Header=BB43_4 Depth=1
	s_or_b64 exec, exec, s[4:5]
	s_add_i32 s3, s54, s3
	s_cmp_le_i32 s3, s31
	v_add_u32_e32 v30, s44, v30
	s_cbranch_scc0 .LBB43_51
.LBB43_4:                               ; =>This Loop Header: Depth=1
                                        ;     Child Loop BB43_7 Depth 2
	v_lshl_add_u32 v40, s3, 5, v4
	v_ashrrev_i32_e32 v15, 31, v40
	v_mov_b64_e32 v[48:49], 0
	s_and_b64 vcc, exec, s[8:9]
	v_mov_b64_e32 v[46:47], 0
	v_mov_b64_e32 v[44:45], 0
	;; [unrolled: 1-line block ×3, first 2 shown]
	s_cbranch_vccnz .LBB43_43
; %bb.5:                                ;   in Loop: Header=BB43_4 Depth=1
	v_ashrrev_i32_e32 v31, 31, v30
	v_mad_u64_u32 v[50:51], s[4:5], s28, v30, v[28:29]
	v_mul_lo_u32 v0, s29, v30
	v_mul_lo_u32 v1, s28, v31
	v_add3_u32 v51, v0, v51, v1
	v_lshl_add_u64 v[0:1], v[30:31], 3, v[32:33]
	v_mul_lo_u32 v1, s48, v1
	v_mul_lo_u32 v2, s49, v0
	v_mad_u64_u32 v[52:53], s[4:5], s48, v0, v[26:27]
	v_add3_u32 v53, v2, v53, v1
	v_mov_b32_e32 v1, s2
	v_sub_co_u32_e32 v0, vcc, s30, v40
	s_mov_b64 s[36:37], 0
	s_nop 0
	v_subb_co_u32_e32 v1, vcc, v1, v15, vcc
	v_cmp_lt_i64_e32 vcc, 0, v[0:1]
	v_cmp_lt_i64_e64 s[10:11], 16, v[0:1]
	v_mov_b64_e32 v[42:43], 0
	s_mov_b64 s[40:41], 0
	v_mov_b64_e32 v[44:45], 0
	v_mov_b64_e32 v[46:47], 0
	;; [unrolled: 1-line block ×3, first 2 shown]
	s_branch .LBB43_7
.LBB43_6:                               ;   in Loop: Header=BB43_7 Depth=2
	s_or_b64 exec, exec, s[4:5]
	s_waitcnt lgkmcnt(0)
	s_barrier
	ds_read_b128 v[62:65], v56
	ds_read_b128 v[66:69], v56 offset:16
	ds_read_b128 v[70:73], v56 offset:32
	;; [unrolled: 1-line block ×3, first 2 shown]
	ds_read2_b64 v[74:77], v14 offset1:16
	ds_read_b128 v[78:81], v56 offset:4096
	s_add_u32 s40, s40, 32
	s_addc_u32 s41, s41, 0
	s_sub_i32 s4, s40, 32
	s_waitcnt lgkmcnt(1)
	v_fmac_f64_e32 v[48:49], v[74:75], v[62:63]
	v_fmac_f64_e32 v[46:47], v[76:77], v[62:63]
	s_waitcnt lgkmcnt(0)
	v_fmac_f64_e32 v[44:45], v[74:75], v[78:79]
	v_fmac_f64_e32 v[42:43], v[76:77], v[78:79]
	ds_read2_b64 v[74:77], v14 offset0:32 offset1:48
	s_add_u32 s36, s36, 0x100
	s_addc_u32 s37, s37, 0
	s_cmp_ge_i32 s4, s33
	s_waitcnt lgkmcnt(0)
	v_fmac_f64_e32 v[48:49], v[74:75], v[64:65]
	v_fmac_f64_e32 v[46:47], v[76:77], v[64:65]
	v_fmac_f64_e32 v[44:45], v[74:75], v[80:81]
	v_fmac_f64_e32 v[42:43], v[76:77], v[80:81]
	ds_read2_b64 v[62:65], v14 offset0:64 offset1:80
	ds_read_b128 v[74:77], v56 offset:4112
	s_waitcnt lgkmcnt(1)
	v_fmac_f64_e32 v[48:49], v[62:63], v[66:67]
	v_fmac_f64_e32 v[46:47], v[64:65], v[66:67]
	s_waitcnt lgkmcnt(0)
	v_fmac_f64_e32 v[44:45], v[62:63], v[74:75]
	v_fmac_f64_e32 v[42:43], v[64:65], v[74:75]
	ds_read2_b64 v[62:65], v14 offset0:96 offset1:112
	s_waitcnt lgkmcnt(0)
	v_fmac_f64_e32 v[48:49], v[62:63], v[68:69]
	v_fmac_f64_e32 v[46:47], v[64:65], v[68:69]
	v_fmac_f64_e32 v[44:45], v[62:63], v[76:77]
	v_fmac_f64_e32 v[42:43], v[64:65], v[76:77]
	ds_read2_b64 v[62:65], v14 offset0:128 offset1:144
	ds_read_b128 v[66:69], v56 offset:4128
	s_waitcnt lgkmcnt(1)
	v_fmac_f64_e32 v[48:49], v[62:63], v[70:71]
	v_fmac_f64_e32 v[46:47], v[64:65], v[70:71]
	s_waitcnt lgkmcnt(0)
	v_fmac_f64_e32 v[44:45], v[62:63], v[66:67]
	v_fmac_f64_e32 v[42:43], v[64:65], v[66:67]
	ds_read2_b64 v[62:65], v14 offset0:160 offset1:176
	;; [unrolled: 14-line block ×3, first 2 shown]
	s_waitcnt lgkmcnt(0)
	v_fmac_f64_e32 v[48:49], v[62:63], v[2:3]
	v_fmac_f64_e32 v[46:47], v[64:65], v[2:3]
	v_fmac_f64_e32 v[44:45], v[62:63], v[68:69]
	v_fmac_f64_e32 v[42:43], v[64:65], v[68:69]
	ds_read_b128 v[0:3], v56 offset:64
	ds_read2_b64 v[62:65], v58 offset1:16
	ds_read_b128 v[66:69], v56 offset:4160
	s_waitcnt lgkmcnt(1)
	v_fmac_f64_e32 v[48:49], v[62:63], v[0:1]
	v_fmac_f64_e32 v[46:47], v[64:65], v[0:1]
	s_waitcnt lgkmcnt(0)
	v_fmac_f64_e32 v[44:45], v[62:63], v[66:67]
	v_fmac_f64_e32 v[42:43], v[64:65], v[66:67]
	ds_read2_b64 v[62:65], v58 offset0:32 offset1:48
	s_waitcnt lgkmcnt(0)
	v_fmac_f64_e32 v[48:49], v[62:63], v[2:3]
	v_fmac_f64_e32 v[46:47], v[64:65], v[2:3]
	v_fmac_f64_e32 v[44:45], v[62:63], v[68:69]
	v_fmac_f64_e32 v[42:43], v[64:65], v[68:69]
	ds_read_b128 v[0:3], v56 offset:80
	ds_read2_b64 v[62:65], v58 offset0:64 offset1:80
	ds_read_b128 v[66:69], v56 offset:4176
	s_waitcnt lgkmcnt(1)
	v_fmac_f64_e32 v[48:49], v[62:63], v[0:1]
	v_fmac_f64_e32 v[46:47], v[64:65], v[0:1]
	s_waitcnt lgkmcnt(0)
	v_fmac_f64_e32 v[44:45], v[62:63], v[66:67]
	v_fmac_f64_e32 v[42:43], v[64:65], v[66:67]
	ds_read2_b64 v[62:65], v58 offset0:96 offset1:112
	s_waitcnt lgkmcnt(0)
	v_fmac_f64_e32 v[48:49], v[62:63], v[2:3]
	v_fmac_f64_e32 v[46:47], v[64:65], v[2:3]
	v_fmac_f64_e32 v[44:45], v[62:63], v[68:69]
	v_fmac_f64_e32 v[42:43], v[64:65], v[68:69]
	ds_read_b128 v[0:3], v56 offset:96
	ds_read2_b64 v[62:65], v58 offset0:128 offset1:144
	ds_read_b128 v[66:69], v56 offset:4192
	s_waitcnt lgkmcnt(1)
	v_fmac_f64_e32 v[48:49], v[62:63], v[0:1]
	v_fmac_f64_e32 v[46:47], v[64:65], v[0:1]
	s_waitcnt lgkmcnt(0)
	v_fmac_f64_e32 v[44:45], v[62:63], v[66:67]
	v_fmac_f64_e32 v[42:43], v[64:65], v[66:67]
	ds_read2_b64 v[62:65], v58 offset0:160 offset1:176
	s_waitcnt lgkmcnt(0)
	v_fmac_f64_e32 v[48:49], v[62:63], v[2:3]
	v_fmac_f64_e32 v[46:47], v[64:65], v[2:3]
	v_fmac_f64_e32 v[44:45], v[62:63], v[68:69]
	v_fmac_f64_e32 v[42:43], v[64:65], v[68:69]
	ds_read_b128 v[0:3], v56 offset:112
	ds_read2_b64 v[62:65], v58 offset0:192 offset1:208
	ds_read_b128 v[66:69], v56 offset:4208
	s_waitcnt lgkmcnt(1)
	v_fmac_f64_e32 v[48:49], v[62:63], v[0:1]
	v_fmac_f64_e32 v[46:47], v[64:65], v[0:1]
	s_waitcnt lgkmcnt(0)
	v_fmac_f64_e32 v[44:45], v[62:63], v[66:67]
	v_fmac_f64_e32 v[42:43], v[64:65], v[66:67]
	ds_read2_b64 v[62:65], v58 offset0:224 offset1:240
	s_waitcnt lgkmcnt(0)
	v_fmac_f64_e32 v[48:49], v[62:63], v[2:3]
	v_fmac_f64_e32 v[46:47], v[64:65], v[2:3]
	v_fmac_f64_e32 v[44:45], v[62:63], v[68:69]
	v_fmac_f64_e32 v[42:43], v[64:65], v[68:69]
	ds_read_b128 v[0:3], v56 offset:128
	ds_read2_b64 v[62:65], v59 offset1:16
	ds_read_b128 v[66:69], v56 offset:4224
	s_waitcnt lgkmcnt(1)
	v_fmac_f64_e32 v[48:49], v[62:63], v[0:1]
	v_fmac_f64_e32 v[46:47], v[64:65], v[0:1]
	s_waitcnt lgkmcnt(0)
	v_fmac_f64_e32 v[44:45], v[62:63], v[66:67]
	v_fmac_f64_e32 v[42:43], v[64:65], v[66:67]
	ds_read2_b64 v[62:65], v59 offset0:32 offset1:48
	s_waitcnt lgkmcnt(0)
	v_fmac_f64_e32 v[48:49], v[62:63], v[2:3]
	v_fmac_f64_e32 v[46:47], v[64:65], v[2:3]
	v_fmac_f64_e32 v[44:45], v[62:63], v[68:69]
	v_fmac_f64_e32 v[42:43], v[64:65], v[68:69]
	ds_read_b128 v[0:3], v56 offset:144
	ds_read2_b64 v[62:65], v59 offset0:64 offset1:80
	ds_read_b128 v[66:69], v56 offset:4240
	s_waitcnt lgkmcnt(1)
	v_fmac_f64_e32 v[48:49], v[62:63], v[0:1]
	v_fmac_f64_e32 v[46:47], v[64:65], v[0:1]
	s_waitcnt lgkmcnt(0)
	v_fmac_f64_e32 v[44:45], v[62:63], v[66:67]
	v_fmac_f64_e32 v[42:43], v[64:65], v[66:67]
	ds_read2_b64 v[62:65], v59 offset0:96 offset1:112
	s_waitcnt lgkmcnt(0)
	v_fmac_f64_e32 v[48:49], v[62:63], v[2:3]
	v_fmac_f64_e32 v[46:47], v[64:65], v[2:3]
	v_fmac_f64_e32 v[44:45], v[62:63], v[68:69]
	v_fmac_f64_e32 v[42:43], v[64:65], v[68:69]
	ds_read_b128 v[0:3], v56 offset:160
	ds_read2_b64 v[62:65], v59 offset0:128 offset1:144
	ds_read_b128 v[66:69], v56 offset:4256
	s_waitcnt lgkmcnt(1)
	v_fmac_f64_e32 v[48:49], v[62:63], v[0:1]
	v_fmac_f64_e32 v[46:47], v[64:65], v[0:1]
	s_waitcnt lgkmcnt(0)
	v_fmac_f64_e32 v[44:45], v[62:63], v[66:67]
	v_fmac_f64_e32 v[42:43], v[64:65], v[66:67]
	ds_read2_b64 v[62:65], v59 offset0:160 offset1:176
	s_waitcnt lgkmcnt(0)
	v_fmac_f64_e32 v[48:49], v[62:63], v[2:3]
	v_fmac_f64_e32 v[46:47], v[64:65], v[2:3]
	v_fmac_f64_e32 v[44:45], v[62:63], v[68:69]
	v_fmac_f64_e32 v[42:43], v[64:65], v[68:69]
	ds_read_b128 v[0:3], v56 offset:176
	ds_read2_b64 v[62:65], v59 offset0:192 offset1:208
	ds_read_b128 v[66:69], v56 offset:4272
	s_waitcnt lgkmcnt(1)
	v_fmac_f64_e32 v[48:49], v[62:63], v[0:1]
	v_fmac_f64_e32 v[46:47], v[64:65], v[0:1]
	s_waitcnt lgkmcnt(0)
	v_fmac_f64_e32 v[44:45], v[62:63], v[66:67]
	v_fmac_f64_e32 v[42:43], v[64:65], v[66:67]
	ds_read2_b64 v[62:65], v59 offset0:224 offset1:240
	;; [unrolled: 60-line block ×3, first 2 shown]
	s_waitcnt lgkmcnt(0)
	s_barrier
	v_fmac_f64_e32 v[48:49], v[62:63], v[2:3]
	v_fmac_f64_e32 v[46:47], v[64:65], v[2:3]
	;; [unrolled: 1-line block ×4, first 2 shown]
	s_cbranch_scc1 .LBB43_43
.LBB43_7:                               ;   Parent Loop BB43_4 Depth=1
                                        ; =>  This Inner Loop Header: Depth=2
	v_lshl_add_u64 v[54:55], v[4:5], 0, s[40:41]
	v_cmp_le_i64_e64 s[16:17], s[42:43], v[54:55]
	v_cmp_eq_u64_e64 s[4:5], s[40:41], v[20:21]
	v_cmp_gt_i64_e64 s[14:15], v[54:55], v[10:11]
	s_and_b64 s[12:13], s[38:39], s[4:5]
	s_or_b64 s[4:5], s[16:17], s[14:15]
	s_or_b64 s[4:5], s[4:5], s[12:13]
	v_lshl_add_u64 v[0:1], v[12:13], 0, s[36:37]
	s_nor_b64 s[4:5], s[0:1], s[4:5]
                                        ; implicit-def: $vgpr2_vgpr3
	s_and_saveexec_b64 s[18:19], s[4:5]
	s_xor_b64 s[4:5], exec, s[18:19]
	s_cbranch_execz .LBB43_9
; %bb.8:                                ;   in Loop: Header=BB43_7 Depth=2
	global_load_dwordx2 v[2:3], v[0:1], off
.LBB43_9:                               ;   in Loop: Header=BB43_7 Depth=2
	s_andn2_saveexec_b64 s[4:5], s[4:5]
	s_cbranch_execz .LBB43_11
; %bb.10:                               ;   in Loop: Header=BB43_7 Depth=2
	v_cndmask_b32_e64 v7, 0, v37, s[12:13]
	s_waitcnt vmcnt(0)
	v_mov_b64_e32 v[2:3], v[6:7]
.LBB43_11:                              ;   in Loop: Header=BB43_7 Depth=2
	s_or_b64 exec, exec, s[4:5]
	v_cmp_eq_u64_e64 s[4:5], s[40:41], v[22:23]
	s_and_b64 s[18:19], s[38:39], s[4:5]
	v_cmp_lt_i64_e64 s[4:5], v[16:17], v[54:55]
	s_or_b64 s[4:5], s[16:17], s[4:5]
	s_or_b64 s[4:5], s[4:5], s[18:19]
	s_waitcnt vmcnt(0)
	ds_write_b64 v41, v[2:3]
	s_nor_b64 s[4:5], s[20:21], s[4:5]
	v_lshl_add_u64 v[2:3], v[34:35], 0, s[36:37]
	s_and_saveexec_b64 s[16:17], s[4:5]
	s_xor_b64 s[4:5], exec, s[16:17]
	s_cbranch_execz .LBB43_13
; %bb.12:                               ;   in Loop: Header=BB43_7 Depth=2
	global_load_dwordx2 v[62:63], v[2:3], off
	s_waitcnt vmcnt(0)
	ds_write_b64 v41, v[62:63] offset:128
.LBB43_13:                              ;   in Loop: Header=BB43_7 Depth=2
	s_andn2_saveexec_b64 s[4:5], s[4:5]
	s_cbranch_execz .LBB43_19
; %bb.14:                               ;   in Loop: Header=BB43_7 Depth=2
	s_xor_b64 s[16:17], s[18:19], -1
	s_and_saveexec_b64 s[18:19], s[16:17]
	s_xor_b64 s[16:17], exec, s[18:19]
; %bb.15:                               ;   in Loop: Header=BB43_7 Depth=2
	ds_write_b64 v41, v[38:39] offset:128
; %bb.16:                               ;   in Loop: Header=BB43_7 Depth=2
	s_andn2_saveexec_b64 s[16:17], s[16:17]
; %bb.17:                               ;   in Loop: Header=BB43_7 Depth=2
	ds_write_b64 v41, v[36:37] offset:128
; %bb.18:                               ;   in Loop: Header=BB43_7 Depth=2
	s_or_b64 exec, exec, s[16:17]
.LBB43_19:                              ;   in Loop: Header=BB43_7 Depth=2
	s_or_b64 exec, exec, s[4:5]
	v_lshl_add_u64 v[54:55], v[54:55], 0, 16
	v_cmp_eq_u64_e64 s[4:5], s[40:41], v[24:25]
	v_cmp_le_i64_e64 s[16:17], s[42:43], v[54:55]
	s_and_b64 s[18:19], s[38:39], s[4:5]
	v_cmp_gt_i64_e64 s[4:5], v[54:55], v[10:11]
	s_or_b64 s[4:5], s[16:17], s[4:5]
	s_or_b64 s[4:5], s[4:5], s[18:19]
	s_nor_b64 s[4:5], s[0:1], s[4:5]
                                        ; implicit-def: $vgpr54_vgpr55
	s_and_saveexec_b64 s[46:47], s[4:5]
	s_xor_b64 s[4:5], exec, s[46:47]
	s_cbranch_execz .LBB43_21
; %bb.20:                               ;   in Loop: Header=BB43_7 Depth=2
	global_load_dwordx2 v[54:55], v[0:1], off offset:128
.LBB43_21:                              ;   in Loop: Header=BB43_7 Depth=2
	s_andn2_saveexec_b64 s[4:5], s[4:5]
	s_cbranch_execz .LBB43_23
; %bb.22:                               ;   in Loop: Header=BB43_7 Depth=2
	v_cndmask_b32_e64 v7, 0, v37, s[18:19]
	s_waitcnt vmcnt(0)
	v_mov_b64_e32 v[54:55], v[6:7]
.LBB43_23:                              ;   in Loop: Header=BB43_7 Depth=2
	s_or_b64 exec, exec, s[4:5]
	s_or_b64 s[4:5], s[16:17], s[14:15]
	s_or_b64 s[4:5], s[4:5], s[12:13]
	s_nor_b64 s[4:5], s[20:21], s[4:5]
	s_waitcnt vmcnt(0)
	ds_write_b64 v41, v[54:55] offset:4096
	s_and_saveexec_b64 s[14:15], s[4:5]
	s_xor_b64 s[4:5], exec, s[14:15]
	s_cbranch_execz .LBB43_25
; %bb.24:                               ;   in Loop: Header=BB43_7 Depth=2
	global_load_dwordx2 v[0:1], v[2:3], off offset:128
	s_waitcnt vmcnt(0)
	ds_write_b64 v41, v[0:1] offset:4224
.LBB43_25:                              ;   in Loop: Header=BB43_7 Depth=2
	s_andn2_saveexec_b64 s[4:5], s[4:5]
	s_cbranch_execz .LBB43_31
; %bb.26:                               ;   in Loop: Header=BB43_7 Depth=2
	s_xor_b64 s[12:13], s[12:13], -1
	s_and_saveexec_b64 s[14:15], s[12:13]
	s_xor_b64 s[12:13], exec, s[14:15]
; %bb.27:                               ;   in Loop: Header=BB43_7 Depth=2
	ds_write_b64 v41, v[38:39] offset:4224
; %bb.28:                               ;   in Loop: Header=BB43_7 Depth=2
	s_andn2_saveexec_b64 s[12:13], s[12:13]
; %bb.29:                               ;   in Loop: Header=BB43_7 Depth=2
	ds_write_b64 v41, v[36:37] offset:4224
; %bb.30:                               ;   in Loop: Header=BB43_7 Depth=2
	s_or_b64 exec, exec, s[12:13]
.LBB43_31:                              ;   in Loop: Header=BB43_7 Depth=2
	s_or_b64 exec, exec, s[4:5]
	v_lshl_add_u64 v[2:3], v[8:9], 0, s[40:41]
	v_cmp_gt_i64_e64 s[12:13], s[42:43], v[2:3]
	v_lshl_add_u64 v[0:1], v[50:51], 0, s[36:37]
	s_and_b64 s[14:15], vcc, s[12:13]
	v_mov_b64_e32 v[54:55], 0
	s_and_saveexec_b64 s[4:5], s[14:15]
	s_cbranch_execz .LBB43_33
; %bb.32:                               ;   in Loop: Header=BB43_7 Depth=2
	global_load_dwordx2 v[54:55], v[0:1], off offset:-128
.LBB43_33:                              ;   in Loop: Header=BB43_7 Depth=2
	s_or_b64 exec, exec, s[4:5]
	v_cmp_gt_i64_e64 s[14:15], s[52:53], v[2:3]
	s_and_b64 s[4:5], vcc, s[14:15]
	s_xor_b64 s[4:5], s[4:5], -1
	s_waitcnt vmcnt(0)
	ds_write_b64 v57, v[54:55]
	s_and_saveexec_b64 s[16:17], s[4:5]
	s_xor_b64 s[4:5], exec, s[16:17]
; %bb.34:                               ;   in Loop: Header=BB43_7 Depth=2
	ds_write_b64 v57, v[38:39] offset:128
                                        ; implicit-def: $vgpr0_vgpr1
; %bb.35:                               ;   in Loop: Header=BB43_7 Depth=2
	s_andn2_saveexec_b64 s[4:5], s[4:5]
	s_cbranch_execz .LBB43_37
; %bb.36:                               ;   in Loop: Header=BB43_7 Depth=2
	global_load_dwordx2 v[0:1], v[0:1], off
	s_waitcnt vmcnt(0)
	ds_write_b64 v57, v[0:1] offset:128
.LBB43_37:                              ;   in Loop: Header=BB43_7 Depth=2
	s_or_b64 exec, exec, s[4:5]
	v_lshl_add_u64 v[0:1], v[52:53], 0, s[36:37]
	s_and_b64 s[12:13], s[10:11], s[12:13]
	v_mov_b64_e32 v[2:3], 0
	s_and_saveexec_b64 s[4:5], s[12:13]
	s_cbranch_execz .LBB43_39
; %bb.38:                               ;   in Loop: Header=BB43_7 Depth=2
	global_load_dwordx2 v[2:3], v[0:1], off
.LBB43_39:                              ;   in Loop: Header=BB43_7 Depth=2
	s_or_b64 exec, exec, s[4:5]
	s_and_b64 s[4:5], s[10:11], s[14:15]
	s_xor_b64 s[4:5], s[4:5], -1
	s_waitcnt vmcnt(0)
	ds_write_b64 v57, v[2:3] offset:4096
	s_and_saveexec_b64 s[12:13], s[4:5]
	s_xor_b64 s[4:5], exec, s[12:13]
; %bb.40:                               ;   in Loop: Header=BB43_7 Depth=2
	ds_write_b64 v57, v[38:39] offset:4224
                                        ; implicit-def: $vgpr0_vgpr1
; %bb.41:                               ;   in Loop: Header=BB43_7 Depth=2
	s_andn2_saveexec_b64 s[4:5], s[4:5]
	s_cbranch_execz .LBB43_6
; %bb.42:                               ;   in Loop: Header=BB43_7 Depth=2
	global_load_dwordx2 v[0:1], v[0:1], off offset:128
	s_waitcnt vmcnt(0)
	ds_write_b64 v57, v[0:1] offset:4224
	s_branch .LBB43_6
.LBB43_43:                              ;   in Loop: Header=BB43_4 Depth=1
	v_mul_lo_u32 v2, s25, v40
	v_mul_lo_u32 v3, s24, v15
	v_mad_u64_u32 v[0:1], s[4:5], s24, v40, 0
	v_cmp_gt_i32_e32 vcc, s30, v40
	v_add3_u32 v1, v1, v3, v2
	v_lshl_add_u64 v[0:1], v[0:1], 3, s[26:27]
	s_and_b64 s[10:11], s[22:23], vcc
	s_and_saveexec_b64 s[4:5], s[10:11]
	s_cbranch_execz .LBB43_45
; %bb.44:                               ;   in Loop: Header=BB43_4 Depth=1
	v_lshl_add_u64 v[2:3], v[10:11], 3, v[0:1]
	global_load_dwordx2 v[50:51], v[2:3], off
	s_waitcnt vmcnt(0)
	v_fmac_f64_e32 v[50:51], s[34:35], v[48:49]
	global_store_dwordx2 v[2:3], v[50:51], off
.LBB43_45:                              ;   in Loop: Header=BB43_4 Depth=1
	s_or_b64 exec, exec, s[4:5]
	s_and_b64 s[10:11], s[6:7], vcc
	s_and_saveexec_b64 s[4:5], s[10:11]
	s_cbranch_execz .LBB43_47
; %bb.46:                               ;   in Loop: Header=BB43_4 Depth=1
	v_lshl_add_u64 v[0:1], v[18:19], 3, v[0:1]
	global_load_dwordx2 v[2:3], v[0:1], off
	s_waitcnt vmcnt(0)
	v_fmac_f64_e32 v[2:3], s[34:35], v[46:47]
	global_store_dwordx2 v[0:1], v[2:3], off
.LBB43_47:                              ;   in Loop: Header=BB43_4 Depth=1
	s_or_b64 exec, exec, s[4:5]
	v_add_u32_e32 v0, 16, v40
	v_ashrrev_i32_e32 v1, 31, v0
	v_cmp_gt_i32_e32 vcc, s30, v0
	v_mul_lo_u32 v2, s24, v1
	v_mul_lo_u32 v3, s25, v0
	v_mad_u64_u32 v[0:1], s[4:5], s24, v0, 0
	v_add3_u32 v1, v1, v2, v3
	v_lshl_add_u64 v[0:1], v[0:1], 3, s[26:27]
	s_and_b64 s[10:11], s[22:23], vcc
	s_and_saveexec_b64 s[4:5], s[10:11]
	s_cbranch_execz .LBB43_49
; %bb.48:                               ;   in Loop: Header=BB43_4 Depth=1
	v_lshl_add_u64 v[2:3], v[10:11], 3, v[0:1]
	global_load_dwordx2 v[46:47], v[2:3], off
	s_waitcnt vmcnt(0)
	v_fmac_f64_e32 v[46:47], s[34:35], v[44:45]
	global_store_dwordx2 v[2:3], v[46:47], off
.LBB43_49:                              ;   in Loop: Header=BB43_4 Depth=1
	s_or_b64 exec, exec, s[4:5]
	s_and_b64 s[10:11], s[6:7], vcc
	s_and_saveexec_b64 s[4:5], s[10:11]
	s_cbranch_execz .LBB43_3
; %bb.50:                               ;   in Loop: Header=BB43_4 Depth=1
	v_lshl_add_u64 v[0:1], v[18:19], 3, v[0:1]
	global_load_dwordx2 v[2:3], v[0:1], off
	s_waitcnt vmcnt(0)
	v_fmac_f64_e32 v[2:3], s[34:35], v[42:43]
	global_store_dwordx2 v[0:1], v[2:3], off
	s_branch .LBB43_3
.LBB43_51:
	s_endpgm
	.section	.rodata,"a",@progbits
	.p2align	6, 0x0
	.amdhsa_kernel _ZL30rocblas_trmm_outofplace_kernelIdLi32ELi2ELb1ELb1ELb1ELb0EdKddEv17rocblas_diagonal_iiT6_lPT7_lllS4_lllPT8_llli
		.amdhsa_group_segment_fixed_size 16384
		.amdhsa_private_segment_fixed_size 0
		.amdhsa_kernarg_size 392
		.amdhsa_user_sgpr_count 2
		.amdhsa_user_sgpr_dispatch_ptr 0
		.amdhsa_user_sgpr_queue_ptr 0
		.amdhsa_user_sgpr_kernarg_segment_ptr 1
		.amdhsa_user_sgpr_dispatch_id 0
		.amdhsa_user_sgpr_kernarg_preload_length 0
		.amdhsa_user_sgpr_kernarg_preload_offset 0
		.amdhsa_user_sgpr_private_segment_size 0
		.amdhsa_uses_dynamic_stack 0
		.amdhsa_enable_private_segment 0
		.amdhsa_system_sgpr_workgroup_id_x 1
		.amdhsa_system_sgpr_workgroup_id_y 1
		.amdhsa_system_sgpr_workgroup_id_z 1
		.amdhsa_system_sgpr_workgroup_info 0
		.amdhsa_system_vgpr_workitem_id 1
		.amdhsa_next_free_vgpr 82
		.amdhsa_next_free_sgpr 55
		.amdhsa_accum_offset 84
		.amdhsa_reserve_vcc 1
		.amdhsa_float_round_mode_32 0
		.amdhsa_float_round_mode_16_64 0
		.amdhsa_float_denorm_mode_32 3
		.amdhsa_float_denorm_mode_16_64 3
		.amdhsa_dx10_clamp 1
		.amdhsa_ieee_mode 1
		.amdhsa_fp16_overflow 0
		.amdhsa_tg_split 0
		.amdhsa_exception_fp_ieee_invalid_op 0
		.amdhsa_exception_fp_denorm_src 0
		.amdhsa_exception_fp_ieee_div_zero 0
		.amdhsa_exception_fp_ieee_overflow 0
		.amdhsa_exception_fp_ieee_underflow 0
		.amdhsa_exception_fp_ieee_inexact 0
		.amdhsa_exception_int_div_zero 0
	.end_amdhsa_kernel
	.section	.text._ZL30rocblas_trmm_outofplace_kernelIdLi32ELi2ELb1ELb1ELb1ELb0EdKddEv17rocblas_diagonal_iiT6_lPT7_lllS4_lllPT8_llli,"axG",@progbits,_ZL30rocblas_trmm_outofplace_kernelIdLi32ELi2ELb1ELb1ELb1ELb0EdKddEv17rocblas_diagonal_iiT6_lPT7_lllS4_lllPT8_llli,comdat
.Lfunc_end43:
	.size	_ZL30rocblas_trmm_outofplace_kernelIdLi32ELi2ELb1ELb1ELb1ELb0EdKddEv17rocblas_diagonal_iiT6_lPT7_lllS4_lllPT8_llli, .Lfunc_end43-_ZL30rocblas_trmm_outofplace_kernelIdLi32ELi2ELb1ELb1ELb1ELb0EdKddEv17rocblas_diagonal_iiT6_lPT7_lllS4_lllPT8_llli
                                        ; -- End function
	.set _ZL30rocblas_trmm_outofplace_kernelIdLi32ELi2ELb1ELb1ELb1ELb0EdKddEv17rocblas_diagonal_iiT6_lPT7_lllS4_lllPT8_llli.num_vgpr, 82
	.set _ZL30rocblas_trmm_outofplace_kernelIdLi32ELi2ELb1ELb1ELb1ELb0EdKddEv17rocblas_diagonal_iiT6_lPT7_lllS4_lllPT8_llli.num_agpr, 0
	.set _ZL30rocblas_trmm_outofplace_kernelIdLi32ELi2ELb1ELb1ELb1ELb0EdKddEv17rocblas_diagonal_iiT6_lPT7_lllS4_lllPT8_llli.numbered_sgpr, 55
	.set _ZL30rocblas_trmm_outofplace_kernelIdLi32ELi2ELb1ELb1ELb1ELb0EdKddEv17rocblas_diagonal_iiT6_lPT7_lllS4_lllPT8_llli.num_named_barrier, 0
	.set _ZL30rocblas_trmm_outofplace_kernelIdLi32ELi2ELb1ELb1ELb1ELb0EdKddEv17rocblas_diagonal_iiT6_lPT7_lllS4_lllPT8_llli.private_seg_size, 0
	.set _ZL30rocblas_trmm_outofplace_kernelIdLi32ELi2ELb1ELb1ELb1ELb0EdKddEv17rocblas_diagonal_iiT6_lPT7_lllS4_lllPT8_llli.uses_vcc, 1
	.set _ZL30rocblas_trmm_outofplace_kernelIdLi32ELi2ELb1ELb1ELb1ELb0EdKddEv17rocblas_diagonal_iiT6_lPT7_lllS4_lllPT8_llli.uses_flat_scratch, 0
	.set _ZL30rocblas_trmm_outofplace_kernelIdLi32ELi2ELb1ELb1ELb1ELb0EdKddEv17rocblas_diagonal_iiT6_lPT7_lllS4_lllPT8_llli.has_dyn_sized_stack, 0
	.set _ZL30rocblas_trmm_outofplace_kernelIdLi32ELi2ELb1ELb1ELb1ELb0EdKddEv17rocblas_diagonal_iiT6_lPT7_lllS4_lllPT8_llli.has_recursion, 0
	.set _ZL30rocblas_trmm_outofplace_kernelIdLi32ELi2ELb1ELb1ELb1ELb0EdKddEv17rocblas_diagonal_iiT6_lPT7_lllS4_lllPT8_llli.has_indirect_call, 0
	.section	.AMDGPU.csdata,"",@progbits
; Kernel info:
; codeLenInByte = 3040
; TotalNumSgprs: 61
; NumVgprs: 82
; NumAgprs: 0
; TotalNumVgprs: 82
; ScratchSize: 0
; MemoryBound: 0
; FloatMode: 240
; IeeeMode: 1
; LDSByteSize: 16384 bytes/workgroup (compile time only)
; SGPRBlocks: 7
; VGPRBlocks: 10
; NumSGPRsForWavesPerEU: 61
; NumVGPRsForWavesPerEU: 82
; AccumOffset: 84
; Occupancy: 5
; WaveLimiterHint : 0
; COMPUTE_PGM_RSRC2:SCRATCH_EN: 0
; COMPUTE_PGM_RSRC2:USER_SGPR: 2
; COMPUTE_PGM_RSRC2:TRAP_HANDLER: 0
; COMPUTE_PGM_RSRC2:TGID_X_EN: 1
; COMPUTE_PGM_RSRC2:TGID_Y_EN: 1
; COMPUTE_PGM_RSRC2:TGID_Z_EN: 1
; COMPUTE_PGM_RSRC2:TIDIG_COMP_CNT: 1
; COMPUTE_PGM_RSRC3_GFX90A:ACCUM_OFFSET: 20
; COMPUTE_PGM_RSRC3_GFX90A:TG_SPLIT: 0
	.section	.text._ZL30rocblas_trmm_outofplace_kernelIdLi32ELi2ELb1ELb0ELb1ELb1EPKdS0_dEv17rocblas_diagonal_iiT6_lPT7_lllS5_lllPT8_llli,"axG",@progbits,_ZL30rocblas_trmm_outofplace_kernelIdLi32ELi2ELb1ELb0ELb1ELb1EPKdS0_dEv17rocblas_diagonal_iiT6_lPT7_lllS5_lllPT8_llli,comdat
	.globl	_ZL30rocblas_trmm_outofplace_kernelIdLi32ELi2ELb1ELb0ELb1ELb1EPKdS0_dEv17rocblas_diagonal_iiT6_lPT7_lllS5_lllPT8_llli ; -- Begin function _ZL30rocblas_trmm_outofplace_kernelIdLi32ELi2ELb1ELb0ELb1ELb1EPKdS0_dEv17rocblas_diagonal_iiT6_lPT7_lllS5_lllPT8_llli
	.p2align	8
	.type	_ZL30rocblas_trmm_outofplace_kernelIdLi32ELi2ELb1ELb0ELb1ELb1EPKdS0_dEv17rocblas_diagonal_iiT6_lPT7_lllS5_lllPT8_llli,@function
_ZL30rocblas_trmm_outofplace_kernelIdLi32ELi2ELb1ELb0ELb1ELb1EPKdS0_dEv17rocblas_diagonal_iiT6_lPT7_lllS5_lllPT8_llli: ; @_ZL30rocblas_trmm_outofplace_kernelIdLi32ELi2ELb1ELb0ELb1ELb1EPKdS0_dEv17rocblas_diagonal_iiT6_lPT7_lllS5_lllPT8_llli
; %bb.0:
	s_load_dwordx16 s[36:51], s[0:1], 0x10
	s_waitcnt lgkmcnt(0)
	s_mul_i32 s5, s39, s4
	s_mul_hi_u32 s6, s38, s4
	s_add_i32 s7, s6, s5
	s_mul_i32 s6, s38, s4
	s_lshl_b64 s[6:7], s[6:7], 3
	s_add_u32 s6, s36, s6
	s_addc_u32 s7, s37, s7
	s_load_dwordx2 s[22:23], s[6:7], 0x0
	s_waitcnt lgkmcnt(0)
	v_cmp_eq_f64_e64 s[6:7], s[22:23], 0
	s_and_b64 vcc, exec, s[6:7]
	s_cbranch_vccnz .LBB44_52
; %bb.1:
	s_load_dwordx4 s[36:39], s[0:1], 0x0
	s_waitcnt lgkmcnt(0)
	s_add_i32 s5, s38, -1
	s_ashr_i32 s6, s5, 31
	s_lshr_b32 s6, s6, 27
	s_add_i32 s5, s5, s6
	s_ashr_i32 s33, s5, 5
	s_cmp_gt_i32 s3, s33
	s_cbranch_scc1 .LBB44_52
; %bb.2:
	s_load_dwordx8 s[24:31], s[0:1], 0x50
	s_load_dwordx4 s[52:55], s[0:1], 0x70
	s_mul_i32 s5, s47, s4
	s_mul_hi_u32 s6, s46, s4
	s_add_i32 s7, s6, s5
	s_mul_i32 s6, s46, s4
	s_lshl_b64 s[8:9], s[6:7], 3
	s_add_u32 s5, s40, s8
	s_addc_u32 s7, s41, s9
	s_lshl_b64 s[10:11], s[42:43], 3
	s_add_u32 s6, s5, s10
	s_load_dword s39, s[0:1], 0x8c
	s_waitcnt lgkmcnt(0)
	s_mul_i32 s0, s55, s4
	s_mul_hi_u32 s1, s54, s4
	s_addc_u32 s7, s7, s11
	s_add_i32 s1, s1, s0
	s_mul_i32 s0, s54, s4
	s_lshl_b64 s[0:1], s[0:1], 3
	s_add_u32 s5, s28, s0
	s_addc_u32 s12, s29, s1
	s_lshl_b64 s[0:1], s[30:31], 3
	s_add_u32 s28, s5, s0
	v_bfe_u32 v52, v0, 10, 10
	s_addc_u32 s29, s12, s1
	s_lshl_b32 s2, s2, 5
	v_and_b32_e32 v10, 0x3ff, v0
	v_add_u32_e32 v4, s2, v52
	v_add_u32_e32 v6, s2, v10
	s_sub_i32 s2, s37, s2
	s_cmp_gt_i32 s2, 0
	s_cselect_b64 s[30:31], -1, 0
	s_cmpk_eq_i32 s36, 0x84
	s_cselect_b64 s[34:35], -1, 0
	s_ashr_i32 s43, s37, 31
	s_ashr_i32 s54, s38, 31
	s_add_u32 s46, s37, -16
	s_mul_i32 s5, s27, s4
	s_mul_hi_u32 s12, s26, s4
	v_ashrrev_i32_e32 v7, 31, v6
	s_addc_u32 s47, s43, -1
	s_add_i32 s5, s12, s5
	s_mul_i32 s4, s26, s4
	v_mul_lo_u32 v2, s44, v7
	v_mul_lo_u32 v3, s45, v6
	v_mad_u64_u32 v[0:1], s[0:1], s44, v6, 0
	s_lshl_b64 s[4:5], s[4:5], 3
	s_lshl_b64 s[12:13], s[50:51], 3
	v_ashrrev_i32_e32 v5, 31, v4
	v_add3_u32 v1, v1, v2, v3
	s_add_u32 s4, s4, s12
	v_lshl_add_u64 v[0:1], v[0:1], 3, s[6:7]
	v_lshlrev_b64 v[2:3], 3, v[4:5]
	s_addc_u32 s5, s5, s13
	v_lshl_add_u64 v[8:9], v[0:1], 0, v[2:3]
	v_lshlrev_b32_e32 v0, 8, v52
	v_lshlrev_b32_e32 v53, 3, v10
	s_add_u32 s4, s48, s4
	v_add_u32_e32 v54, v53, v0
	v_add_u32_e32 v55, 0x2000, v0
	v_lshlrev_b64 v[0:1], 3, v[6:7]
	s_addc_u32 s5, s49, s5
	v_lshl_add_u64 v[20:21], s[4:5], 0, v[0:1]
	s_mov_b64 s[4:5], 0x80
	s_lshl_b64 s[26:27], s[24:25], 3
	s_lshl_b32 s48, s39, 5
	v_lshl_add_u64 v[22:23], v[20:21], 0, s[4:5]
	v_lshl_add_u64 v[0:1], v[0:1], 0, s[4:5]
	s_add_u32 s4, s10, s8
	s_addc_u32 s5, s11, s9
	v_mov_b64_e32 v[26:27], s[4:5]
	v_mul_lo_u32 v25, s44, v1
	v_mul_lo_u32 v28, s45, v0
	v_mad_u64_u32 v[0:1], s[4:5], s44, v0, v[26:27]
	v_sub_co_u32_e32 v14, vcc, v6, v4
	v_add3_u32 v1, v28, v1, v25
	s_mov_b32 s42, s37
	v_lshl_add_u64 v[10:11], v[6:7], 0, 16
	v_add_u32_e32 v12, 16, v6
	v_subb_co_u32_e32 v15, vcc, v7, v5, vcc
	v_lshl_add_u64 v[0:1], v[0:1], 0, v[2:3]
	v_mov_b32_e32 v28, 0
	v_add_u32_e32 v56, v55, v53
	v_cmp_le_i32_e64 s[0:1], s37, v6
	v_cmp_le_i64_e64 s[18:19], s[42:43], v[10:11]
	v_cmp_gt_i32_e64 s[20:21], s37, v6
	v_cmp_gt_i32_e64 s[6:7], s37, v12
	v_ashrrev_i32_e32 v13, 31, v12
	v_lshl_add_u64 v[16:17], v[14:15], 0, 16
	v_lshl_add_u64 v[18:19], v[14:15], 0, -16
	v_lshl_add_u32 v24, s3, 5, v52
	v_lshl_add_u64 v[26:27], s[40:41], 0, v[0:1]
	v_mov_b64_e32 v[30:31], 0x80
	v_mov_b32_e32 v33, 0x3ff00000
	v_mov_b32_e32 v34, 0
	;; [unrolled: 1-line block ×4, first 2 shown]
	v_add_u32_e32 v57, 0x800, v53
	v_add_u32_e32 v58, 0x1000, v53
	v_add_u32_e32 v59, 0x1800, v53
	s_branch .LBB44_4
.LBB44_3:                               ;   in Loop: Header=BB44_4 Depth=1
	s_or_b64 exec, exec, s[4:5]
	s_add_i32 s3, s39, s3
	s_cmp_le_i32 s3, s33
	v_add_u32_e32 v24, s48, v24
	s_cbranch_scc0 .LBB44_52
.LBB44_4:                               ; =>This Loop Header: Depth=1
                                        ;     Child Loop BB44_7 Depth 2
	v_lshl_add_u32 v36, s3, 5, v52
	s_andn2_b64 vcc, exec, s[30:31]
	v_ashrrev_i32_e32 v37, 31, v36
	s_cbranch_vccnz .LBB44_43
; %bb.5:                                ;   in Loop: Header=BB44_4 Depth=1
	v_ashrrev_i32_e32 v25, 31, v24
	v_mad_u64_u32 v[46:47], s[4:5], s26, v24, v[22:23]
	v_mul_lo_u32 v0, s27, v24
	v_mul_lo_u32 v1, s26, v25
	v_add3_u32 v47, v0, v47, v1
	v_lshl_add_u64 v[0:1], v[24:25], 3, v[30:31]
	v_mul_lo_u32 v1, s24, v1
	v_mul_lo_u32 v2, s25, v0
	v_mad_u64_u32 v[48:49], s[4:5], s24, v0, v[20:21]
	v_add3_u32 v49, v2, v49, v1
	v_mov_b32_e32 v1, s54
	v_sub_co_u32_e32 v0, vcc, s38, v36
	s_mov_b64 s[36:37], 0
	s_nop 0
	v_subb_co_u32_e32 v1, vcc, v1, v37, vcc
	v_cmp_lt_i64_e32 vcc, 0, v[0:1]
	v_cmp_lt_i64_e64 s[8:9], 16, v[0:1]
	v_mov_b64_e32 v[38:39], 0
	s_mov_b64 s[40:41], 0
	v_mov_b64_e32 v[40:41], 0
	v_mov_b64_e32 v[42:43], 0
	;; [unrolled: 1-line block ×3, first 2 shown]
	s_branch .LBB44_7
.LBB44_6:                               ;   in Loop: Header=BB44_7 Depth=2
	s_or_b64 exec, exec, s[4:5]
	s_waitcnt lgkmcnt(0)
	s_barrier
	ds_read_b128 v[60:63], v55
	ds_read_b128 v[64:67], v55 offset:16
	ds_read_b128 v[68:71], v55 offset:32
	;; [unrolled: 1-line block ×3, first 2 shown]
	ds_read2_b64 v[72:75], v53 offset1:16
	ds_read_b128 v[76:79], v55 offset:4096
	s_add_u32 s40, s40, 32
	s_addc_u32 s41, s41, 0
	s_add_u32 s36, s36, 0x100
	s_waitcnt lgkmcnt(1)
	v_fmac_f64_e32 v[44:45], v[72:73], v[60:61]
	v_fmac_f64_e32 v[42:43], v[74:75], v[60:61]
	s_waitcnt lgkmcnt(0)
	v_fmac_f64_e32 v[40:41], v[72:73], v[76:77]
	v_fmac_f64_e32 v[38:39], v[74:75], v[76:77]
	ds_read2_b64 v[72:75], v53 offset0:32 offset1:48
	s_addc_u32 s37, s37, 0
	s_cmp_ge_i32 s40, s2
	s_waitcnt lgkmcnt(0)
	v_fmac_f64_e32 v[44:45], v[72:73], v[62:63]
	v_fmac_f64_e32 v[42:43], v[74:75], v[62:63]
	v_fmac_f64_e32 v[40:41], v[72:73], v[78:79]
	v_fmac_f64_e32 v[38:39], v[74:75], v[78:79]
	ds_read2_b64 v[60:63], v53 offset0:64 offset1:80
	ds_read_b128 v[72:75], v55 offset:4112
	s_waitcnt lgkmcnt(1)
	v_fmac_f64_e32 v[44:45], v[60:61], v[64:65]
	v_fmac_f64_e32 v[42:43], v[62:63], v[64:65]
	s_waitcnt lgkmcnt(0)
	v_fmac_f64_e32 v[40:41], v[60:61], v[72:73]
	v_fmac_f64_e32 v[38:39], v[62:63], v[72:73]
	ds_read2_b64 v[60:63], v53 offset0:96 offset1:112
	s_waitcnt lgkmcnt(0)
	v_fmac_f64_e32 v[44:45], v[60:61], v[66:67]
	v_fmac_f64_e32 v[42:43], v[62:63], v[66:67]
	v_fmac_f64_e32 v[40:41], v[60:61], v[74:75]
	v_fmac_f64_e32 v[38:39], v[62:63], v[74:75]
	ds_read2_b64 v[60:63], v53 offset0:128 offset1:144
	ds_read_b128 v[64:67], v55 offset:4128
	s_waitcnt lgkmcnt(1)
	v_fmac_f64_e32 v[44:45], v[60:61], v[68:69]
	v_fmac_f64_e32 v[42:43], v[62:63], v[68:69]
	s_waitcnt lgkmcnt(0)
	v_fmac_f64_e32 v[40:41], v[60:61], v[64:65]
	v_fmac_f64_e32 v[38:39], v[62:63], v[64:65]
	ds_read2_b64 v[60:63], v53 offset0:160 offset1:176
	;; [unrolled: 14-line block ×3, first 2 shown]
	s_waitcnt lgkmcnt(0)
	v_fmac_f64_e32 v[44:45], v[60:61], v[2:3]
	v_fmac_f64_e32 v[42:43], v[62:63], v[2:3]
	v_fmac_f64_e32 v[40:41], v[60:61], v[66:67]
	v_fmac_f64_e32 v[38:39], v[62:63], v[66:67]
	ds_read_b128 v[0:3], v55 offset:64
	ds_read2_b64 v[60:63], v57 offset1:16
	ds_read_b128 v[64:67], v55 offset:4160
	s_waitcnt lgkmcnt(1)
	v_fmac_f64_e32 v[44:45], v[60:61], v[0:1]
	v_fmac_f64_e32 v[42:43], v[62:63], v[0:1]
	s_waitcnt lgkmcnt(0)
	v_fmac_f64_e32 v[40:41], v[60:61], v[64:65]
	v_fmac_f64_e32 v[38:39], v[62:63], v[64:65]
	ds_read2_b64 v[60:63], v57 offset0:32 offset1:48
	s_waitcnt lgkmcnt(0)
	v_fmac_f64_e32 v[44:45], v[60:61], v[2:3]
	v_fmac_f64_e32 v[42:43], v[62:63], v[2:3]
	v_fmac_f64_e32 v[40:41], v[60:61], v[66:67]
	v_fmac_f64_e32 v[38:39], v[62:63], v[66:67]
	ds_read_b128 v[0:3], v55 offset:80
	ds_read2_b64 v[60:63], v57 offset0:64 offset1:80
	ds_read_b128 v[64:67], v55 offset:4176
	s_waitcnt lgkmcnt(1)
	v_fmac_f64_e32 v[44:45], v[60:61], v[0:1]
	v_fmac_f64_e32 v[42:43], v[62:63], v[0:1]
	s_waitcnt lgkmcnt(0)
	v_fmac_f64_e32 v[40:41], v[60:61], v[64:65]
	v_fmac_f64_e32 v[38:39], v[62:63], v[64:65]
	ds_read2_b64 v[60:63], v57 offset0:96 offset1:112
	s_waitcnt lgkmcnt(0)
	v_fmac_f64_e32 v[44:45], v[60:61], v[2:3]
	v_fmac_f64_e32 v[42:43], v[62:63], v[2:3]
	v_fmac_f64_e32 v[40:41], v[60:61], v[66:67]
	v_fmac_f64_e32 v[38:39], v[62:63], v[66:67]
	ds_read_b128 v[0:3], v55 offset:96
	ds_read2_b64 v[60:63], v57 offset0:128 offset1:144
	ds_read_b128 v[64:67], v55 offset:4192
	s_waitcnt lgkmcnt(1)
	v_fmac_f64_e32 v[44:45], v[60:61], v[0:1]
	v_fmac_f64_e32 v[42:43], v[62:63], v[0:1]
	s_waitcnt lgkmcnt(0)
	v_fmac_f64_e32 v[40:41], v[60:61], v[64:65]
	v_fmac_f64_e32 v[38:39], v[62:63], v[64:65]
	ds_read2_b64 v[60:63], v57 offset0:160 offset1:176
	s_waitcnt lgkmcnt(0)
	v_fmac_f64_e32 v[44:45], v[60:61], v[2:3]
	v_fmac_f64_e32 v[42:43], v[62:63], v[2:3]
	v_fmac_f64_e32 v[40:41], v[60:61], v[66:67]
	v_fmac_f64_e32 v[38:39], v[62:63], v[66:67]
	ds_read_b128 v[0:3], v55 offset:112
	ds_read2_b64 v[60:63], v57 offset0:192 offset1:208
	ds_read_b128 v[64:67], v55 offset:4208
	s_waitcnt lgkmcnt(1)
	v_fmac_f64_e32 v[44:45], v[60:61], v[0:1]
	v_fmac_f64_e32 v[42:43], v[62:63], v[0:1]
	s_waitcnt lgkmcnt(0)
	v_fmac_f64_e32 v[40:41], v[60:61], v[64:65]
	v_fmac_f64_e32 v[38:39], v[62:63], v[64:65]
	ds_read2_b64 v[60:63], v57 offset0:224 offset1:240
	s_waitcnt lgkmcnt(0)
	v_fmac_f64_e32 v[44:45], v[60:61], v[2:3]
	v_fmac_f64_e32 v[42:43], v[62:63], v[2:3]
	v_fmac_f64_e32 v[40:41], v[60:61], v[66:67]
	v_fmac_f64_e32 v[38:39], v[62:63], v[66:67]
	ds_read_b128 v[0:3], v55 offset:128
	ds_read2_b64 v[60:63], v58 offset1:16
	ds_read_b128 v[64:67], v55 offset:4224
	s_waitcnt lgkmcnt(1)
	v_fmac_f64_e32 v[44:45], v[60:61], v[0:1]
	v_fmac_f64_e32 v[42:43], v[62:63], v[0:1]
	s_waitcnt lgkmcnt(0)
	v_fmac_f64_e32 v[40:41], v[60:61], v[64:65]
	v_fmac_f64_e32 v[38:39], v[62:63], v[64:65]
	ds_read2_b64 v[60:63], v58 offset0:32 offset1:48
	s_waitcnt lgkmcnt(0)
	v_fmac_f64_e32 v[44:45], v[60:61], v[2:3]
	v_fmac_f64_e32 v[42:43], v[62:63], v[2:3]
	v_fmac_f64_e32 v[40:41], v[60:61], v[66:67]
	v_fmac_f64_e32 v[38:39], v[62:63], v[66:67]
	ds_read_b128 v[0:3], v55 offset:144
	ds_read2_b64 v[60:63], v58 offset0:64 offset1:80
	ds_read_b128 v[64:67], v55 offset:4240
	s_waitcnt lgkmcnt(1)
	v_fmac_f64_e32 v[44:45], v[60:61], v[0:1]
	v_fmac_f64_e32 v[42:43], v[62:63], v[0:1]
	s_waitcnt lgkmcnt(0)
	v_fmac_f64_e32 v[40:41], v[60:61], v[64:65]
	v_fmac_f64_e32 v[38:39], v[62:63], v[64:65]
	ds_read2_b64 v[60:63], v58 offset0:96 offset1:112
	s_waitcnt lgkmcnt(0)
	v_fmac_f64_e32 v[44:45], v[60:61], v[2:3]
	v_fmac_f64_e32 v[42:43], v[62:63], v[2:3]
	v_fmac_f64_e32 v[40:41], v[60:61], v[66:67]
	v_fmac_f64_e32 v[38:39], v[62:63], v[66:67]
	ds_read_b128 v[0:3], v55 offset:160
	ds_read2_b64 v[60:63], v58 offset0:128 offset1:144
	ds_read_b128 v[64:67], v55 offset:4256
	s_waitcnt lgkmcnt(1)
	v_fmac_f64_e32 v[44:45], v[60:61], v[0:1]
	v_fmac_f64_e32 v[42:43], v[62:63], v[0:1]
	s_waitcnt lgkmcnt(0)
	v_fmac_f64_e32 v[40:41], v[60:61], v[64:65]
	v_fmac_f64_e32 v[38:39], v[62:63], v[64:65]
	ds_read2_b64 v[60:63], v58 offset0:160 offset1:176
	s_waitcnt lgkmcnt(0)
	v_fmac_f64_e32 v[44:45], v[60:61], v[2:3]
	v_fmac_f64_e32 v[42:43], v[62:63], v[2:3]
	v_fmac_f64_e32 v[40:41], v[60:61], v[66:67]
	v_fmac_f64_e32 v[38:39], v[62:63], v[66:67]
	ds_read_b128 v[0:3], v55 offset:176
	ds_read2_b64 v[60:63], v58 offset0:192 offset1:208
	ds_read_b128 v[64:67], v55 offset:4272
	s_waitcnt lgkmcnt(1)
	v_fmac_f64_e32 v[44:45], v[60:61], v[0:1]
	v_fmac_f64_e32 v[42:43], v[62:63], v[0:1]
	s_waitcnt lgkmcnt(0)
	v_fmac_f64_e32 v[40:41], v[60:61], v[64:65]
	v_fmac_f64_e32 v[38:39], v[62:63], v[64:65]
	ds_read2_b64 v[60:63], v58 offset0:224 offset1:240
	;; [unrolled: 60-line block ×3, first 2 shown]
	s_waitcnt lgkmcnt(0)
	s_barrier
	v_fmac_f64_e32 v[44:45], v[60:61], v[2:3]
	v_fmac_f64_e32 v[42:43], v[62:63], v[2:3]
	;; [unrolled: 1-line block ×4, first 2 shown]
	s_cbranch_scc1 .LBB44_44
.LBB44_7:                               ;   Parent Loop BB44_4 Depth=1
                                        ; =>  This Inner Loop Header: Depth=2
	v_lshl_add_u64 v[50:51], v[4:5], 0, s[40:41]
	v_cmp_le_i64_e64 s[14:15], s[42:43], v[50:51]
	v_cmp_eq_u64_e64 s[4:5], s[40:41], v[14:15]
	v_cmp_lt_i64_e64 s[12:13], v[50:51], v[6:7]
	s_and_b64 s[10:11], s[34:35], s[4:5]
	s_or_b64 s[4:5], s[14:15], s[12:13]
	s_or_b64 s[4:5], s[4:5], s[10:11]
	v_lshl_add_u64 v[0:1], v[8:9], 0, s[36:37]
	s_nor_b64 s[4:5], s[0:1], s[4:5]
                                        ; implicit-def: $vgpr2_vgpr3
	s_and_saveexec_b64 s[16:17], s[4:5]
	s_xor_b64 s[4:5], exec, s[16:17]
	s_cbranch_execz .LBB44_9
; %bb.8:                                ;   in Loop: Header=BB44_7 Depth=2
	global_load_dwordx2 v[2:3], v[0:1], off
.LBB44_9:                               ;   in Loop: Header=BB44_7 Depth=2
	s_andn2_saveexec_b64 s[4:5], s[4:5]
	s_cbranch_execz .LBB44_11
; %bb.10:                               ;   in Loop: Header=BB44_7 Depth=2
	v_cndmask_b32_e64 v29, 0, v33, s[10:11]
	s_waitcnt vmcnt(0)
	v_mov_b64_e32 v[2:3], v[28:29]
.LBB44_11:                              ;   in Loop: Header=BB44_7 Depth=2
	s_or_b64 exec, exec, s[4:5]
	v_cmp_eq_u64_e64 s[4:5], s[40:41], v[16:17]
	s_and_b64 s[16:17], s[34:35], s[4:5]
	v_cmp_gt_i64_e64 s[4:5], v[10:11], v[50:51]
	s_or_b64 s[4:5], s[14:15], s[4:5]
	s_or_b64 s[4:5], s[4:5], s[16:17]
	s_waitcnt vmcnt(0)
	ds_write_b64 v54, v[2:3]
	s_nor_b64 s[4:5], s[18:19], s[4:5]
	v_lshl_add_u64 v[2:3], v[26:27], 0, s[36:37]
	s_and_saveexec_b64 s[14:15], s[4:5]
	s_xor_b64 s[4:5], exec, s[14:15]
	s_cbranch_execz .LBB44_13
; %bb.12:                               ;   in Loop: Header=BB44_7 Depth=2
	global_load_dwordx2 v[60:61], v[2:3], off
	s_waitcnt vmcnt(0)
	ds_write_b64 v54, v[60:61] offset:128
.LBB44_13:                              ;   in Loop: Header=BB44_7 Depth=2
	s_andn2_saveexec_b64 s[4:5], s[4:5]
	s_cbranch_execz .LBB44_19
; %bb.14:                               ;   in Loop: Header=BB44_7 Depth=2
	s_xor_b64 s[14:15], s[16:17], -1
	s_and_saveexec_b64 s[16:17], s[14:15]
	s_xor_b64 s[14:15], exec, s[16:17]
; %bb.15:                               ;   in Loop: Header=BB44_7 Depth=2
	ds_write_b64 v54, v[34:35] offset:128
; %bb.16:                               ;   in Loop: Header=BB44_7 Depth=2
	s_andn2_saveexec_b64 s[14:15], s[14:15]
; %bb.17:                               ;   in Loop: Header=BB44_7 Depth=2
	ds_write_b64 v54, v[32:33] offset:128
; %bb.18:                               ;   in Loop: Header=BB44_7 Depth=2
	s_or_b64 exec, exec, s[14:15]
.LBB44_19:                              ;   in Loop: Header=BB44_7 Depth=2
	s_or_b64 exec, exec, s[4:5]
	v_lshl_add_u64 v[50:51], v[50:51], 0, 16
	v_cmp_eq_u64_e64 s[4:5], s[40:41], v[18:19]
	v_cmp_le_i64_e64 s[14:15], s[42:43], v[50:51]
	s_and_b64 s[16:17], s[34:35], s[4:5]
	v_cmp_lt_i64_e64 s[4:5], v[50:51], v[6:7]
	s_or_b64 s[4:5], s[14:15], s[4:5]
	s_or_b64 s[4:5], s[4:5], s[16:17]
	s_nor_b64 s[4:5], s[0:1], s[4:5]
                                        ; implicit-def: $vgpr50_vgpr51
	s_and_saveexec_b64 s[44:45], s[4:5]
	s_xor_b64 s[4:5], exec, s[44:45]
	s_cbranch_execz .LBB44_21
; %bb.20:                               ;   in Loop: Header=BB44_7 Depth=2
	global_load_dwordx2 v[50:51], v[0:1], off offset:128
.LBB44_21:                              ;   in Loop: Header=BB44_7 Depth=2
	s_andn2_saveexec_b64 s[4:5], s[4:5]
	s_cbranch_execz .LBB44_23
; %bb.22:                               ;   in Loop: Header=BB44_7 Depth=2
	v_cndmask_b32_e64 v29, 0, v33, s[16:17]
	s_waitcnt vmcnt(0)
	v_mov_b64_e32 v[50:51], v[28:29]
.LBB44_23:                              ;   in Loop: Header=BB44_7 Depth=2
	s_or_b64 exec, exec, s[4:5]
	s_or_b64 s[4:5], s[14:15], s[12:13]
	s_or_b64 s[4:5], s[4:5], s[10:11]
	s_nor_b64 s[4:5], s[18:19], s[4:5]
	s_waitcnt vmcnt(0)
	ds_write_b64 v54, v[50:51] offset:4096
	s_and_saveexec_b64 s[12:13], s[4:5]
	s_xor_b64 s[4:5], exec, s[12:13]
	s_cbranch_execz .LBB44_25
; %bb.24:                               ;   in Loop: Header=BB44_7 Depth=2
	global_load_dwordx2 v[0:1], v[2:3], off offset:128
	s_waitcnt vmcnt(0)
	ds_write_b64 v54, v[0:1] offset:4224
.LBB44_25:                              ;   in Loop: Header=BB44_7 Depth=2
	s_andn2_saveexec_b64 s[4:5], s[4:5]
	s_cbranch_execz .LBB44_31
; %bb.26:                               ;   in Loop: Header=BB44_7 Depth=2
	s_xor_b64 s[10:11], s[10:11], -1
	s_and_saveexec_b64 s[12:13], s[10:11]
	s_xor_b64 s[10:11], exec, s[12:13]
; %bb.27:                               ;   in Loop: Header=BB44_7 Depth=2
	ds_write_b64 v54, v[34:35] offset:4224
; %bb.28:                               ;   in Loop: Header=BB44_7 Depth=2
	s_andn2_saveexec_b64 s[10:11], s[10:11]
; %bb.29:                               ;   in Loop: Header=BB44_7 Depth=2
	ds_write_b64 v54, v[32:33] offset:4224
; %bb.30:                               ;   in Loop: Header=BB44_7 Depth=2
	s_or_b64 exec, exec, s[10:11]
.LBB44_31:                              ;   in Loop: Header=BB44_7 Depth=2
	s_or_b64 exec, exec, s[4:5]
	v_lshl_add_u64 v[2:3], v[6:7], 0, s[40:41]
	v_cmp_gt_i64_e64 s[10:11], s[42:43], v[2:3]
	v_lshl_add_u64 v[0:1], v[46:47], 0, s[36:37]
	s_and_b64 s[12:13], vcc, s[10:11]
	v_mov_b64_e32 v[50:51], 0
	s_and_saveexec_b64 s[4:5], s[12:13]
	s_cbranch_execz .LBB44_33
; %bb.32:                               ;   in Loop: Header=BB44_7 Depth=2
	global_load_dwordx2 v[50:51], v[0:1], off offset:-128
.LBB44_33:                              ;   in Loop: Header=BB44_7 Depth=2
	s_or_b64 exec, exec, s[4:5]
	v_cmp_gt_i64_e64 s[12:13], s[46:47], v[2:3]
	s_and_b64 s[4:5], vcc, s[12:13]
	s_xor_b64 s[4:5], s[4:5], -1
	s_waitcnt vmcnt(0)
	ds_write_b64 v56, v[50:51]
	s_and_saveexec_b64 s[14:15], s[4:5]
	s_xor_b64 s[4:5], exec, s[14:15]
; %bb.34:                               ;   in Loop: Header=BB44_7 Depth=2
	ds_write_b64 v56, v[34:35] offset:128
                                        ; implicit-def: $vgpr0_vgpr1
; %bb.35:                               ;   in Loop: Header=BB44_7 Depth=2
	s_andn2_saveexec_b64 s[4:5], s[4:5]
	s_cbranch_execz .LBB44_37
; %bb.36:                               ;   in Loop: Header=BB44_7 Depth=2
	global_load_dwordx2 v[0:1], v[0:1], off
	s_waitcnt vmcnt(0)
	ds_write_b64 v56, v[0:1] offset:128
.LBB44_37:                              ;   in Loop: Header=BB44_7 Depth=2
	s_or_b64 exec, exec, s[4:5]
	v_lshl_add_u64 v[0:1], v[48:49], 0, s[36:37]
	s_and_b64 s[10:11], s[8:9], s[10:11]
	v_mov_b64_e32 v[2:3], 0
	s_and_saveexec_b64 s[4:5], s[10:11]
	s_cbranch_execz .LBB44_39
; %bb.38:                               ;   in Loop: Header=BB44_7 Depth=2
	global_load_dwordx2 v[2:3], v[0:1], off
.LBB44_39:                              ;   in Loop: Header=BB44_7 Depth=2
	s_or_b64 exec, exec, s[4:5]
	s_and_b64 s[4:5], s[8:9], s[12:13]
	s_xor_b64 s[4:5], s[4:5], -1
	s_waitcnt vmcnt(0)
	ds_write_b64 v56, v[2:3] offset:4096
	s_and_saveexec_b64 s[10:11], s[4:5]
	s_xor_b64 s[4:5], exec, s[10:11]
; %bb.40:                               ;   in Loop: Header=BB44_7 Depth=2
	ds_write_b64 v56, v[34:35] offset:4224
                                        ; implicit-def: $vgpr0_vgpr1
; %bb.41:                               ;   in Loop: Header=BB44_7 Depth=2
	s_andn2_saveexec_b64 s[4:5], s[4:5]
	s_cbranch_execz .LBB44_6
; %bb.42:                               ;   in Loop: Header=BB44_7 Depth=2
	global_load_dwordx2 v[0:1], v[0:1], off offset:128
	s_waitcnt vmcnt(0)
	ds_write_b64 v56, v[0:1] offset:4224
	s_branch .LBB44_6
.LBB44_43:                              ;   in Loop: Header=BB44_4 Depth=1
	v_mov_b64_e32 v[44:45], 0
	v_mov_b64_e32 v[42:43], 0
	;; [unrolled: 1-line block ×4, first 2 shown]
.LBB44_44:                              ;   in Loop: Header=BB44_4 Depth=1
	v_mul_lo_u32 v2, s53, v36
	v_mul_lo_u32 v3, s52, v37
	v_mad_u64_u32 v[0:1], s[4:5], s52, v36, 0
	v_cmp_gt_i32_e32 vcc, s38, v36
	v_add3_u32 v1, v1, v3, v2
	v_lshl_add_u64 v[0:1], v[0:1], 3, s[28:29]
	s_and_b64 s[8:9], s[20:21], vcc
	s_and_saveexec_b64 s[4:5], s[8:9]
	s_cbranch_execz .LBB44_46
; %bb.45:                               ;   in Loop: Header=BB44_4 Depth=1
	v_lshl_add_u64 v[2:3], v[6:7], 3, v[0:1]
	global_load_dwordx2 v[46:47], v[2:3], off
	s_waitcnt vmcnt(0)
	v_fmac_f64_e32 v[46:47], s[22:23], v[44:45]
	global_store_dwordx2 v[2:3], v[46:47], off
.LBB44_46:                              ;   in Loop: Header=BB44_4 Depth=1
	s_or_b64 exec, exec, s[4:5]
	s_and_b64 s[8:9], s[6:7], vcc
	s_and_saveexec_b64 s[4:5], s[8:9]
	s_cbranch_execz .LBB44_48
; %bb.47:                               ;   in Loop: Header=BB44_4 Depth=1
	v_lshl_add_u64 v[0:1], v[12:13], 3, v[0:1]
	global_load_dwordx2 v[2:3], v[0:1], off
	s_waitcnt vmcnt(0)
	v_fmac_f64_e32 v[2:3], s[22:23], v[42:43]
	global_store_dwordx2 v[0:1], v[2:3], off
.LBB44_48:                              ;   in Loop: Header=BB44_4 Depth=1
	s_or_b64 exec, exec, s[4:5]
	v_add_u32_e32 v0, 16, v36
	v_ashrrev_i32_e32 v1, 31, v0
	v_cmp_gt_i32_e32 vcc, s38, v0
	v_mul_lo_u32 v2, s52, v1
	v_mul_lo_u32 v3, s53, v0
	v_mad_u64_u32 v[0:1], s[4:5], s52, v0, 0
	v_add3_u32 v1, v1, v2, v3
	v_lshl_add_u64 v[0:1], v[0:1], 3, s[28:29]
	s_and_b64 s[8:9], s[20:21], vcc
	s_and_saveexec_b64 s[4:5], s[8:9]
	s_cbranch_execz .LBB44_50
; %bb.49:                               ;   in Loop: Header=BB44_4 Depth=1
	v_lshl_add_u64 v[2:3], v[6:7], 3, v[0:1]
	global_load_dwordx2 v[36:37], v[2:3], off
	s_waitcnt vmcnt(0)
	v_fmac_f64_e32 v[36:37], s[22:23], v[40:41]
	global_store_dwordx2 v[2:3], v[36:37], off
.LBB44_50:                              ;   in Loop: Header=BB44_4 Depth=1
	s_or_b64 exec, exec, s[4:5]
	s_and_b64 s[8:9], s[6:7], vcc
	s_and_saveexec_b64 s[4:5], s[8:9]
	s_cbranch_execz .LBB44_3
; %bb.51:                               ;   in Loop: Header=BB44_4 Depth=1
	v_lshl_add_u64 v[0:1], v[12:13], 3, v[0:1]
	global_load_dwordx2 v[2:3], v[0:1], off
	s_waitcnt vmcnt(0)
	v_fmac_f64_e32 v[2:3], s[22:23], v[38:39]
	global_store_dwordx2 v[0:1], v[2:3], off
	s_branch .LBB44_3
.LBB44_52:
	s_endpgm
	.section	.rodata,"a",@progbits
	.p2align	6, 0x0
	.amdhsa_kernel _ZL30rocblas_trmm_outofplace_kernelIdLi32ELi2ELb1ELb0ELb1ELb1EPKdS0_dEv17rocblas_diagonal_iiT6_lPT7_lllS5_lllPT8_llli
		.amdhsa_group_segment_fixed_size 16384
		.amdhsa_private_segment_fixed_size 0
		.amdhsa_kernarg_size 392
		.amdhsa_user_sgpr_count 2
		.amdhsa_user_sgpr_dispatch_ptr 0
		.amdhsa_user_sgpr_queue_ptr 0
		.amdhsa_user_sgpr_kernarg_segment_ptr 1
		.amdhsa_user_sgpr_dispatch_id 0
		.amdhsa_user_sgpr_kernarg_preload_length 0
		.amdhsa_user_sgpr_kernarg_preload_offset 0
		.amdhsa_user_sgpr_private_segment_size 0
		.amdhsa_uses_dynamic_stack 0
		.amdhsa_enable_private_segment 0
		.amdhsa_system_sgpr_workgroup_id_x 1
		.amdhsa_system_sgpr_workgroup_id_y 1
		.amdhsa_system_sgpr_workgroup_id_z 1
		.amdhsa_system_sgpr_workgroup_info 0
		.amdhsa_system_vgpr_workitem_id 1
		.amdhsa_next_free_vgpr 80
		.amdhsa_next_free_sgpr 56
		.amdhsa_accum_offset 80
		.amdhsa_reserve_vcc 1
		.amdhsa_float_round_mode_32 0
		.amdhsa_float_round_mode_16_64 0
		.amdhsa_float_denorm_mode_32 3
		.amdhsa_float_denorm_mode_16_64 3
		.amdhsa_dx10_clamp 1
		.amdhsa_ieee_mode 1
		.amdhsa_fp16_overflow 0
		.amdhsa_tg_split 0
		.amdhsa_exception_fp_ieee_invalid_op 0
		.amdhsa_exception_fp_denorm_src 0
		.amdhsa_exception_fp_ieee_div_zero 0
		.amdhsa_exception_fp_ieee_overflow 0
		.amdhsa_exception_fp_ieee_underflow 0
		.amdhsa_exception_fp_ieee_inexact 0
		.amdhsa_exception_int_div_zero 0
	.end_amdhsa_kernel
	.section	.text._ZL30rocblas_trmm_outofplace_kernelIdLi32ELi2ELb1ELb0ELb1ELb1EPKdS0_dEv17rocblas_diagonal_iiT6_lPT7_lllS5_lllPT8_llli,"axG",@progbits,_ZL30rocblas_trmm_outofplace_kernelIdLi32ELi2ELb1ELb0ELb1ELb1EPKdS0_dEv17rocblas_diagonal_iiT6_lPT7_lllS5_lllPT8_llli,comdat
.Lfunc_end44:
	.size	_ZL30rocblas_trmm_outofplace_kernelIdLi32ELi2ELb1ELb0ELb1ELb1EPKdS0_dEv17rocblas_diagonal_iiT6_lPT7_lllS5_lllPT8_llli, .Lfunc_end44-_ZL30rocblas_trmm_outofplace_kernelIdLi32ELi2ELb1ELb0ELb1ELb1EPKdS0_dEv17rocblas_diagonal_iiT6_lPT7_lllS5_lllPT8_llli
                                        ; -- End function
	.set _ZL30rocblas_trmm_outofplace_kernelIdLi32ELi2ELb1ELb0ELb1ELb1EPKdS0_dEv17rocblas_diagonal_iiT6_lPT7_lllS5_lllPT8_llli.num_vgpr, 80
	.set _ZL30rocblas_trmm_outofplace_kernelIdLi32ELi2ELb1ELb0ELb1ELb1EPKdS0_dEv17rocblas_diagonal_iiT6_lPT7_lllS5_lllPT8_llli.num_agpr, 0
	.set _ZL30rocblas_trmm_outofplace_kernelIdLi32ELi2ELb1ELb0ELb1ELb1EPKdS0_dEv17rocblas_diagonal_iiT6_lPT7_lllS5_lllPT8_llli.numbered_sgpr, 56
	.set _ZL30rocblas_trmm_outofplace_kernelIdLi32ELi2ELb1ELb0ELb1ELb1EPKdS0_dEv17rocblas_diagonal_iiT6_lPT7_lllS5_lllPT8_llli.num_named_barrier, 0
	.set _ZL30rocblas_trmm_outofplace_kernelIdLi32ELi2ELb1ELb0ELb1ELb1EPKdS0_dEv17rocblas_diagonal_iiT6_lPT7_lllS5_lllPT8_llli.private_seg_size, 0
	.set _ZL30rocblas_trmm_outofplace_kernelIdLi32ELi2ELb1ELb0ELb1ELb1EPKdS0_dEv17rocblas_diagonal_iiT6_lPT7_lllS5_lllPT8_llli.uses_vcc, 1
	.set _ZL30rocblas_trmm_outofplace_kernelIdLi32ELi2ELb1ELb0ELb1ELb1EPKdS0_dEv17rocblas_diagonal_iiT6_lPT7_lllS5_lllPT8_llli.uses_flat_scratch, 0
	.set _ZL30rocblas_trmm_outofplace_kernelIdLi32ELi2ELb1ELb0ELb1ELb1EPKdS0_dEv17rocblas_diagonal_iiT6_lPT7_lllS5_lllPT8_llli.has_dyn_sized_stack, 0
	.set _ZL30rocblas_trmm_outofplace_kernelIdLi32ELi2ELb1ELb0ELb1ELb1EPKdS0_dEv17rocblas_diagonal_iiT6_lPT7_lllS5_lllPT8_llli.has_recursion, 0
	.set _ZL30rocblas_trmm_outofplace_kernelIdLi32ELi2ELb1ELb0ELb1ELb1EPKdS0_dEv17rocblas_diagonal_iiT6_lPT7_lllS5_lllPT8_llli.has_indirect_call, 0
	.section	.AMDGPU.csdata,"",@progbits
; Kernel info:
; codeLenInByte = 3068
; TotalNumSgprs: 62
; NumVgprs: 80
; NumAgprs: 0
; TotalNumVgprs: 80
; ScratchSize: 0
; MemoryBound: 0
; FloatMode: 240
; IeeeMode: 1
; LDSByteSize: 16384 bytes/workgroup (compile time only)
; SGPRBlocks: 7
; VGPRBlocks: 9
; NumSGPRsForWavesPerEU: 62
; NumVGPRsForWavesPerEU: 80
; AccumOffset: 80
; Occupancy: 6
; WaveLimiterHint : 0
; COMPUTE_PGM_RSRC2:SCRATCH_EN: 0
; COMPUTE_PGM_RSRC2:USER_SGPR: 2
; COMPUTE_PGM_RSRC2:TRAP_HANDLER: 0
; COMPUTE_PGM_RSRC2:TGID_X_EN: 1
; COMPUTE_PGM_RSRC2:TGID_Y_EN: 1
; COMPUTE_PGM_RSRC2:TGID_Z_EN: 1
; COMPUTE_PGM_RSRC2:TIDIG_COMP_CNT: 1
; COMPUTE_PGM_RSRC3_GFX90A:ACCUM_OFFSET: 19
; COMPUTE_PGM_RSRC3_GFX90A:TG_SPLIT: 0
	.section	.text._ZL30rocblas_trmm_outofplace_kernelIdLi32ELi2ELb1ELb0ELb1ELb1EdKddEv17rocblas_diagonal_iiT6_lPT7_lllS4_lllPT8_llli,"axG",@progbits,_ZL30rocblas_trmm_outofplace_kernelIdLi32ELi2ELb1ELb0ELb1ELb1EdKddEv17rocblas_diagonal_iiT6_lPT7_lllS4_lllPT8_llli,comdat
	.globl	_ZL30rocblas_trmm_outofplace_kernelIdLi32ELi2ELb1ELb0ELb1ELb1EdKddEv17rocblas_diagonal_iiT6_lPT7_lllS4_lllPT8_llli ; -- Begin function _ZL30rocblas_trmm_outofplace_kernelIdLi32ELi2ELb1ELb0ELb1ELb1EdKddEv17rocblas_diagonal_iiT6_lPT7_lllS4_lllPT8_llli
	.p2align	8
	.type	_ZL30rocblas_trmm_outofplace_kernelIdLi32ELi2ELb1ELb0ELb1ELb1EdKddEv17rocblas_diagonal_iiT6_lPT7_lllS4_lllPT8_llli,@function
_ZL30rocblas_trmm_outofplace_kernelIdLi32ELi2ELb1ELb0ELb1ELb1EdKddEv17rocblas_diagonal_iiT6_lPT7_lllS4_lllPT8_llli: ; @_ZL30rocblas_trmm_outofplace_kernelIdLi32ELi2ELb1ELb0ELb1ELb1EdKddEv17rocblas_diagonal_iiT6_lPT7_lllS4_lllPT8_llli
; %bb.0:
	s_load_dwordx2 s[34:35], s[0:1], 0x10
	s_waitcnt lgkmcnt(0)
	v_cmp_eq_f64_e64 s[6:7], s[34:35], 0
	s_and_b64 vcc, exec, s[6:7]
	s_cbranch_vccnz .LBB45_52
; %bb.1:
	s_load_dwordx4 s[28:31], s[0:1], 0x0
	s_waitcnt lgkmcnt(0)
	s_add_i32 s5, s30, -1
	s_ashr_i32 s6, s5, 31
	s_lshr_b32 s6, s6, 27
	s_add_i32 s5, s5, s6
	s_ashr_i32 s31, s5, 5
	s_cmp_gt_i32 s3, s31
	s_cbranch_scc1 .LBB45_52
; %bb.2:
	s_load_dwordx16 s[36:51], s[0:1], 0x20
	s_load_dwordx8 s[20:27], s[0:1], 0x60
	v_bfe_u32 v52, v0, 10, 10
	v_and_b32_e32 v4, 0x3ff, v0
	s_load_dword s54, s[0:1], 0x8c
	s_waitcnt lgkmcnt(0)
	s_mul_i32 s5, s43, s4
	s_mul_hi_u32 s7, s42, s4
	s_mul_i32 s6, s42, s4
	s_add_i32 s7, s7, s5
	s_lshl_b64 s[8:9], s[6:7], 3
	s_add_u32 s5, s36, s8
	s_addc_u32 s7, s37, s9
	s_lshl_b64 s[10:11], s[38:39], 3
	s_add_u32 s6, s5, s10
	s_mul_i32 s5, s27, s4
	s_mul_hi_u32 s12, s26, s4
	s_addc_u32 s7, s7, s11
	s_add_i32 s13, s12, s5
	s_mul_i32 s12, s26, s4
	s_lshl_b64 s[12:13], s[12:13], 3
	s_add_u32 s5, s20, s12
	s_addc_u32 s14, s21, s13
	s_lshl_b64 s[12:13], s[22:23], 3
	s_add_u32 s26, s5, s12
	s_addc_u32 s27, s14, s13
	s_lshl_b32 s2, s2, 5
	v_add_u32_e32 v8, s2, v52
	v_add_u32_e32 v10, s2, v4
	s_sub_i32 s2, s29, s2
	v_mad_u64_u32 v[0:1], s[12:13], s40, v10, 0
	s_cmp_gt_i32 s2, 0
	s_cselect_b64 s[12:13], -1, 0
	s_cmpk_eq_i32 s28, 0x84
	s_cselect_b64 s[38:39], -1, 0
	s_ashr_i32 s43, s29, 31
	s_ashr_i32 s33, s30, 31
	s_add_u32 s52, s29, -16
	s_mul_i32 s5, s51, s4
	s_mul_hi_u32 s14, s50, s4
	v_ashrrev_i32_e32 v11, 31, v10
	s_addc_u32 s53, s43, -1
	s_add_i32 s5, s14, s5
	s_mul_i32 s4, s50, s4
	v_mul_lo_u32 v2, s40, v11
	v_mul_lo_u32 v3, s41, v10
	s_lshl_b64 s[4:5], s[4:5], 3
	s_lshl_b64 s[14:15], s[46:47], 3
	v_ashrrev_i32_e32 v9, 31, v8
	v_add3_u32 v1, v1, v2, v3
	s_add_u32 s4, s4, s14
	v_lshl_add_u64 v[0:1], v[0:1], 3, s[6:7]
	v_lshlrev_b64 v[2:3], 3, v[8:9]
	s_addc_u32 s5, s5, s15
	v_lshl_add_u64 v[12:13], v[0:1], 0, v[2:3]
	v_lshlrev_b32_e32 v0, 8, v52
	v_lshlrev_b32_e32 v53, 3, v4
	s_add_u32 s4, s44, s4
	v_add_u32_e32 v54, v53, v0
	v_add_u32_e32 v55, 0x2000, v0
	;; [unrolled: 1-line block ×3, first 2 shown]
	v_lshlrev_b64 v[0:1], 3, v[10:11]
	s_addc_u32 s5, s45, s5
	s_mov_b32 s42, s29
	v_cmp_le_i32_e64 s[0:1], s29, v10
	v_cmp_gt_i32_e64 s[22:23], s29, v10
	v_cmp_gt_i32_e64 s[6:7], s29, v16
	v_lshl_add_u64 v[24:25], s[4:5], 0, v[0:1]
	s_mov_b64 s[4:5], 0x80
	s_lshl_b64 s[28:29], s[48:49], 3
	s_lshl_b32 s44, s54, 5
	v_lshl_add_u64 v[26:27], v[24:25], 0, s[4:5]
	v_lshl_add_u64 v[0:1], v[0:1], 0, s[4:5]
	s_add_u32 s4, s10, s8
	s_addc_u32 s5, s11, s9
	v_mov_b64_e32 v[4:5], s[4:5]
	v_mul_lo_u32 v6, s40, v1
	v_mul_lo_u32 v7, s41, v0
	v_mad_u64_u32 v[0:1], s[4:5], s40, v0, v[4:5]
	v_add3_u32 v1, v7, v1, v6
	v_sub_co_u32_e32 v18, vcc, v10, v8
	v_lshl_add_u64 v[0:1], v[0:1], 0, v[2:3]
	v_lshl_add_u64 v[14:15], v[10:11], 0, 16
	v_subb_co_u32_e32 v19, vcc, v11, v9, vcc
	v_lshl_add_u64 v[30:31], s[36:37], 0, v[0:1]
	v_cndmask_b32_e64 v0, 0, 1, s[12:13]
	v_mov_b32_e32 v32, 0
	v_add_u32_e32 v56, v55, v53
	v_cmp_le_i64_e64 s[20:21], s[42:43], v[14:15]
	v_ashrrev_i32_e32 v17, 31, v16
	v_lshl_add_u64 v[20:21], v[18:19], 0, 16
	v_lshl_add_u64 v[22:23], v[18:19], 0, -16
	v_lshl_add_u32 v28, s3, 5, v52
	v_cmp_ne_u32_e64 s[8:9], 1, v0
	v_mov_b32_e32 v35, 0x3ff00000
	v_mov_b32_e32 v36, 0
	;; [unrolled: 1-line block ×4, first 2 shown]
	v_add_u32_e32 v57, 0x800, v53
	v_add_u32_e32 v58, 0x1000, v53
	;; [unrolled: 1-line block ×3, first 2 shown]
	s_branch .LBB45_4
.LBB45_3:                               ;   in Loop: Header=BB45_4 Depth=1
	s_or_b64 exec, exec, s[4:5]
	s_add_i32 s3, s54, s3
	s_cmp_le_i32 s3, s31
	v_add_u32_e32 v28, s44, v28
	s_cbranch_scc0 .LBB45_52
.LBB45_4:                               ; =>This Loop Header: Depth=1
                                        ;     Child Loop BB45_7 Depth 2
	v_lshl_add_u32 v38, s3, 5, v52
	s_and_b64 vcc, exec, s[8:9]
	v_ashrrev_i32_e32 v39, 31, v38
	s_cbranch_vccnz .LBB45_43
; %bb.5:                                ;   in Loop: Header=BB45_4 Depth=1
	v_ashrrev_i32_e32 v29, 31, v28
	v_mad_u64_u32 v[48:49], s[4:5], s28, v28, v[26:27]
	v_mul_lo_u32 v0, s29, v28
	v_mul_lo_u32 v1, s28, v29
	v_add3_u32 v49, v0, v49, v1
	v_mov_b64_e32 v[0:1], 0x80
	v_lshl_add_u64 v[0:1], v[28:29], 3, v[0:1]
	v_mul_lo_u32 v1, s48, v1
	v_mul_lo_u32 v2, s49, v0
	v_mad_u64_u32 v[50:51], s[4:5], s48, v0, v[24:25]
	v_add3_u32 v51, v2, v51, v1
	v_mov_b32_e32 v1, s33
	v_sub_co_u32_e32 v0, vcc, s30, v38
	s_mov_b64 s[36:37], 0
	s_nop 0
	v_subb_co_u32_e32 v1, vcc, v1, v39, vcc
	v_cmp_lt_i64_e32 vcc, 0, v[0:1]
	v_cmp_lt_i64_e64 s[10:11], 16, v[0:1]
	v_mov_b64_e32 v[40:41], 0
	s_mov_b64 s[40:41], 0
	v_mov_b64_e32 v[42:43], 0
	v_mov_b64_e32 v[44:45], 0
	;; [unrolled: 1-line block ×3, first 2 shown]
	s_branch .LBB45_7
.LBB45_6:                               ;   in Loop: Header=BB45_7 Depth=2
	s_or_b64 exec, exec, s[4:5]
	s_waitcnt lgkmcnt(0)
	s_barrier
	ds_read_b128 v[60:63], v55
	ds_read_b128 v[64:67], v55 offset:16
	ds_read_b128 v[4:7], v55 offset:32
	;; [unrolled: 1-line block ×3, first 2 shown]
	ds_read2_b64 v[68:71], v53 offset1:16
	ds_read_b128 v[72:75], v55 offset:4096
	s_add_u32 s40, s40, 32
	s_addc_u32 s41, s41, 0
	s_add_u32 s36, s36, 0x100
	s_waitcnt lgkmcnt(1)
	v_fmac_f64_e32 v[46:47], v[68:69], v[60:61]
	v_fmac_f64_e32 v[44:45], v[70:71], v[60:61]
	s_waitcnt lgkmcnt(0)
	v_fmac_f64_e32 v[42:43], v[68:69], v[72:73]
	v_fmac_f64_e32 v[40:41], v[70:71], v[72:73]
	ds_read2_b64 v[68:71], v53 offset0:32 offset1:48
	s_addc_u32 s37, s37, 0
	s_cmp_ge_i32 s40, s2
	s_waitcnt lgkmcnt(0)
	v_fmac_f64_e32 v[46:47], v[68:69], v[62:63]
	v_fmac_f64_e32 v[44:45], v[70:71], v[62:63]
	v_fmac_f64_e32 v[42:43], v[68:69], v[74:75]
	v_fmac_f64_e32 v[40:41], v[70:71], v[74:75]
	ds_read2_b64 v[60:63], v53 offset0:64 offset1:80
	ds_read_b128 v[68:71], v55 offset:4112
	s_waitcnt lgkmcnt(1)
	v_fmac_f64_e32 v[46:47], v[60:61], v[64:65]
	v_fmac_f64_e32 v[44:45], v[62:63], v[64:65]
	s_waitcnt lgkmcnt(0)
	v_fmac_f64_e32 v[42:43], v[60:61], v[68:69]
	v_fmac_f64_e32 v[40:41], v[62:63], v[68:69]
	ds_read2_b64 v[60:63], v53 offset0:96 offset1:112
	s_waitcnt lgkmcnt(0)
	v_fmac_f64_e32 v[46:47], v[60:61], v[66:67]
	v_fmac_f64_e32 v[44:45], v[62:63], v[66:67]
	v_fmac_f64_e32 v[42:43], v[60:61], v[70:71]
	v_fmac_f64_e32 v[40:41], v[62:63], v[70:71]
	ds_read2_b64 v[60:63], v53 offset0:128 offset1:144
	ds_read_b128 v[64:67], v55 offset:4128
	s_waitcnt lgkmcnt(1)
	v_fmac_f64_e32 v[46:47], v[60:61], v[4:5]
	v_fmac_f64_e32 v[44:45], v[62:63], v[4:5]
	s_waitcnt lgkmcnt(0)
	v_fmac_f64_e32 v[42:43], v[60:61], v[64:65]
	v_fmac_f64_e32 v[40:41], v[62:63], v[64:65]
	ds_read2_b64 v[60:63], v53 offset0:160 offset1:176
	;; [unrolled: 14-line block ×3, first 2 shown]
	s_waitcnt lgkmcnt(0)
	v_fmac_f64_e32 v[46:47], v[4:5], v[2:3]
	v_fmac_f64_e32 v[44:45], v[6:7], v[2:3]
	v_fmac_f64_e32 v[42:43], v[4:5], v[62:63]
	v_fmac_f64_e32 v[40:41], v[6:7], v[62:63]
	ds_read_b128 v[0:3], v55 offset:64
	ds_read2_b64 v[4:7], v57 offset1:16
	ds_read_b128 v[60:63], v55 offset:4160
	s_waitcnt lgkmcnt(1)
	v_fmac_f64_e32 v[46:47], v[4:5], v[0:1]
	v_fmac_f64_e32 v[44:45], v[6:7], v[0:1]
	s_waitcnt lgkmcnt(0)
	v_fmac_f64_e32 v[42:43], v[4:5], v[60:61]
	v_fmac_f64_e32 v[40:41], v[6:7], v[60:61]
	ds_read2_b64 v[4:7], v57 offset0:32 offset1:48
	s_waitcnt lgkmcnt(0)
	v_fmac_f64_e32 v[46:47], v[4:5], v[2:3]
	v_fmac_f64_e32 v[44:45], v[6:7], v[2:3]
	v_fmac_f64_e32 v[42:43], v[4:5], v[62:63]
	v_fmac_f64_e32 v[40:41], v[6:7], v[62:63]
	ds_read_b128 v[0:3], v55 offset:80
	ds_read2_b64 v[4:7], v57 offset0:64 offset1:80
	ds_read_b128 v[60:63], v55 offset:4176
	s_waitcnt lgkmcnt(1)
	v_fmac_f64_e32 v[46:47], v[4:5], v[0:1]
	v_fmac_f64_e32 v[44:45], v[6:7], v[0:1]
	s_waitcnt lgkmcnt(0)
	v_fmac_f64_e32 v[42:43], v[4:5], v[60:61]
	v_fmac_f64_e32 v[40:41], v[6:7], v[60:61]
	ds_read2_b64 v[4:7], v57 offset0:96 offset1:112
	s_waitcnt lgkmcnt(0)
	v_fmac_f64_e32 v[46:47], v[4:5], v[2:3]
	v_fmac_f64_e32 v[44:45], v[6:7], v[2:3]
	v_fmac_f64_e32 v[42:43], v[4:5], v[62:63]
	v_fmac_f64_e32 v[40:41], v[6:7], v[62:63]
	ds_read_b128 v[0:3], v55 offset:96
	ds_read2_b64 v[4:7], v57 offset0:128 offset1:144
	ds_read_b128 v[60:63], v55 offset:4192
	s_waitcnt lgkmcnt(1)
	v_fmac_f64_e32 v[46:47], v[4:5], v[0:1]
	v_fmac_f64_e32 v[44:45], v[6:7], v[0:1]
	s_waitcnt lgkmcnt(0)
	v_fmac_f64_e32 v[42:43], v[4:5], v[60:61]
	v_fmac_f64_e32 v[40:41], v[6:7], v[60:61]
	ds_read2_b64 v[4:7], v57 offset0:160 offset1:176
	s_waitcnt lgkmcnt(0)
	v_fmac_f64_e32 v[46:47], v[4:5], v[2:3]
	v_fmac_f64_e32 v[44:45], v[6:7], v[2:3]
	v_fmac_f64_e32 v[42:43], v[4:5], v[62:63]
	v_fmac_f64_e32 v[40:41], v[6:7], v[62:63]
	ds_read_b128 v[0:3], v55 offset:112
	ds_read2_b64 v[4:7], v57 offset0:192 offset1:208
	ds_read_b128 v[60:63], v55 offset:4208
	s_waitcnt lgkmcnt(1)
	v_fmac_f64_e32 v[46:47], v[4:5], v[0:1]
	v_fmac_f64_e32 v[44:45], v[6:7], v[0:1]
	s_waitcnt lgkmcnt(0)
	v_fmac_f64_e32 v[42:43], v[4:5], v[60:61]
	v_fmac_f64_e32 v[40:41], v[6:7], v[60:61]
	ds_read2_b64 v[4:7], v57 offset0:224 offset1:240
	s_waitcnt lgkmcnt(0)
	v_fmac_f64_e32 v[46:47], v[4:5], v[2:3]
	v_fmac_f64_e32 v[44:45], v[6:7], v[2:3]
	v_fmac_f64_e32 v[42:43], v[4:5], v[62:63]
	v_fmac_f64_e32 v[40:41], v[6:7], v[62:63]
	ds_read_b128 v[0:3], v55 offset:128
	ds_read2_b64 v[4:7], v58 offset1:16
	ds_read_b128 v[60:63], v55 offset:4224
	s_waitcnt lgkmcnt(1)
	v_fmac_f64_e32 v[46:47], v[4:5], v[0:1]
	v_fmac_f64_e32 v[44:45], v[6:7], v[0:1]
	s_waitcnt lgkmcnt(0)
	v_fmac_f64_e32 v[42:43], v[4:5], v[60:61]
	v_fmac_f64_e32 v[40:41], v[6:7], v[60:61]
	ds_read2_b64 v[4:7], v58 offset0:32 offset1:48
	s_waitcnt lgkmcnt(0)
	v_fmac_f64_e32 v[46:47], v[4:5], v[2:3]
	v_fmac_f64_e32 v[44:45], v[6:7], v[2:3]
	v_fmac_f64_e32 v[42:43], v[4:5], v[62:63]
	v_fmac_f64_e32 v[40:41], v[6:7], v[62:63]
	ds_read_b128 v[0:3], v55 offset:144
	ds_read2_b64 v[4:7], v58 offset0:64 offset1:80
	ds_read_b128 v[60:63], v55 offset:4240
	s_waitcnt lgkmcnt(1)
	v_fmac_f64_e32 v[46:47], v[4:5], v[0:1]
	v_fmac_f64_e32 v[44:45], v[6:7], v[0:1]
	s_waitcnt lgkmcnt(0)
	v_fmac_f64_e32 v[42:43], v[4:5], v[60:61]
	v_fmac_f64_e32 v[40:41], v[6:7], v[60:61]
	ds_read2_b64 v[4:7], v58 offset0:96 offset1:112
	s_waitcnt lgkmcnt(0)
	v_fmac_f64_e32 v[46:47], v[4:5], v[2:3]
	v_fmac_f64_e32 v[44:45], v[6:7], v[2:3]
	v_fmac_f64_e32 v[42:43], v[4:5], v[62:63]
	v_fmac_f64_e32 v[40:41], v[6:7], v[62:63]
	ds_read_b128 v[0:3], v55 offset:160
	ds_read2_b64 v[4:7], v58 offset0:128 offset1:144
	ds_read_b128 v[60:63], v55 offset:4256
	s_waitcnt lgkmcnt(1)
	v_fmac_f64_e32 v[46:47], v[4:5], v[0:1]
	v_fmac_f64_e32 v[44:45], v[6:7], v[0:1]
	s_waitcnt lgkmcnt(0)
	v_fmac_f64_e32 v[42:43], v[4:5], v[60:61]
	v_fmac_f64_e32 v[40:41], v[6:7], v[60:61]
	ds_read2_b64 v[4:7], v58 offset0:160 offset1:176
	s_waitcnt lgkmcnt(0)
	v_fmac_f64_e32 v[46:47], v[4:5], v[2:3]
	v_fmac_f64_e32 v[44:45], v[6:7], v[2:3]
	v_fmac_f64_e32 v[42:43], v[4:5], v[62:63]
	v_fmac_f64_e32 v[40:41], v[6:7], v[62:63]
	ds_read_b128 v[0:3], v55 offset:176
	ds_read2_b64 v[4:7], v58 offset0:192 offset1:208
	ds_read_b128 v[60:63], v55 offset:4272
	s_waitcnt lgkmcnt(1)
	v_fmac_f64_e32 v[46:47], v[4:5], v[0:1]
	v_fmac_f64_e32 v[44:45], v[6:7], v[0:1]
	s_waitcnt lgkmcnt(0)
	v_fmac_f64_e32 v[42:43], v[4:5], v[60:61]
	v_fmac_f64_e32 v[40:41], v[6:7], v[60:61]
	ds_read2_b64 v[4:7], v58 offset0:224 offset1:240
	;; [unrolled: 60-line block ×3, first 2 shown]
	s_waitcnt lgkmcnt(0)
	s_barrier
	v_fmac_f64_e32 v[46:47], v[4:5], v[2:3]
	v_fmac_f64_e32 v[44:45], v[6:7], v[2:3]
	;; [unrolled: 1-line block ×4, first 2 shown]
	s_cbranch_scc1 .LBB45_44
.LBB45_7:                               ;   Parent Loop BB45_4 Depth=1
                                        ; =>  This Inner Loop Header: Depth=2
	v_lshl_add_u64 v[4:5], v[8:9], 0, s[40:41]
	v_cmp_le_i64_e64 s[16:17], s[42:43], v[4:5]
	v_cmp_eq_u64_e64 s[4:5], s[40:41], v[18:19]
	v_cmp_lt_i64_e64 s[14:15], v[4:5], v[10:11]
	s_and_b64 s[12:13], s[38:39], s[4:5]
	s_or_b64 s[4:5], s[16:17], s[14:15]
	s_or_b64 s[4:5], s[4:5], s[12:13]
	v_lshl_add_u64 v[0:1], v[12:13], 0, s[36:37]
	s_nor_b64 s[4:5], s[0:1], s[4:5]
                                        ; implicit-def: $vgpr2_vgpr3
	s_and_saveexec_b64 s[18:19], s[4:5]
	s_xor_b64 s[4:5], exec, s[18:19]
	s_cbranch_execz .LBB45_9
; %bb.8:                                ;   in Loop: Header=BB45_7 Depth=2
	global_load_dwordx2 v[2:3], v[0:1], off
.LBB45_9:                               ;   in Loop: Header=BB45_7 Depth=2
	s_andn2_saveexec_b64 s[4:5], s[4:5]
	s_cbranch_execz .LBB45_11
; %bb.10:                               ;   in Loop: Header=BB45_7 Depth=2
	v_cndmask_b32_e64 v33, 0, v35, s[12:13]
	s_waitcnt vmcnt(0)
	v_mov_b64_e32 v[2:3], v[32:33]
.LBB45_11:                              ;   in Loop: Header=BB45_7 Depth=2
	s_or_b64 exec, exec, s[4:5]
	v_cmp_eq_u64_e64 s[4:5], s[40:41], v[20:21]
	s_and_b64 s[18:19], s[38:39], s[4:5]
	v_cmp_gt_i64_e64 s[4:5], v[14:15], v[4:5]
	s_or_b64 s[4:5], s[16:17], s[4:5]
	s_or_b64 s[4:5], s[4:5], s[18:19]
	s_waitcnt vmcnt(0)
	ds_write_b64 v54, v[2:3]
	s_nor_b64 s[4:5], s[20:21], s[4:5]
	v_lshl_add_u64 v[2:3], v[30:31], 0, s[36:37]
	s_and_saveexec_b64 s[16:17], s[4:5]
	s_xor_b64 s[4:5], exec, s[16:17]
	s_cbranch_execz .LBB45_13
; %bb.12:                               ;   in Loop: Header=BB45_7 Depth=2
	global_load_dwordx2 v[6:7], v[2:3], off
	s_waitcnt vmcnt(0)
	ds_write_b64 v54, v[6:7] offset:128
.LBB45_13:                              ;   in Loop: Header=BB45_7 Depth=2
	s_andn2_saveexec_b64 s[4:5], s[4:5]
	s_cbranch_execz .LBB45_19
; %bb.14:                               ;   in Loop: Header=BB45_7 Depth=2
	s_xor_b64 s[16:17], s[18:19], -1
	s_and_saveexec_b64 s[18:19], s[16:17]
	s_xor_b64 s[16:17], exec, s[18:19]
; %bb.15:                               ;   in Loop: Header=BB45_7 Depth=2
	ds_write_b64 v54, v[36:37] offset:128
; %bb.16:                               ;   in Loop: Header=BB45_7 Depth=2
	s_andn2_saveexec_b64 s[16:17], s[16:17]
; %bb.17:                               ;   in Loop: Header=BB45_7 Depth=2
	ds_write_b64 v54, v[34:35] offset:128
; %bb.18:                               ;   in Loop: Header=BB45_7 Depth=2
	s_or_b64 exec, exec, s[16:17]
.LBB45_19:                              ;   in Loop: Header=BB45_7 Depth=2
	s_or_b64 exec, exec, s[4:5]
	v_lshl_add_u64 v[4:5], v[4:5], 0, 16
	v_cmp_eq_u64_e64 s[4:5], s[40:41], v[22:23]
	v_cmp_le_i64_e64 s[16:17], s[42:43], v[4:5]
	s_and_b64 s[18:19], s[38:39], s[4:5]
	v_cmp_lt_i64_e64 s[4:5], v[4:5], v[10:11]
	s_or_b64 s[4:5], s[16:17], s[4:5]
	s_or_b64 s[4:5], s[4:5], s[18:19]
	s_nor_b64 s[4:5], s[0:1], s[4:5]
                                        ; implicit-def: $vgpr4_vgpr5
	s_and_saveexec_b64 s[46:47], s[4:5]
	s_xor_b64 s[4:5], exec, s[46:47]
	s_cbranch_execz .LBB45_21
; %bb.20:                               ;   in Loop: Header=BB45_7 Depth=2
	global_load_dwordx2 v[4:5], v[0:1], off offset:128
.LBB45_21:                              ;   in Loop: Header=BB45_7 Depth=2
	s_andn2_saveexec_b64 s[4:5], s[4:5]
	s_cbranch_execz .LBB45_23
; %bb.22:                               ;   in Loop: Header=BB45_7 Depth=2
	v_cndmask_b32_e64 v33, 0, v35, s[18:19]
	s_waitcnt vmcnt(0)
	v_mov_b64_e32 v[4:5], v[32:33]
.LBB45_23:                              ;   in Loop: Header=BB45_7 Depth=2
	s_or_b64 exec, exec, s[4:5]
	s_or_b64 s[4:5], s[16:17], s[14:15]
	s_or_b64 s[4:5], s[4:5], s[12:13]
	s_nor_b64 s[4:5], s[20:21], s[4:5]
	s_waitcnt vmcnt(0)
	ds_write_b64 v54, v[4:5] offset:4096
	s_and_saveexec_b64 s[14:15], s[4:5]
	s_xor_b64 s[4:5], exec, s[14:15]
	s_cbranch_execz .LBB45_25
; %bb.24:                               ;   in Loop: Header=BB45_7 Depth=2
	global_load_dwordx2 v[0:1], v[2:3], off offset:128
	s_waitcnt vmcnt(0)
	ds_write_b64 v54, v[0:1] offset:4224
.LBB45_25:                              ;   in Loop: Header=BB45_7 Depth=2
	s_andn2_saveexec_b64 s[4:5], s[4:5]
	s_cbranch_execz .LBB45_31
; %bb.26:                               ;   in Loop: Header=BB45_7 Depth=2
	s_xor_b64 s[12:13], s[12:13], -1
	s_and_saveexec_b64 s[14:15], s[12:13]
	s_xor_b64 s[12:13], exec, s[14:15]
; %bb.27:                               ;   in Loop: Header=BB45_7 Depth=2
	ds_write_b64 v54, v[36:37] offset:4224
; %bb.28:                               ;   in Loop: Header=BB45_7 Depth=2
	s_andn2_saveexec_b64 s[12:13], s[12:13]
; %bb.29:                               ;   in Loop: Header=BB45_7 Depth=2
	ds_write_b64 v54, v[34:35] offset:4224
; %bb.30:                               ;   in Loop: Header=BB45_7 Depth=2
	s_or_b64 exec, exec, s[12:13]
.LBB45_31:                              ;   in Loop: Header=BB45_7 Depth=2
	s_or_b64 exec, exec, s[4:5]
	v_lshl_add_u64 v[2:3], v[10:11], 0, s[40:41]
	v_cmp_gt_i64_e64 s[12:13], s[42:43], v[2:3]
	v_lshl_add_u64 v[0:1], v[48:49], 0, s[36:37]
	s_and_b64 s[14:15], vcc, s[12:13]
	v_mov_b64_e32 v[4:5], 0
	s_and_saveexec_b64 s[4:5], s[14:15]
	s_cbranch_execz .LBB45_33
; %bb.32:                               ;   in Loop: Header=BB45_7 Depth=2
	global_load_dwordx2 v[4:5], v[0:1], off offset:-128
.LBB45_33:                              ;   in Loop: Header=BB45_7 Depth=2
	s_or_b64 exec, exec, s[4:5]
	v_cmp_gt_i64_e64 s[14:15], s[52:53], v[2:3]
	s_and_b64 s[4:5], vcc, s[14:15]
	s_xor_b64 s[4:5], s[4:5], -1
	s_waitcnt vmcnt(0)
	ds_write_b64 v56, v[4:5]
	s_and_saveexec_b64 s[16:17], s[4:5]
	s_xor_b64 s[4:5], exec, s[16:17]
; %bb.34:                               ;   in Loop: Header=BB45_7 Depth=2
	ds_write_b64 v56, v[36:37] offset:128
                                        ; implicit-def: $vgpr0_vgpr1
; %bb.35:                               ;   in Loop: Header=BB45_7 Depth=2
	s_andn2_saveexec_b64 s[4:5], s[4:5]
	s_cbranch_execz .LBB45_37
; %bb.36:                               ;   in Loop: Header=BB45_7 Depth=2
	global_load_dwordx2 v[0:1], v[0:1], off
	s_waitcnt vmcnt(0)
	ds_write_b64 v56, v[0:1] offset:128
.LBB45_37:                              ;   in Loop: Header=BB45_7 Depth=2
	s_or_b64 exec, exec, s[4:5]
	v_lshl_add_u64 v[0:1], v[50:51], 0, s[36:37]
	s_and_b64 s[12:13], s[10:11], s[12:13]
	v_mov_b64_e32 v[2:3], 0
	s_and_saveexec_b64 s[4:5], s[12:13]
	s_cbranch_execz .LBB45_39
; %bb.38:                               ;   in Loop: Header=BB45_7 Depth=2
	global_load_dwordx2 v[2:3], v[0:1], off
.LBB45_39:                              ;   in Loop: Header=BB45_7 Depth=2
	s_or_b64 exec, exec, s[4:5]
	s_and_b64 s[4:5], s[10:11], s[14:15]
	s_xor_b64 s[4:5], s[4:5], -1
	s_waitcnt vmcnt(0)
	ds_write_b64 v56, v[2:3] offset:4096
	s_and_saveexec_b64 s[12:13], s[4:5]
	s_xor_b64 s[4:5], exec, s[12:13]
; %bb.40:                               ;   in Loop: Header=BB45_7 Depth=2
	ds_write_b64 v56, v[36:37] offset:4224
                                        ; implicit-def: $vgpr0_vgpr1
; %bb.41:                               ;   in Loop: Header=BB45_7 Depth=2
	s_andn2_saveexec_b64 s[4:5], s[4:5]
	s_cbranch_execz .LBB45_6
; %bb.42:                               ;   in Loop: Header=BB45_7 Depth=2
	global_load_dwordx2 v[0:1], v[0:1], off offset:128
	s_waitcnt vmcnt(0)
	ds_write_b64 v56, v[0:1] offset:4224
	s_branch .LBB45_6
.LBB45_43:                              ;   in Loop: Header=BB45_4 Depth=1
	v_mov_b64_e32 v[46:47], 0
	v_mov_b64_e32 v[44:45], 0
	;; [unrolled: 1-line block ×4, first 2 shown]
.LBB45_44:                              ;   in Loop: Header=BB45_4 Depth=1
	v_mul_lo_u32 v2, s25, v38
	v_mul_lo_u32 v3, s24, v39
	v_mad_u64_u32 v[0:1], s[4:5], s24, v38, 0
	v_cmp_gt_i32_e32 vcc, s30, v38
	v_add3_u32 v1, v1, v3, v2
	v_lshl_add_u64 v[0:1], v[0:1], 3, s[26:27]
	s_and_b64 s[10:11], s[22:23], vcc
	s_and_saveexec_b64 s[4:5], s[10:11]
	s_cbranch_execz .LBB45_46
; %bb.45:                               ;   in Loop: Header=BB45_4 Depth=1
	v_lshl_add_u64 v[2:3], v[10:11], 3, v[0:1]
	global_load_dwordx2 v[4:5], v[2:3], off
	s_waitcnt vmcnt(0)
	v_fmac_f64_e32 v[4:5], s[34:35], v[46:47]
	global_store_dwordx2 v[2:3], v[4:5], off
.LBB45_46:                              ;   in Loop: Header=BB45_4 Depth=1
	s_or_b64 exec, exec, s[4:5]
	s_and_b64 s[10:11], s[6:7], vcc
	s_and_saveexec_b64 s[4:5], s[10:11]
	s_cbranch_execz .LBB45_48
; %bb.47:                               ;   in Loop: Header=BB45_4 Depth=1
	v_lshl_add_u64 v[0:1], v[16:17], 3, v[0:1]
	global_load_dwordx2 v[2:3], v[0:1], off
	s_waitcnt vmcnt(0)
	v_fmac_f64_e32 v[2:3], s[34:35], v[44:45]
	global_store_dwordx2 v[0:1], v[2:3], off
.LBB45_48:                              ;   in Loop: Header=BB45_4 Depth=1
	s_or_b64 exec, exec, s[4:5]
	v_add_u32_e32 v0, 16, v38
	v_ashrrev_i32_e32 v1, 31, v0
	v_cmp_gt_i32_e32 vcc, s30, v0
	v_mul_lo_u32 v2, s24, v1
	v_mul_lo_u32 v3, s25, v0
	v_mad_u64_u32 v[0:1], s[4:5], s24, v0, 0
	v_add3_u32 v1, v1, v2, v3
	v_lshl_add_u64 v[0:1], v[0:1], 3, s[26:27]
	s_and_b64 s[10:11], s[22:23], vcc
	s_and_saveexec_b64 s[4:5], s[10:11]
	s_cbranch_execz .LBB45_50
; %bb.49:                               ;   in Loop: Header=BB45_4 Depth=1
	v_lshl_add_u64 v[2:3], v[10:11], 3, v[0:1]
	global_load_dwordx2 v[4:5], v[2:3], off
	s_waitcnt vmcnt(0)
	v_fmac_f64_e32 v[4:5], s[34:35], v[42:43]
	global_store_dwordx2 v[2:3], v[4:5], off
.LBB45_50:                              ;   in Loop: Header=BB45_4 Depth=1
	s_or_b64 exec, exec, s[4:5]
	s_and_b64 s[10:11], s[6:7], vcc
	s_and_saveexec_b64 s[4:5], s[10:11]
	s_cbranch_execz .LBB45_3
; %bb.51:                               ;   in Loop: Header=BB45_4 Depth=1
	v_lshl_add_u64 v[0:1], v[16:17], 3, v[0:1]
	global_load_dwordx2 v[2:3], v[0:1], off
	s_waitcnt vmcnt(0)
	v_fmac_f64_e32 v[2:3], s[34:35], v[40:41]
	global_store_dwordx2 v[0:1], v[2:3], off
	s_branch .LBB45_3
.LBB45_52:
	s_endpgm
	.section	.rodata,"a",@progbits
	.p2align	6, 0x0
	.amdhsa_kernel _ZL30rocblas_trmm_outofplace_kernelIdLi32ELi2ELb1ELb0ELb1ELb1EdKddEv17rocblas_diagonal_iiT6_lPT7_lllS4_lllPT8_llli
		.amdhsa_group_segment_fixed_size 16384
		.amdhsa_private_segment_fixed_size 0
		.amdhsa_kernarg_size 392
		.amdhsa_user_sgpr_count 2
		.amdhsa_user_sgpr_dispatch_ptr 0
		.amdhsa_user_sgpr_queue_ptr 0
		.amdhsa_user_sgpr_kernarg_segment_ptr 1
		.amdhsa_user_sgpr_dispatch_id 0
		.amdhsa_user_sgpr_kernarg_preload_length 0
		.amdhsa_user_sgpr_kernarg_preload_offset 0
		.amdhsa_user_sgpr_private_segment_size 0
		.amdhsa_uses_dynamic_stack 0
		.amdhsa_enable_private_segment 0
		.amdhsa_system_sgpr_workgroup_id_x 1
		.amdhsa_system_sgpr_workgroup_id_y 1
		.amdhsa_system_sgpr_workgroup_id_z 1
		.amdhsa_system_sgpr_workgroup_info 0
		.amdhsa_system_vgpr_workitem_id 1
		.amdhsa_next_free_vgpr 76
		.amdhsa_next_free_sgpr 55
		.amdhsa_accum_offset 76
		.amdhsa_reserve_vcc 1
		.amdhsa_float_round_mode_32 0
		.amdhsa_float_round_mode_16_64 0
		.amdhsa_float_denorm_mode_32 3
		.amdhsa_float_denorm_mode_16_64 3
		.amdhsa_dx10_clamp 1
		.amdhsa_ieee_mode 1
		.amdhsa_fp16_overflow 0
		.amdhsa_tg_split 0
		.amdhsa_exception_fp_ieee_invalid_op 0
		.amdhsa_exception_fp_denorm_src 0
		.amdhsa_exception_fp_ieee_div_zero 0
		.amdhsa_exception_fp_ieee_overflow 0
		.amdhsa_exception_fp_ieee_underflow 0
		.amdhsa_exception_fp_ieee_inexact 0
		.amdhsa_exception_int_div_zero 0
	.end_amdhsa_kernel
	.section	.text._ZL30rocblas_trmm_outofplace_kernelIdLi32ELi2ELb1ELb0ELb1ELb1EdKddEv17rocblas_diagonal_iiT6_lPT7_lllS4_lllPT8_llli,"axG",@progbits,_ZL30rocblas_trmm_outofplace_kernelIdLi32ELi2ELb1ELb0ELb1ELb1EdKddEv17rocblas_diagonal_iiT6_lPT7_lllS4_lllPT8_llli,comdat
.Lfunc_end45:
	.size	_ZL30rocblas_trmm_outofplace_kernelIdLi32ELi2ELb1ELb0ELb1ELb1EdKddEv17rocblas_diagonal_iiT6_lPT7_lllS4_lllPT8_llli, .Lfunc_end45-_ZL30rocblas_trmm_outofplace_kernelIdLi32ELi2ELb1ELb0ELb1ELb1EdKddEv17rocblas_diagonal_iiT6_lPT7_lllS4_lllPT8_llli
                                        ; -- End function
	.set _ZL30rocblas_trmm_outofplace_kernelIdLi32ELi2ELb1ELb0ELb1ELb1EdKddEv17rocblas_diagonal_iiT6_lPT7_lllS4_lllPT8_llli.num_vgpr, 76
	.set _ZL30rocblas_trmm_outofplace_kernelIdLi32ELi2ELb1ELb0ELb1ELb1EdKddEv17rocblas_diagonal_iiT6_lPT7_lllS4_lllPT8_llli.num_agpr, 0
	.set _ZL30rocblas_trmm_outofplace_kernelIdLi32ELi2ELb1ELb0ELb1ELb1EdKddEv17rocblas_diagonal_iiT6_lPT7_lllS4_lllPT8_llli.numbered_sgpr, 55
	.set _ZL30rocblas_trmm_outofplace_kernelIdLi32ELi2ELb1ELb0ELb1ELb1EdKddEv17rocblas_diagonal_iiT6_lPT7_lllS4_lllPT8_llli.num_named_barrier, 0
	.set _ZL30rocblas_trmm_outofplace_kernelIdLi32ELi2ELb1ELb0ELb1ELb1EdKddEv17rocblas_diagonal_iiT6_lPT7_lllS4_lllPT8_llli.private_seg_size, 0
	.set _ZL30rocblas_trmm_outofplace_kernelIdLi32ELi2ELb1ELb0ELb1ELb1EdKddEv17rocblas_diagonal_iiT6_lPT7_lllS4_lllPT8_llli.uses_vcc, 1
	.set _ZL30rocblas_trmm_outofplace_kernelIdLi32ELi2ELb1ELb0ELb1ELb1EdKddEv17rocblas_diagonal_iiT6_lPT7_lllS4_lllPT8_llli.uses_flat_scratch, 0
	.set _ZL30rocblas_trmm_outofplace_kernelIdLi32ELi2ELb1ELb0ELb1ELb1EdKddEv17rocblas_diagonal_iiT6_lPT7_lllS4_lllPT8_llli.has_dyn_sized_stack, 0
	.set _ZL30rocblas_trmm_outofplace_kernelIdLi32ELi2ELb1ELb0ELb1ELb1EdKddEv17rocblas_diagonal_iiT6_lPT7_lllS4_lllPT8_llli.has_recursion, 0
	.set _ZL30rocblas_trmm_outofplace_kernelIdLi32ELi2ELb1ELb0ELb1ELb1EdKddEv17rocblas_diagonal_iiT6_lPT7_lllS4_lllPT8_llli.has_indirect_call, 0
	.section	.AMDGPU.csdata,"",@progbits
; Kernel info:
; codeLenInByte = 3044
; TotalNumSgprs: 61
; NumVgprs: 76
; NumAgprs: 0
; TotalNumVgprs: 76
; ScratchSize: 0
; MemoryBound: 0
; FloatMode: 240
; IeeeMode: 1
; LDSByteSize: 16384 bytes/workgroup (compile time only)
; SGPRBlocks: 7
; VGPRBlocks: 9
; NumSGPRsForWavesPerEU: 61
; NumVGPRsForWavesPerEU: 76
; AccumOffset: 76
; Occupancy: 6
; WaveLimiterHint : 0
; COMPUTE_PGM_RSRC2:SCRATCH_EN: 0
; COMPUTE_PGM_RSRC2:USER_SGPR: 2
; COMPUTE_PGM_RSRC2:TRAP_HANDLER: 0
; COMPUTE_PGM_RSRC2:TGID_X_EN: 1
; COMPUTE_PGM_RSRC2:TGID_Y_EN: 1
; COMPUTE_PGM_RSRC2:TGID_Z_EN: 1
; COMPUTE_PGM_RSRC2:TIDIG_COMP_CNT: 1
; COMPUTE_PGM_RSRC3_GFX90A:ACCUM_OFFSET: 18
; COMPUTE_PGM_RSRC3_GFX90A:TG_SPLIT: 0
	.section	.text._ZL30rocblas_trmm_outofplace_kernelIdLi32ELi2ELb1ELb1ELb1ELb1EPKdS0_dEv17rocblas_diagonal_iiT6_lPT7_lllS5_lllPT8_llli,"axG",@progbits,_ZL30rocblas_trmm_outofplace_kernelIdLi32ELi2ELb1ELb1ELb1ELb1EPKdS0_dEv17rocblas_diagonal_iiT6_lPT7_lllS5_lllPT8_llli,comdat
	.globl	_ZL30rocblas_trmm_outofplace_kernelIdLi32ELi2ELb1ELb1ELb1ELb1EPKdS0_dEv17rocblas_diagonal_iiT6_lPT7_lllS5_lllPT8_llli ; -- Begin function _ZL30rocblas_trmm_outofplace_kernelIdLi32ELi2ELb1ELb1ELb1ELb1EPKdS0_dEv17rocblas_diagonal_iiT6_lPT7_lllS5_lllPT8_llli
	.p2align	8
	.type	_ZL30rocblas_trmm_outofplace_kernelIdLi32ELi2ELb1ELb1ELb1ELb1EPKdS0_dEv17rocblas_diagonal_iiT6_lPT7_lllS5_lllPT8_llli,@function
_ZL30rocblas_trmm_outofplace_kernelIdLi32ELi2ELb1ELb1ELb1ELb1EPKdS0_dEv17rocblas_diagonal_iiT6_lPT7_lllS5_lllPT8_llli: ; @_ZL30rocblas_trmm_outofplace_kernelIdLi32ELi2ELb1ELb1ELb1ELb1EPKdS0_dEv17rocblas_diagonal_iiT6_lPT7_lllS5_lllPT8_llli
; %bb.0:
	s_load_dwordx16 s[36:51], s[0:1], 0x10
	s_waitcnt lgkmcnt(0)
	s_mul_i32 s5, s39, s4
	s_mul_hi_u32 s6, s38, s4
	s_add_i32 s7, s6, s5
	s_mul_i32 s6, s38, s4
	s_lshl_b64 s[6:7], s[6:7], 3
	s_add_u32 s6, s36, s6
	s_addc_u32 s7, s37, s7
	s_load_dwordx2 s[34:35], s[6:7], 0x0
	s_waitcnt lgkmcnt(0)
	v_cmp_eq_f64_e64 s[6:7], s[34:35], 0
	s_and_b64 vcc, exec, s[6:7]
	s_cbranch_vccnz .LBB46_51
; %bb.1:
	s_load_dwordx4 s[36:39], s[0:1], 0x0
	s_waitcnt lgkmcnt(0)
	s_add_i32 s5, s38, -1
	s_ashr_i32 s6, s5, 31
	s_lshr_b32 s6, s6, 27
	s_add_i32 s5, s5, s6
	s_ashr_i32 s33, s5, 5
	s_cmp_gt_i32 s3, s33
	s_cbranch_scc1 .LBB46_51
; %bb.2:
	s_load_dwordx8 s[24:31], s[0:1], 0x50
	s_load_dwordx4 s[52:55], s[0:1], 0x70
	s_mul_i32 s5, s47, s4
	s_mul_hi_u32 s6, s46, s4
	s_add_i32 s7, s6, s5
	s_mul_i32 s6, s46, s4
	s_lshl_b64 s[8:9], s[6:7], 3
	s_add_u32 s5, s40, s8
	s_addc_u32 s7, s41, s9
	s_lshl_b64 s[10:11], s[42:43], 3
	s_add_u32 s6, s5, s10
	s_load_dword s39, s[0:1], 0x8c
	s_waitcnt lgkmcnt(0)
	s_mul_i32 s0, s55, s4
	s_mul_hi_u32 s1, s54, s4
	s_addc_u32 s7, s7, s11
	s_add_i32 s1, s1, s0
	s_mul_i32 s0, s54, s4
	s_lshl_b64 s[0:1], s[0:1], 3
	s_add_u32 s5, s28, s0
	s_addc_u32 s12, s29, s1
	s_lshl_b64 s[0:1], s[30:31], 3
	s_add_u32 s28, s5, s0
	s_addc_u32 s29, s12, s1
	s_lshl_b32 s54, s2, 5
	s_cmp_gt_i32 s2, -1
	s_cselect_b64 s[12:13], -1, 0
	s_cmpk_eq_i32 s36, 0x84
	s_cselect_b64 s[30:31], -1, 0
	s_ashr_i32 s43, s37, 31
	s_ashr_i32 s2, s38, 31
	s_add_u32 s46, s37, -16
	s_mul_i32 s5, s27, s4
	s_mul_hi_u32 s14, s26, s4
	s_addc_u32 s47, s43, -1
	s_add_i32 s5, s14, s5
	s_mul_i32 s4, s26, s4
	s_lshl_b64 s[4:5], s[4:5], 3
	s_lshl_b64 s[14:15], s[50:51], 3
	v_and_b32_e32 v8, 0x3ff, v0
	s_add_u32 s4, s4, s14
	v_add_u32_e32 v10, s54, v8
	s_addc_u32 s5, s5, s15
	v_mov_b32_e32 v6, 0
	v_ashrrev_i32_e32 v11, 31, v10
	s_add_u32 s4, s48, s4
	v_bfe_u32 v4, v0, 10, 10
	v_mul_lo_u32 v2, s44, v11
	v_mul_lo_u32 v3, s45, v10
	v_mad_u64_u32 v[0:1], s[0:1], s44, v10, 0
	v_lshlrev_b32_e32 v14, 3, v8
	v_mov_b32_e32 v15, v6
	s_addc_u32 s5, s49, s5
	v_add3_u32 v1, v1, v2, v3
	v_lshl_add_u64 v[26:27], s[4:5], 0, v[14:15]
	s_mov_b64 s[4:5], 0x80
	s_lshl_b64 s[26:27], s[24:25], 3
	s_lshl_b32 s48, s39, 5
	v_lshl_add_u64 v[0:1], v[0:1], 3, s[6:7]
	v_lshlrev_b32_e32 v2, 3, v4
	v_mov_b32_e32 v3, v6
	v_lshl_add_u64 v[28:29], v[26:27], 0, s[4:5]
	s_add_u32 s4, s10, s8
	v_lshl_add_u64 v[12:13], v[0:1], 0, v[2:3]
	v_lshlrev_b32_e32 v0, 8, v4
	v_mov_b64_e32 v[32:33], 0x80
	s_addc_u32 s5, s11, s9
	v_add_u32_e32 v41, v14, v0
	v_add_u32_e32 v56, 0x2000, v0
	v_lshl_add_u64 v[0:1], v[10:11], 3, v[32:33]
	v_mov_b64_e32 v[34:35], s[4:5]
	v_mul_lo_u32 v7, s44, v1
	v_mul_lo_u32 v15, s45, v0
	v_mad_u64_u32 v[0:1], s[4:5], s44, v0, v[34:35]
	v_add3_u32 v1, v15, v1, v7
	v_sub_co_u32_e32 v20, vcc, v10, v4
	v_lshl_add_u64 v[0:1], v[0:1], 0, v[2:3]
	s_mov_b32 s42, s37
	v_lshl_add_u64 v[16:17], v[10:11], 0, 16
	v_add_u32_e32 v18, 16, v10
	v_subbrev_co_u32_e32 v21, vcc, 0, v11, vcc
	v_lshl_add_u64 v[34:35], s[40:41], 0, v[0:1]
	v_cndmask_b32_e64 v0, 0, 1, s[12:13]
	v_mov_b32_e32 v5, v6
	v_mov_b32_e32 v9, v6
	v_add_u32_e32 v57, v56, v14
	v_cmp_le_i32_e64 s[0:1], s37, v10
	v_cmp_le_i64_e64 s[20:21], s[42:43], v[16:17]
	v_cmp_gt_i32_e64 s[22:23], s37, v10
	v_cmp_gt_i32_e64 s[6:7], s37, v18
	v_ashrrev_i32_e32 v19, 31, v18
	v_lshl_add_u64 v[22:23], v[20:21], 0, 16
	v_lshl_add_u64 v[24:25], v[20:21], 0, -16
	v_lshl_add_u32 v30, s3, 5, v4
	v_cmp_ne_u32_e64 s[8:9], 1, v0
	v_mov_b32_e32 v37, 0x3ff00000
	v_mov_b32_e32 v38, 0
	;; [unrolled: 1-line block ×4, first 2 shown]
	v_add_u32_e32 v58, 0x800, v14
	v_add_u32_e32 v59, 0x1000, v14
	v_add_u32_e32 v60, 0x1800, v14
	s_branch .LBB46_4
.LBB46_3:                               ;   in Loop: Header=BB46_4 Depth=1
	s_or_b64 exec, exec, s[4:5]
	s_add_i32 s3, s39, s3
	s_cmp_le_i32 s3, s33
	v_add_u32_e32 v30, s48, v30
	s_cbranch_scc0 .LBB46_51
.LBB46_4:                               ; =>This Loop Header: Depth=1
                                        ;     Child Loop BB46_7 Depth 2
	v_lshl_add_u32 v40, s3, 5, v4
	v_ashrrev_i32_e32 v15, 31, v40
	v_mov_b64_e32 v[48:49], 0
	s_and_b64 vcc, exec, s[8:9]
	v_mov_b64_e32 v[46:47], 0
	v_mov_b64_e32 v[44:45], 0
	;; [unrolled: 1-line block ×3, first 2 shown]
	s_cbranch_vccnz .LBB46_43
; %bb.5:                                ;   in Loop: Header=BB46_4 Depth=1
	v_ashrrev_i32_e32 v31, 31, v30
	v_mad_u64_u32 v[50:51], s[4:5], s26, v30, v[28:29]
	v_mul_lo_u32 v0, s27, v30
	v_mul_lo_u32 v1, s26, v31
	v_add3_u32 v51, v0, v51, v1
	v_lshl_add_u64 v[0:1], v[30:31], 3, v[32:33]
	v_mul_lo_u32 v1, s24, v1
	v_mul_lo_u32 v2, s25, v0
	v_mad_u64_u32 v[52:53], s[4:5], s24, v0, v[26:27]
	v_add3_u32 v53, v2, v53, v1
	v_mov_b32_e32 v1, s2
	v_sub_co_u32_e32 v0, vcc, s38, v40
	s_mov_b64 s[36:37], 0
	s_nop 0
	v_subb_co_u32_e32 v1, vcc, v1, v15, vcc
	v_cmp_lt_i64_e32 vcc, 0, v[0:1]
	v_cmp_lt_i64_e64 s[10:11], 16, v[0:1]
	v_mov_b64_e32 v[42:43], 0
	s_mov_b64 s[40:41], 0
	v_mov_b64_e32 v[44:45], 0
	v_mov_b64_e32 v[46:47], 0
	;; [unrolled: 1-line block ×3, first 2 shown]
	s_branch .LBB46_7
.LBB46_6:                               ;   in Loop: Header=BB46_7 Depth=2
	s_or_b64 exec, exec, s[4:5]
	s_waitcnt lgkmcnt(0)
	s_barrier
	ds_read_b128 v[62:65], v56
	ds_read_b128 v[66:69], v56 offset:16
	ds_read_b128 v[70:73], v56 offset:32
	;; [unrolled: 1-line block ×3, first 2 shown]
	ds_read2_b64 v[74:77], v14 offset1:16
	ds_read_b128 v[78:81], v56 offset:4096
	s_add_u32 s40, s40, 32
	s_addc_u32 s41, s41, 0
	s_sub_i32 s4, s40, 32
	s_waitcnt lgkmcnt(1)
	v_fmac_f64_e32 v[48:49], v[74:75], v[62:63]
	v_fmac_f64_e32 v[46:47], v[76:77], v[62:63]
	s_waitcnt lgkmcnt(0)
	v_fmac_f64_e32 v[44:45], v[74:75], v[78:79]
	v_fmac_f64_e32 v[42:43], v[76:77], v[78:79]
	ds_read2_b64 v[74:77], v14 offset0:32 offset1:48
	s_add_u32 s36, s36, 0x100
	s_addc_u32 s37, s37, 0
	s_cmp_ge_i32 s4, s54
	s_waitcnt lgkmcnt(0)
	v_fmac_f64_e32 v[48:49], v[74:75], v[64:65]
	v_fmac_f64_e32 v[46:47], v[76:77], v[64:65]
	v_fmac_f64_e32 v[44:45], v[74:75], v[80:81]
	v_fmac_f64_e32 v[42:43], v[76:77], v[80:81]
	ds_read2_b64 v[62:65], v14 offset0:64 offset1:80
	ds_read_b128 v[74:77], v56 offset:4112
	s_waitcnt lgkmcnt(1)
	v_fmac_f64_e32 v[48:49], v[62:63], v[66:67]
	v_fmac_f64_e32 v[46:47], v[64:65], v[66:67]
	s_waitcnt lgkmcnt(0)
	v_fmac_f64_e32 v[44:45], v[62:63], v[74:75]
	v_fmac_f64_e32 v[42:43], v[64:65], v[74:75]
	ds_read2_b64 v[62:65], v14 offset0:96 offset1:112
	s_waitcnt lgkmcnt(0)
	v_fmac_f64_e32 v[48:49], v[62:63], v[68:69]
	v_fmac_f64_e32 v[46:47], v[64:65], v[68:69]
	v_fmac_f64_e32 v[44:45], v[62:63], v[76:77]
	v_fmac_f64_e32 v[42:43], v[64:65], v[76:77]
	ds_read2_b64 v[62:65], v14 offset0:128 offset1:144
	ds_read_b128 v[66:69], v56 offset:4128
	s_waitcnt lgkmcnt(1)
	v_fmac_f64_e32 v[48:49], v[62:63], v[70:71]
	v_fmac_f64_e32 v[46:47], v[64:65], v[70:71]
	s_waitcnt lgkmcnt(0)
	v_fmac_f64_e32 v[44:45], v[62:63], v[66:67]
	v_fmac_f64_e32 v[42:43], v[64:65], v[66:67]
	ds_read2_b64 v[62:65], v14 offset0:160 offset1:176
	;; [unrolled: 14-line block ×3, first 2 shown]
	s_waitcnt lgkmcnt(0)
	v_fmac_f64_e32 v[48:49], v[62:63], v[2:3]
	v_fmac_f64_e32 v[46:47], v[64:65], v[2:3]
	v_fmac_f64_e32 v[44:45], v[62:63], v[68:69]
	v_fmac_f64_e32 v[42:43], v[64:65], v[68:69]
	ds_read_b128 v[0:3], v56 offset:64
	ds_read2_b64 v[62:65], v58 offset1:16
	ds_read_b128 v[66:69], v56 offset:4160
	s_waitcnt lgkmcnt(1)
	v_fmac_f64_e32 v[48:49], v[62:63], v[0:1]
	v_fmac_f64_e32 v[46:47], v[64:65], v[0:1]
	s_waitcnt lgkmcnt(0)
	v_fmac_f64_e32 v[44:45], v[62:63], v[66:67]
	v_fmac_f64_e32 v[42:43], v[64:65], v[66:67]
	ds_read2_b64 v[62:65], v58 offset0:32 offset1:48
	s_waitcnt lgkmcnt(0)
	v_fmac_f64_e32 v[48:49], v[62:63], v[2:3]
	v_fmac_f64_e32 v[46:47], v[64:65], v[2:3]
	v_fmac_f64_e32 v[44:45], v[62:63], v[68:69]
	v_fmac_f64_e32 v[42:43], v[64:65], v[68:69]
	ds_read_b128 v[0:3], v56 offset:80
	ds_read2_b64 v[62:65], v58 offset0:64 offset1:80
	ds_read_b128 v[66:69], v56 offset:4176
	s_waitcnt lgkmcnt(1)
	v_fmac_f64_e32 v[48:49], v[62:63], v[0:1]
	v_fmac_f64_e32 v[46:47], v[64:65], v[0:1]
	s_waitcnt lgkmcnt(0)
	v_fmac_f64_e32 v[44:45], v[62:63], v[66:67]
	v_fmac_f64_e32 v[42:43], v[64:65], v[66:67]
	ds_read2_b64 v[62:65], v58 offset0:96 offset1:112
	s_waitcnt lgkmcnt(0)
	v_fmac_f64_e32 v[48:49], v[62:63], v[2:3]
	v_fmac_f64_e32 v[46:47], v[64:65], v[2:3]
	v_fmac_f64_e32 v[44:45], v[62:63], v[68:69]
	v_fmac_f64_e32 v[42:43], v[64:65], v[68:69]
	ds_read_b128 v[0:3], v56 offset:96
	ds_read2_b64 v[62:65], v58 offset0:128 offset1:144
	ds_read_b128 v[66:69], v56 offset:4192
	s_waitcnt lgkmcnt(1)
	v_fmac_f64_e32 v[48:49], v[62:63], v[0:1]
	v_fmac_f64_e32 v[46:47], v[64:65], v[0:1]
	s_waitcnt lgkmcnt(0)
	v_fmac_f64_e32 v[44:45], v[62:63], v[66:67]
	v_fmac_f64_e32 v[42:43], v[64:65], v[66:67]
	ds_read2_b64 v[62:65], v58 offset0:160 offset1:176
	s_waitcnt lgkmcnt(0)
	v_fmac_f64_e32 v[48:49], v[62:63], v[2:3]
	v_fmac_f64_e32 v[46:47], v[64:65], v[2:3]
	v_fmac_f64_e32 v[44:45], v[62:63], v[68:69]
	v_fmac_f64_e32 v[42:43], v[64:65], v[68:69]
	ds_read_b128 v[0:3], v56 offset:112
	ds_read2_b64 v[62:65], v58 offset0:192 offset1:208
	ds_read_b128 v[66:69], v56 offset:4208
	s_waitcnt lgkmcnt(1)
	v_fmac_f64_e32 v[48:49], v[62:63], v[0:1]
	v_fmac_f64_e32 v[46:47], v[64:65], v[0:1]
	s_waitcnt lgkmcnt(0)
	v_fmac_f64_e32 v[44:45], v[62:63], v[66:67]
	v_fmac_f64_e32 v[42:43], v[64:65], v[66:67]
	ds_read2_b64 v[62:65], v58 offset0:224 offset1:240
	s_waitcnt lgkmcnt(0)
	v_fmac_f64_e32 v[48:49], v[62:63], v[2:3]
	v_fmac_f64_e32 v[46:47], v[64:65], v[2:3]
	v_fmac_f64_e32 v[44:45], v[62:63], v[68:69]
	v_fmac_f64_e32 v[42:43], v[64:65], v[68:69]
	ds_read_b128 v[0:3], v56 offset:128
	ds_read2_b64 v[62:65], v59 offset1:16
	ds_read_b128 v[66:69], v56 offset:4224
	s_waitcnt lgkmcnt(1)
	v_fmac_f64_e32 v[48:49], v[62:63], v[0:1]
	v_fmac_f64_e32 v[46:47], v[64:65], v[0:1]
	s_waitcnt lgkmcnt(0)
	v_fmac_f64_e32 v[44:45], v[62:63], v[66:67]
	v_fmac_f64_e32 v[42:43], v[64:65], v[66:67]
	ds_read2_b64 v[62:65], v59 offset0:32 offset1:48
	s_waitcnt lgkmcnt(0)
	v_fmac_f64_e32 v[48:49], v[62:63], v[2:3]
	v_fmac_f64_e32 v[46:47], v[64:65], v[2:3]
	v_fmac_f64_e32 v[44:45], v[62:63], v[68:69]
	v_fmac_f64_e32 v[42:43], v[64:65], v[68:69]
	ds_read_b128 v[0:3], v56 offset:144
	ds_read2_b64 v[62:65], v59 offset0:64 offset1:80
	ds_read_b128 v[66:69], v56 offset:4240
	s_waitcnt lgkmcnt(1)
	v_fmac_f64_e32 v[48:49], v[62:63], v[0:1]
	v_fmac_f64_e32 v[46:47], v[64:65], v[0:1]
	s_waitcnt lgkmcnt(0)
	v_fmac_f64_e32 v[44:45], v[62:63], v[66:67]
	v_fmac_f64_e32 v[42:43], v[64:65], v[66:67]
	ds_read2_b64 v[62:65], v59 offset0:96 offset1:112
	s_waitcnt lgkmcnt(0)
	v_fmac_f64_e32 v[48:49], v[62:63], v[2:3]
	v_fmac_f64_e32 v[46:47], v[64:65], v[2:3]
	v_fmac_f64_e32 v[44:45], v[62:63], v[68:69]
	v_fmac_f64_e32 v[42:43], v[64:65], v[68:69]
	ds_read_b128 v[0:3], v56 offset:160
	ds_read2_b64 v[62:65], v59 offset0:128 offset1:144
	ds_read_b128 v[66:69], v56 offset:4256
	s_waitcnt lgkmcnt(1)
	v_fmac_f64_e32 v[48:49], v[62:63], v[0:1]
	v_fmac_f64_e32 v[46:47], v[64:65], v[0:1]
	s_waitcnt lgkmcnt(0)
	v_fmac_f64_e32 v[44:45], v[62:63], v[66:67]
	v_fmac_f64_e32 v[42:43], v[64:65], v[66:67]
	ds_read2_b64 v[62:65], v59 offset0:160 offset1:176
	s_waitcnt lgkmcnt(0)
	v_fmac_f64_e32 v[48:49], v[62:63], v[2:3]
	v_fmac_f64_e32 v[46:47], v[64:65], v[2:3]
	v_fmac_f64_e32 v[44:45], v[62:63], v[68:69]
	v_fmac_f64_e32 v[42:43], v[64:65], v[68:69]
	ds_read_b128 v[0:3], v56 offset:176
	ds_read2_b64 v[62:65], v59 offset0:192 offset1:208
	ds_read_b128 v[66:69], v56 offset:4272
	s_waitcnt lgkmcnt(1)
	v_fmac_f64_e32 v[48:49], v[62:63], v[0:1]
	v_fmac_f64_e32 v[46:47], v[64:65], v[0:1]
	s_waitcnt lgkmcnt(0)
	v_fmac_f64_e32 v[44:45], v[62:63], v[66:67]
	v_fmac_f64_e32 v[42:43], v[64:65], v[66:67]
	ds_read2_b64 v[62:65], v59 offset0:224 offset1:240
	s_waitcnt lgkmcnt(0)
	v_fmac_f64_e32 v[48:49], v[62:63], v[2:3]
	v_fmac_f64_e32 v[46:47], v[64:65], v[2:3]
	v_fmac_f64_e32 v[44:45], v[62:63], v[68:69]
	v_fmac_f64_e32 v[42:43], v[64:65], v[68:69]
	ds_read_b128 v[0:3], v56 offset:192
	ds_read2_b64 v[62:65], v60 offset1:16
	ds_read_b128 v[66:69], v56 offset:4288
	s_waitcnt lgkmcnt(1)
	v_fmac_f64_e32 v[48:49], v[62:63], v[0:1]
	v_fmac_f64_e32 v[46:47], v[64:65], v[0:1]
	s_waitcnt lgkmcnt(0)
	v_fmac_f64_e32 v[44:45], v[62:63], v[66:67]
	v_fmac_f64_e32 v[42:43], v[64:65], v[66:67]
	ds_read2_b64 v[62:65], v60 offset0:32 offset1:48
	s_waitcnt lgkmcnt(0)
	v_fmac_f64_e32 v[48:49], v[62:63], v[2:3]
	v_fmac_f64_e32 v[46:47], v[64:65], v[2:3]
	v_fmac_f64_e32 v[44:45], v[62:63], v[68:69]
	v_fmac_f64_e32 v[42:43], v[64:65], v[68:69]
	ds_read_b128 v[0:3], v56 offset:208
	ds_read2_b64 v[62:65], v60 offset0:64 offset1:80
	ds_read_b128 v[66:69], v56 offset:4304
	s_waitcnt lgkmcnt(1)
	v_fmac_f64_e32 v[48:49], v[62:63], v[0:1]
	v_fmac_f64_e32 v[46:47], v[64:65], v[0:1]
	s_waitcnt lgkmcnt(0)
	v_fmac_f64_e32 v[44:45], v[62:63], v[66:67]
	v_fmac_f64_e32 v[42:43], v[64:65], v[66:67]
	ds_read2_b64 v[62:65], v60 offset0:96 offset1:112
	s_waitcnt lgkmcnt(0)
	v_fmac_f64_e32 v[48:49], v[62:63], v[2:3]
	v_fmac_f64_e32 v[46:47], v[64:65], v[2:3]
	v_fmac_f64_e32 v[44:45], v[62:63], v[68:69]
	v_fmac_f64_e32 v[42:43], v[64:65], v[68:69]
	ds_read_b128 v[0:3], v56 offset:224
	ds_read2_b64 v[62:65], v60 offset0:128 offset1:144
	ds_read_b128 v[66:69], v56 offset:4320
	s_waitcnt lgkmcnt(1)
	v_fmac_f64_e32 v[48:49], v[62:63], v[0:1]
	v_fmac_f64_e32 v[46:47], v[64:65], v[0:1]
	s_waitcnt lgkmcnt(0)
	v_fmac_f64_e32 v[44:45], v[62:63], v[66:67]
	v_fmac_f64_e32 v[42:43], v[64:65], v[66:67]
	ds_read2_b64 v[62:65], v60 offset0:160 offset1:176
	s_waitcnt lgkmcnt(0)
	v_fmac_f64_e32 v[48:49], v[62:63], v[2:3]
	v_fmac_f64_e32 v[46:47], v[64:65], v[2:3]
	v_fmac_f64_e32 v[44:45], v[62:63], v[68:69]
	v_fmac_f64_e32 v[42:43], v[64:65], v[68:69]
	ds_read_b128 v[0:3], v56 offset:240
	ds_read2_b64 v[62:65], v60 offset0:192 offset1:208
	ds_read_b128 v[66:69], v56 offset:4336
	s_waitcnt lgkmcnt(1)
	v_fmac_f64_e32 v[48:49], v[62:63], v[0:1]
	v_fmac_f64_e32 v[46:47], v[64:65], v[0:1]
	s_waitcnt lgkmcnt(0)
	v_fmac_f64_e32 v[44:45], v[62:63], v[66:67]
	v_fmac_f64_e32 v[42:43], v[64:65], v[66:67]
	ds_read2_b64 v[62:65], v60 offset0:224 offset1:240
	s_waitcnt lgkmcnt(0)
	s_barrier
	v_fmac_f64_e32 v[48:49], v[62:63], v[2:3]
	v_fmac_f64_e32 v[46:47], v[64:65], v[2:3]
	;; [unrolled: 1-line block ×4, first 2 shown]
	s_cbranch_scc1 .LBB46_43
.LBB46_7:                               ;   Parent Loop BB46_4 Depth=1
                                        ; =>  This Inner Loop Header: Depth=2
	v_lshl_add_u64 v[54:55], v[4:5], 0, s[40:41]
	v_cmp_le_i64_e64 s[16:17], s[42:43], v[54:55]
	v_cmp_eq_u64_e64 s[4:5], s[40:41], v[20:21]
	v_cmp_gt_i64_e64 s[14:15], v[54:55], v[10:11]
	s_and_b64 s[12:13], s[30:31], s[4:5]
	s_or_b64 s[4:5], s[16:17], s[14:15]
	s_or_b64 s[4:5], s[4:5], s[12:13]
	v_lshl_add_u64 v[0:1], v[12:13], 0, s[36:37]
	s_nor_b64 s[4:5], s[0:1], s[4:5]
                                        ; implicit-def: $vgpr2_vgpr3
	s_and_saveexec_b64 s[18:19], s[4:5]
	s_xor_b64 s[4:5], exec, s[18:19]
	s_cbranch_execz .LBB46_9
; %bb.8:                                ;   in Loop: Header=BB46_7 Depth=2
	global_load_dwordx2 v[2:3], v[0:1], off
.LBB46_9:                               ;   in Loop: Header=BB46_7 Depth=2
	s_andn2_saveexec_b64 s[4:5], s[4:5]
	s_cbranch_execz .LBB46_11
; %bb.10:                               ;   in Loop: Header=BB46_7 Depth=2
	v_cndmask_b32_e64 v7, 0, v37, s[12:13]
	s_waitcnt vmcnt(0)
	v_mov_b64_e32 v[2:3], v[6:7]
.LBB46_11:                              ;   in Loop: Header=BB46_7 Depth=2
	s_or_b64 exec, exec, s[4:5]
	v_cmp_eq_u64_e64 s[4:5], s[40:41], v[22:23]
	s_and_b64 s[18:19], s[30:31], s[4:5]
	v_cmp_lt_i64_e64 s[4:5], v[16:17], v[54:55]
	s_or_b64 s[4:5], s[16:17], s[4:5]
	s_or_b64 s[4:5], s[4:5], s[18:19]
	s_waitcnt vmcnt(0)
	ds_write_b64 v41, v[2:3]
	s_nor_b64 s[4:5], s[20:21], s[4:5]
	v_lshl_add_u64 v[2:3], v[34:35], 0, s[36:37]
	s_and_saveexec_b64 s[16:17], s[4:5]
	s_xor_b64 s[4:5], exec, s[16:17]
	s_cbranch_execz .LBB46_13
; %bb.12:                               ;   in Loop: Header=BB46_7 Depth=2
	global_load_dwordx2 v[62:63], v[2:3], off
	s_waitcnt vmcnt(0)
	ds_write_b64 v41, v[62:63] offset:128
.LBB46_13:                              ;   in Loop: Header=BB46_7 Depth=2
	s_andn2_saveexec_b64 s[4:5], s[4:5]
	s_cbranch_execz .LBB46_19
; %bb.14:                               ;   in Loop: Header=BB46_7 Depth=2
	s_xor_b64 s[16:17], s[18:19], -1
	s_and_saveexec_b64 s[18:19], s[16:17]
	s_xor_b64 s[16:17], exec, s[18:19]
; %bb.15:                               ;   in Loop: Header=BB46_7 Depth=2
	ds_write_b64 v41, v[38:39] offset:128
; %bb.16:                               ;   in Loop: Header=BB46_7 Depth=2
	s_andn2_saveexec_b64 s[16:17], s[16:17]
; %bb.17:                               ;   in Loop: Header=BB46_7 Depth=2
	ds_write_b64 v41, v[36:37] offset:128
; %bb.18:                               ;   in Loop: Header=BB46_7 Depth=2
	s_or_b64 exec, exec, s[16:17]
.LBB46_19:                              ;   in Loop: Header=BB46_7 Depth=2
	s_or_b64 exec, exec, s[4:5]
	v_lshl_add_u64 v[54:55], v[54:55], 0, 16
	v_cmp_eq_u64_e64 s[4:5], s[40:41], v[24:25]
	v_cmp_le_i64_e64 s[16:17], s[42:43], v[54:55]
	s_and_b64 s[18:19], s[30:31], s[4:5]
	v_cmp_gt_i64_e64 s[4:5], v[54:55], v[10:11]
	s_or_b64 s[4:5], s[16:17], s[4:5]
	s_or_b64 s[4:5], s[4:5], s[18:19]
	s_nor_b64 s[4:5], s[0:1], s[4:5]
                                        ; implicit-def: $vgpr54_vgpr55
	s_and_saveexec_b64 s[44:45], s[4:5]
	s_xor_b64 s[4:5], exec, s[44:45]
	s_cbranch_execz .LBB46_21
; %bb.20:                               ;   in Loop: Header=BB46_7 Depth=2
	global_load_dwordx2 v[54:55], v[0:1], off offset:128
.LBB46_21:                              ;   in Loop: Header=BB46_7 Depth=2
	s_andn2_saveexec_b64 s[4:5], s[4:5]
	s_cbranch_execz .LBB46_23
; %bb.22:                               ;   in Loop: Header=BB46_7 Depth=2
	v_cndmask_b32_e64 v7, 0, v37, s[18:19]
	s_waitcnt vmcnt(0)
	v_mov_b64_e32 v[54:55], v[6:7]
.LBB46_23:                              ;   in Loop: Header=BB46_7 Depth=2
	s_or_b64 exec, exec, s[4:5]
	s_or_b64 s[4:5], s[16:17], s[14:15]
	s_or_b64 s[4:5], s[4:5], s[12:13]
	s_nor_b64 s[4:5], s[20:21], s[4:5]
	s_waitcnt vmcnt(0)
	ds_write_b64 v41, v[54:55] offset:4096
	s_and_saveexec_b64 s[14:15], s[4:5]
	s_xor_b64 s[4:5], exec, s[14:15]
	s_cbranch_execz .LBB46_25
; %bb.24:                               ;   in Loop: Header=BB46_7 Depth=2
	global_load_dwordx2 v[0:1], v[2:3], off offset:128
	s_waitcnt vmcnt(0)
	ds_write_b64 v41, v[0:1] offset:4224
.LBB46_25:                              ;   in Loop: Header=BB46_7 Depth=2
	s_andn2_saveexec_b64 s[4:5], s[4:5]
	s_cbranch_execz .LBB46_31
; %bb.26:                               ;   in Loop: Header=BB46_7 Depth=2
	s_xor_b64 s[12:13], s[12:13], -1
	s_and_saveexec_b64 s[14:15], s[12:13]
	s_xor_b64 s[12:13], exec, s[14:15]
; %bb.27:                               ;   in Loop: Header=BB46_7 Depth=2
	ds_write_b64 v41, v[38:39] offset:4224
; %bb.28:                               ;   in Loop: Header=BB46_7 Depth=2
	s_andn2_saveexec_b64 s[12:13], s[12:13]
; %bb.29:                               ;   in Loop: Header=BB46_7 Depth=2
	ds_write_b64 v41, v[36:37] offset:4224
; %bb.30:                               ;   in Loop: Header=BB46_7 Depth=2
	s_or_b64 exec, exec, s[12:13]
.LBB46_31:                              ;   in Loop: Header=BB46_7 Depth=2
	s_or_b64 exec, exec, s[4:5]
	v_lshl_add_u64 v[2:3], v[8:9], 0, s[40:41]
	v_cmp_gt_i64_e64 s[12:13], s[42:43], v[2:3]
	v_lshl_add_u64 v[0:1], v[50:51], 0, s[36:37]
	s_and_b64 s[14:15], vcc, s[12:13]
	v_mov_b64_e32 v[54:55], 0
	s_and_saveexec_b64 s[4:5], s[14:15]
	s_cbranch_execz .LBB46_33
; %bb.32:                               ;   in Loop: Header=BB46_7 Depth=2
	global_load_dwordx2 v[54:55], v[0:1], off offset:-128
.LBB46_33:                              ;   in Loop: Header=BB46_7 Depth=2
	s_or_b64 exec, exec, s[4:5]
	v_cmp_gt_i64_e64 s[14:15], s[46:47], v[2:3]
	s_and_b64 s[4:5], vcc, s[14:15]
	s_xor_b64 s[4:5], s[4:5], -1
	s_waitcnt vmcnt(0)
	ds_write_b64 v57, v[54:55]
	s_and_saveexec_b64 s[16:17], s[4:5]
	s_xor_b64 s[4:5], exec, s[16:17]
; %bb.34:                               ;   in Loop: Header=BB46_7 Depth=2
	ds_write_b64 v57, v[38:39] offset:128
                                        ; implicit-def: $vgpr0_vgpr1
; %bb.35:                               ;   in Loop: Header=BB46_7 Depth=2
	s_andn2_saveexec_b64 s[4:5], s[4:5]
	s_cbranch_execz .LBB46_37
; %bb.36:                               ;   in Loop: Header=BB46_7 Depth=2
	global_load_dwordx2 v[0:1], v[0:1], off
	s_waitcnt vmcnt(0)
	ds_write_b64 v57, v[0:1] offset:128
.LBB46_37:                              ;   in Loop: Header=BB46_7 Depth=2
	s_or_b64 exec, exec, s[4:5]
	v_lshl_add_u64 v[0:1], v[52:53], 0, s[36:37]
	s_and_b64 s[12:13], s[10:11], s[12:13]
	v_mov_b64_e32 v[2:3], 0
	s_and_saveexec_b64 s[4:5], s[12:13]
	s_cbranch_execz .LBB46_39
; %bb.38:                               ;   in Loop: Header=BB46_7 Depth=2
	global_load_dwordx2 v[2:3], v[0:1], off
.LBB46_39:                              ;   in Loop: Header=BB46_7 Depth=2
	s_or_b64 exec, exec, s[4:5]
	s_and_b64 s[4:5], s[10:11], s[14:15]
	s_xor_b64 s[4:5], s[4:5], -1
	s_waitcnt vmcnt(0)
	ds_write_b64 v57, v[2:3] offset:4096
	s_and_saveexec_b64 s[12:13], s[4:5]
	s_xor_b64 s[4:5], exec, s[12:13]
; %bb.40:                               ;   in Loop: Header=BB46_7 Depth=2
	ds_write_b64 v57, v[38:39] offset:4224
                                        ; implicit-def: $vgpr0_vgpr1
; %bb.41:                               ;   in Loop: Header=BB46_7 Depth=2
	s_andn2_saveexec_b64 s[4:5], s[4:5]
	s_cbranch_execz .LBB46_6
; %bb.42:                               ;   in Loop: Header=BB46_7 Depth=2
	global_load_dwordx2 v[0:1], v[0:1], off offset:128
	s_waitcnt vmcnt(0)
	ds_write_b64 v57, v[0:1] offset:4224
	s_branch .LBB46_6
.LBB46_43:                              ;   in Loop: Header=BB46_4 Depth=1
	v_mul_lo_u32 v2, s53, v40
	v_mul_lo_u32 v3, s52, v15
	v_mad_u64_u32 v[0:1], s[4:5], s52, v40, 0
	v_cmp_gt_i32_e32 vcc, s38, v40
	v_add3_u32 v1, v1, v3, v2
	v_lshl_add_u64 v[0:1], v[0:1], 3, s[28:29]
	s_and_b64 s[10:11], s[22:23], vcc
	s_and_saveexec_b64 s[4:5], s[10:11]
	s_cbranch_execz .LBB46_45
; %bb.44:                               ;   in Loop: Header=BB46_4 Depth=1
	v_lshl_add_u64 v[2:3], v[10:11], 3, v[0:1]
	global_load_dwordx2 v[50:51], v[2:3], off
	s_waitcnt vmcnt(0)
	v_fmac_f64_e32 v[50:51], s[34:35], v[48:49]
	global_store_dwordx2 v[2:3], v[50:51], off
.LBB46_45:                              ;   in Loop: Header=BB46_4 Depth=1
	s_or_b64 exec, exec, s[4:5]
	s_and_b64 s[10:11], s[6:7], vcc
	s_and_saveexec_b64 s[4:5], s[10:11]
	s_cbranch_execz .LBB46_47
; %bb.46:                               ;   in Loop: Header=BB46_4 Depth=1
	v_lshl_add_u64 v[0:1], v[18:19], 3, v[0:1]
	global_load_dwordx2 v[2:3], v[0:1], off
	s_waitcnt vmcnt(0)
	v_fmac_f64_e32 v[2:3], s[34:35], v[46:47]
	global_store_dwordx2 v[0:1], v[2:3], off
.LBB46_47:                              ;   in Loop: Header=BB46_4 Depth=1
	s_or_b64 exec, exec, s[4:5]
	v_add_u32_e32 v0, 16, v40
	v_ashrrev_i32_e32 v1, 31, v0
	v_cmp_gt_i32_e32 vcc, s38, v0
	v_mul_lo_u32 v2, s52, v1
	v_mul_lo_u32 v3, s53, v0
	v_mad_u64_u32 v[0:1], s[4:5], s52, v0, 0
	v_add3_u32 v1, v1, v2, v3
	v_lshl_add_u64 v[0:1], v[0:1], 3, s[28:29]
	s_and_b64 s[10:11], s[22:23], vcc
	s_and_saveexec_b64 s[4:5], s[10:11]
	s_cbranch_execz .LBB46_49
; %bb.48:                               ;   in Loop: Header=BB46_4 Depth=1
	v_lshl_add_u64 v[2:3], v[10:11], 3, v[0:1]
	global_load_dwordx2 v[46:47], v[2:3], off
	s_waitcnt vmcnt(0)
	v_fmac_f64_e32 v[46:47], s[34:35], v[44:45]
	global_store_dwordx2 v[2:3], v[46:47], off
.LBB46_49:                              ;   in Loop: Header=BB46_4 Depth=1
	s_or_b64 exec, exec, s[4:5]
	s_and_b64 s[10:11], s[6:7], vcc
	s_and_saveexec_b64 s[4:5], s[10:11]
	s_cbranch_execz .LBB46_3
; %bb.50:                               ;   in Loop: Header=BB46_4 Depth=1
	v_lshl_add_u64 v[0:1], v[18:19], 3, v[0:1]
	global_load_dwordx2 v[2:3], v[0:1], off
	s_waitcnt vmcnt(0)
	v_fmac_f64_e32 v[2:3], s[34:35], v[42:43]
	global_store_dwordx2 v[0:1], v[2:3], off
	s_branch .LBB46_3
.LBB46_51:
	s_endpgm
	.section	.rodata,"a",@progbits
	.p2align	6, 0x0
	.amdhsa_kernel _ZL30rocblas_trmm_outofplace_kernelIdLi32ELi2ELb1ELb1ELb1ELb1EPKdS0_dEv17rocblas_diagonal_iiT6_lPT7_lllS5_lllPT8_llli
		.amdhsa_group_segment_fixed_size 16384
		.amdhsa_private_segment_fixed_size 0
		.amdhsa_kernarg_size 392
		.amdhsa_user_sgpr_count 2
		.amdhsa_user_sgpr_dispatch_ptr 0
		.amdhsa_user_sgpr_queue_ptr 0
		.amdhsa_user_sgpr_kernarg_segment_ptr 1
		.amdhsa_user_sgpr_dispatch_id 0
		.amdhsa_user_sgpr_kernarg_preload_length 0
		.amdhsa_user_sgpr_kernarg_preload_offset 0
		.amdhsa_user_sgpr_private_segment_size 0
		.amdhsa_uses_dynamic_stack 0
		.amdhsa_enable_private_segment 0
		.amdhsa_system_sgpr_workgroup_id_x 1
		.amdhsa_system_sgpr_workgroup_id_y 1
		.amdhsa_system_sgpr_workgroup_id_z 1
		.amdhsa_system_sgpr_workgroup_info 0
		.amdhsa_system_vgpr_workitem_id 1
		.amdhsa_next_free_vgpr 82
		.amdhsa_next_free_sgpr 56
		.amdhsa_accum_offset 84
		.amdhsa_reserve_vcc 1
		.amdhsa_float_round_mode_32 0
		.amdhsa_float_round_mode_16_64 0
		.amdhsa_float_denorm_mode_32 3
		.amdhsa_float_denorm_mode_16_64 3
		.amdhsa_dx10_clamp 1
		.amdhsa_ieee_mode 1
		.amdhsa_fp16_overflow 0
		.amdhsa_tg_split 0
		.amdhsa_exception_fp_ieee_invalid_op 0
		.amdhsa_exception_fp_denorm_src 0
		.amdhsa_exception_fp_ieee_div_zero 0
		.amdhsa_exception_fp_ieee_overflow 0
		.amdhsa_exception_fp_ieee_underflow 0
		.amdhsa_exception_fp_ieee_inexact 0
		.amdhsa_exception_int_div_zero 0
	.end_amdhsa_kernel
	.section	.text._ZL30rocblas_trmm_outofplace_kernelIdLi32ELi2ELb1ELb1ELb1ELb1EPKdS0_dEv17rocblas_diagonal_iiT6_lPT7_lllS5_lllPT8_llli,"axG",@progbits,_ZL30rocblas_trmm_outofplace_kernelIdLi32ELi2ELb1ELb1ELb1ELb1EPKdS0_dEv17rocblas_diagonal_iiT6_lPT7_lllS5_lllPT8_llli,comdat
.Lfunc_end46:
	.size	_ZL30rocblas_trmm_outofplace_kernelIdLi32ELi2ELb1ELb1ELb1ELb1EPKdS0_dEv17rocblas_diagonal_iiT6_lPT7_lllS5_lllPT8_llli, .Lfunc_end46-_ZL30rocblas_trmm_outofplace_kernelIdLi32ELi2ELb1ELb1ELb1ELb1EPKdS0_dEv17rocblas_diagonal_iiT6_lPT7_lllS5_lllPT8_llli
                                        ; -- End function
	.set _ZL30rocblas_trmm_outofplace_kernelIdLi32ELi2ELb1ELb1ELb1ELb1EPKdS0_dEv17rocblas_diagonal_iiT6_lPT7_lllS5_lllPT8_llli.num_vgpr, 82
	.set _ZL30rocblas_trmm_outofplace_kernelIdLi32ELi2ELb1ELb1ELb1ELb1EPKdS0_dEv17rocblas_diagonal_iiT6_lPT7_lllS5_lllPT8_llli.num_agpr, 0
	.set _ZL30rocblas_trmm_outofplace_kernelIdLi32ELi2ELb1ELb1ELb1ELb1EPKdS0_dEv17rocblas_diagonal_iiT6_lPT7_lllS5_lllPT8_llli.numbered_sgpr, 56
	.set _ZL30rocblas_trmm_outofplace_kernelIdLi32ELi2ELb1ELb1ELb1ELb1EPKdS0_dEv17rocblas_diagonal_iiT6_lPT7_lllS5_lllPT8_llli.num_named_barrier, 0
	.set _ZL30rocblas_trmm_outofplace_kernelIdLi32ELi2ELb1ELb1ELb1ELb1EPKdS0_dEv17rocblas_diagonal_iiT6_lPT7_lllS5_lllPT8_llli.private_seg_size, 0
	.set _ZL30rocblas_trmm_outofplace_kernelIdLi32ELi2ELb1ELb1ELb1ELb1EPKdS0_dEv17rocblas_diagonal_iiT6_lPT7_lllS5_lllPT8_llli.uses_vcc, 1
	.set _ZL30rocblas_trmm_outofplace_kernelIdLi32ELi2ELb1ELb1ELb1ELb1EPKdS0_dEv17rocblas_diagonal_iiT6_lPT7_lllS5_lllPT8_llli.uses_flat_scratch, 0
	.set _ZL30rocblas_trmm_outofplace_kernelIdLi32ELi2ELb1ELb1ELb1ELb1EPKdS0_dEv17rocblas_diagonal_iiT6_lPT7_lllS5_lllPT8_llli.has_dyn_sized_stack, 0
	.set _ZL30rocblas_trmm_outofplace_kernelIdLi32ELi2ELb1ELb1ELb1ELb1EPKdS0_dEv17rocblas_diagonal_iiT6_lPT7_lllS5_lllPT8_llli.has_recursion, 0
	.set _ZL30rocblas_trmm_outofplace_kernelIdLi32ELi2ELb1ELb1ELb1ELb1EPKdS0_dEv17rocblas_diagonal_iiT6_lPT7_lllS5_lllPT8_llli.has_indirect_call, 0
	.section	.AMDGPU.csdata,"",@progbits
; Kernel info:
; codeLenInByte = 3080
; TotalNumSgprs: 62
; NumVgprs: 82
; NumAgprs: 0
; TotalNumVgprs: 82
; ScratchSize: 0
; MemoryBound: 0
; FloatMode: 240
; IeeeMode: 1
; LDSByteSize: 16384 bytes/workgroup (compile time only)
; SGPRBlocks: 7
; VGPRBlocks: 10
; NumSGPRsForWavesPerEU: 62
; NumVGPRsForWavesPerEU: 82
; AccumOffset: 84
; Occupancy: 5
; WaveLimiterHint : 0
; COMPUTE_PGM_RSRC2:SCRATCH_EN: 0
; COMPUTE_PGM_RSRC2:USER_SGPR: 2
; COMPUTE_PGM_RSRC2:TRAP_HANDLER: 0
; COMPUTE_PGM_RSRC2:TGID_X_EN: 1
; COMPUTE_PGM_RSRC2:TGID_Y_EN: 1
; COMPUTE_PGM_RSRC2:TGID_Z_EN: 1
; COMPUTE_PGM_RSRC2:TIDIG_COMP_CNT: 1
; COMPUTE_PGM_RSRC3_GFX90A:ACCUM_OFFSET: 20
; COMPUTE_PGM_RSRC3_GFX90A:TG_SPLIT: 0
	.section	.text._ZL30rocblas_trmm_outofplace_kernelIdLi32ELi2ELb1ELb1ELb1ELb1EdKddEv17rocblas_diagonal_iiT6_lPT7_lllS4_lllPT8_llli,"axG",@progbits,_ZL30rocblas_trmm_outofplace_kernelIdLi32ELi2ELb1ELb1ELb1ELb1EdKddEv17rocblas_diagonal_iiT6_lPT7_lllS4_lllPT8_llli,comdat
	.globl	_ZL30rocblas_trmm_outofplace_kernelIdLi32ELi2ELb1ELb1ELb1ELb1EdKddEv17rocblas_diagonal_iiT6_lPT7_lllS4_lllPT8_llli ; -- Begin function _ZL30rocblas_trmm_outofplace_kernelIdLi32ELi2ELb1ELb1ELb1ELb1EdKddEv17rocblas_diagonal_iiT6_lPT7_lllS4_lllPT8_llli
	.p2align	8
	.type	_ZL30rocblas_trmm_outofplace_kernelIdLi32ELi2ELb1ELb1ELb1ELb1EdKddEv17rocblas_diagonal_iiT6_lPT7_lllS4_lllPT8_llli,@function
_ZL30rocblas_trmm_outofplace_kernelIdLi32ELi2ELb1ELb1ELb1ELb1EdKddEv17rocblas_diagonal_iiT6_lPT7_lllS4_lllPT8_llli: ; @_ZL30rocblas_trmm_outofplace_kernelIdLi32ELi2ELb1ELb1ELb1ELb1EdKddEv17rocblas_diagonal_iiT6_lPT7_lllS4_lllPT8_llli
; %bb.0:
	s_load_dwordx2 s[34:35], s[0:1], 0x10
	s_waitcnt lgkmcnt(0)
	v_cmp_eq_f64_e64 s[6:7], s[34:35], 0
	s_and_b64 vcc, exec, s[6:7]
	s_cbranch_vccnz .LBB47_51
; %bb.1:
	s_load_dwordx4 s[28:31], s[0:1], 0x0
	s_waitcnt lgkmcnt(0)
	s_add_i32 s5, s30, -1
	s_ashr_i32 s6, s5, 31
	s_lshr_b32 s6, s6, 27
	s_add_i32 s5, s5, s6
	s_ashr_i32 s31, s5, 5
	s_cmp_gt_i32 s3, s31
	s_cbranch_scc1 .LBB47_51
; %bb.2:
	s_load_dwordx16 s[36:51], s[0:1], 0x20
	s_load_dwordx8 s[20:27], s[0:1], 0x60
	v_and_b32_e32 v8, 0x3ff, v0
	v_bfe_u32 v4, v0, 10, 10
	s_load_dword s54, s[0:1], 0x8c
	s_waitcnt lgkmcnt(0)
	s_mul_i32 s5, s43, s4
	s_mul_hi_u32 s7, s42, s4
	s_mul_i32 s6, s42, s4
	s_add_i32 s7, s7, s5
	s_lshl_b64 s[8:9], s[6:7], 3
	s_add_u32 s5, s36, s8
	s_addc_u32 s7, s37, s9
	s_lshl_b64 s[10:11], s[38:39], 3
	s_add_u32 s6, s5, s10
	s_mul_i32 s5, s27, s4
	s_mul_hi_u32 s12, s26, s4
	s_addc_u32 s7, s7, s11
	s_add_i32 s13, s12, s5
	s_mul_i32 s12, s26, s4
	s_lshl_b64 s[12:13], s[12:13], 3
	s_add_u32 s5, s20, s12
	s_addc_u32 s14, s21, s13
	s_lshl_b64 s[12:13], s[22:23], 3
	s_add_u32 s26, s5, s12
	s_addc_u32 s27, s14, s13
	s_lshl_b32 s33, s2, 5
	v_add_u32_e32 v10, s33, v8
	v_mad_u64_u32 v[0:1], s[12:13], s40, v10, 0
	s_cmp_gt_i32 s2, -1
	s_cselect_b64 s[12:13], -1, 0
	s_cmpk_eq_i32 s28, 0x84
	s_cselect_b64 s[38:39], -1, 0
	s_ashr_i32 s43, s29, 31
	s_ashr_i32 s2, s30, 31
	s_add_u32 s52, s29, -16
	s_mul_i32 s5, s51, s4
	s_mul_hi_u32 s14, s50, s4
	s_addc_u32 s53, s43, -1
	s_add_i32 s5, s14, s5
	s_mul_i32 s4, s50, s4
	s_lshl_b64 s[4:5], s[4:5], 3
	s_lshl_b64 s[14:15], s[46:47], 3
	s_add_u32 s4, s4, s14
	v_ashrrev_i32_e32 v11, 31, v10
	s_addc_u32 s5, s5, s15
	v_mov_b32_e32 v6, 0
	v_mul_lo_u32 v2, s40, v11
	v_mul_lo_u32 v3, s41, v10
	s_add_u32 s4, s44, s4
	v_add3_u32 v1, v1, v2, v3
	v_lshlrev_b32_e32 v14, 3, v8
	v_add_u32_e32 v18, 16, v10
	v_mov_b32_e32 v15, v6
	s_addc_u32 s5, s45, s5
	v_lshl_add_u64 v[0:1], v[0:1], 3, s[6:7]
	s_mov_b32 s42, s29
	v_cmp_le_i32_e64 s[0:1], s29, v10
	v_cmp_gt_i32_e64 s[22:23], s29, v10
	v_cmp_gt_i32_e64 s[6:7], s29, v18
	v_lshl_add_u64 v[26:27], s[4:5], 0, v[14:15]
	s_mov_b64 s[4:5], 0x80
	s_lshl_b64 s[28:29], s[48:49], 3
	s_lshl_b32 s44, s54, 5
	v_lshlrev_b32_e32 v2, 3, v4
	v_mov_b32_e32 v3, v6
	v_lshl_add_u64 v[28:29], v[26:27], 0, s[4:5]
	s_add_u32 s4, s10, s8
	v_lshl_add_u64 v[12:13], v[0:1], 0, v[2:3]
	v_lshlrev_b32_e32 v0, 8, v4
	v_mov_b64_e32 v[32:33], 0x80
	s_addc_u32 s5, s11, s9
	v_add_u32_e32 v41, v14, v0
	v_add_u32_e32 v56, 0x2000, v0
	v_lshl_add_u64 v[0:1], v[10:11], 3, v[32:33]
	v_mov_b64_e32 v[34:35], s[4:5]
	v_mul_lo_u32 v7, s40, v1
	v_mul_lo_u32 v15, s41, v0
	v_mad_u64_u32 v[0:1], s[4:5], s40, v0, v[34:35]
	v_add3_u32 v1, v15, v1, v7
	v_sub_co_u32_e32 v20, vcc, v10, v4
	v_lshl_add_u64 v[0:1], v[0:1], 0, v[2:3]
	v_lshl_add_u64 v[16:17], v[10:11], 0, 16
	v_subbrev_co_u32_e32 v21, vcc, 0, v11, vcc
	v_lshl_add_u64 v[34:35], s[36:37], 0, v[0:1]
	v_cndmask_b32_e64 v0, 0, 1, s[12:13]
	v_mov_b32_e32 v5, v6
	v_mov_b32_e32 v9, v6
	v_add_u32_e32 v57, v56, v14
	v_cmp_le_i64_e64 s[20:21], s[42:43], v[16:17]
	v_ashrrev_i32_e32 v19, 31, v18
	v_lshl_add_u64 v[22:23], v[20:21], 0, 16
	v_lshl_add_u64 v[24:25], v[20:21], 0, -16
	v_lshl_add_u32 v30, s3, 5, v4
	v_cmp_ne_u32_e64 s[8:9], 1, v0
	v_mov_b32_e32 v37, 0x3ff00000
	v_mov_b32_e32 v38, 0
	;; [unrolled: 1-line block ×4, first 2 shown]
	v_add_u32_e32 v58, 0x800, v14
	v_add_u32_e32 v59, 0x1000, v14
	;; [unrolled: 1-line block ×3, first 2 shown]
	s_branch .LBB47_4
.LBB47_3:                               ;   in Loop: Header=BB47_4 Depth=1
	s_or_b64 exec, exec, s[4:5]
	s_add_i32 s3, s54, s3
	s_cmp_le_i32 s3, s31
	v_add_u32_e32 v30, s44, v30
	s_cbranch_scc0 .LBB47_51
.LBB47_4:                               ; =>This Loop Header: Depth=1
                                        ;     Child Loop BB47_7 Depth 2
	v_lshl_add_u32 v40, s3, 5, v4
	v_ashrrev_i32_e32 v15, 31, v40
	v_mov_b64_e32 v[48:49], 0
	s_and_b64 vcc, exec, s[8:9]
	v_mov_b64_e32 v[46:47], 0
	v_mov_b64_e32 v[44:45], 0
	;; [unrolled: 1-line block ×3, first 2 shown]
	s_cbranch_vccnz .LBB47_43
; %bb.5:                                ;   in Loop: Header=BB47_4 Depth=1
	v_ashrrev_i32_e32 v31, 31, v30
	v_mad_u64_u32 v[50:51], s[4:5], s28, v30, v[28:29]
	v_mul_lo_u32 v0, s29, v30
	v_mul_lo_u32 v1, s28, v31
	v_add3_u32 v51, v0, v51, v1
	v_lshl_add_u64 v[0:1], v[30:31], 3, v[32:33]
	v_mul_lo_u32 v1, s48, v1
	v_mul_lo_u32 v2, s49, v0
	v_mad_u64_u32 v[52:53], s[4:5], s48, v0, v[26:27]
	v_add3_u32 v53, v2, v53, v1
	v_mov_b32_e32 v1, s2
	v_sub_co_u32_e32 v0, vcc, s30, v40
	s_mov_b64 s[36:37], 0
	s_nop 0
	v_subb_co_u32_e32 v1, vcc, v1, v15, vcc
	v_cmp_lt_i64_e32 vcc, 0, v[0:1]
	v_cmp_lt_i64_e64 s[10:11], 16, v[0:1]
	v_mov_b64_e32 v[42:43], 0
	s_mov_b64 s[40:41], 0
	v_mov_b64_e32 v[44:45], 0
	v_mov_b64_e32 v[46:47], 0
	;; [unrolled: 1-line block ×3, first 2 shown]
	s_branch .LBB47_7
.LBB47_6:                               ;   in Loop: Header=BB47_7 Depth=2
	s_or_b64 exec, exec, s[4:5]
	s_waitcnt lgkmcnt(0)
	s_barrier
	ds_read_b128 v[62:65], v56
	ds_read_b128 v[66:69], v56 offset:16
	ds_read_b128 v[70:73], v56 offset:32
	;; [unrolled: 1-line block ×3, first 2 shown]
	ds_read2_b64 v[74:77], v14 offset1:16
	ds_read_b128 v[78:81], v56 offset:4096
	s_add_u32 s40, s40, 32
	s_addc_u32 s41, s41, 0
	s_sub_i32 s4, s40, 32
	s_waitcnt lgkmcnt(1)
	v_fmac_f64_e32 v[48:49], v[74:75], v[62:63]
	v_fmac_f64_e32 v[46:47], v[76:77], v[62:63]
	s_waitcnt lgkmcnt(0)
	v_fmac_f64_e32 v[44:45], v[74:75], v[78:79]
	v_fmac_f64_e32 v[42:43], v[76:77], v[78:79]
	ds_read2_b64 v[74:77], v14 offset0:32 offset1:48
	s_add_u32 s36, s36, 0x100
	s_addc_u32 s37, s37, 0
	s_cmp_ge_i32 s4, s33
	s_waitcnt lgkmcnt(0)
	v_fmac_f64_e32 v[48:49], v[74:75], v[64:65]
	v_fmac_f64_e32 v[46:47], v[76:77], v[64:65]
	v_fmac_f64_e32 v[44:45], v[74:75], v[80:81]
	v_fmac_f64_e32 v[42:43], v[76:77], v[80:81]
	ds_read2_b64 v[62:65], v14 offset0:64 offset1:80
	ds_read_b128 v[74:77], v56 offset:4112
	s_waitcnt lgkmcnt(1)
	v_fmac_f64_e32 v[48:49], v[62:63], v[66:67]
	v_fmac_f64_e32 v[46:47], v[64:65], v[66:67]
	s_waitcnt lgkmcnt(0)
	v_fmac_f64_e32 v[44:45], v[62:63], v[74:75]
	v_fmac_f64_e32 v[42:43], v[64:65], v[74:75]
	ds_read2_b64 v[62:65], v14 offset0:96 offset1:112
	s_waitcnt lgkmcnt(0)
	v_fmac_f64_e32 v[48:49], v[62:63], v[68:69]
	v_fmac_f64_e32 v[46:47], v[64:65], v[68:69]
	v_fmac_f64_e32 v[44:45], v[62:63], v[76:77]
	v_fmac_f64_e32 v[42:43], v[64:65], v[76:77]
	ds_read2_b64 v[62:65], v14 offset0:128 offset1:144
	ds_read_b128 v[66:69], v56 offset:4128
	s_waitcnt lgkmcnt(1)
	v_fmac_f64_e32 v[48:49], v[62:63], v[70:71]
	v_fmac_f64_e32 v[46:47], v[64:65], v[70:71]
	s_waitcnt lgkmcnt(0)
	v_fmac_f64_e32 v[44:45], v[62:63], v[66:67]
	v_fmac_f64_e32 v[42:43], v[64:65], v[66:67]
	ds_read2_b64 v[62:65], v14 offset0:160 offset1:176
	;; [unrolled: 14-line block ×3, first 2 shown]
	s_waitcnt lgkmcnt(0)
	v_fmac_f64_e32 v[48:49], v[62:63], v[2:3]
	v_fmac_f64_e32 v[46:47], v[64:65], v[2:3]
	v_fmac_f64_e32 v[44:45], v[62:63], v[68:69]
	v_fmac_f64_e32 v[42:43], v[64:65], v[68:69]
	ds_read_b128 v[0:3], v56 offset:64
	ds_read2_b64 v[62:65], v58 offset1:16
	ds_read_b128 v[66:69], v56 offset:4160
	s_waitcnt lgkmcnt(1)
	v_fmac_f64_e32 v[48:49], v[62:63], v[0:1]
	v_fmac_f64_e32 v[46:47], v[64:65], v[0:1]
	s_waitcnt lgkmcnt(0)
	v_fmac_f64_e32 v[44:45], v[62:63], v[66:67]
	v_fmac_f64_e32 v[42:43], v[64:65], v[66:67]
	ds_read2_b64 v[62:65], v58 offset0:32 offset1:48
	s_waitcnt lgkmcnt(0)
	v_fmac_f64_e32 v[48:49], v[62:63], v[2:3]
	v_fmac_f64_e32 v[46:47], v[64:65], v[2:3]
	v_fmac_f64_e32 v[44:45], v[62:63], v[68:69]
	v_fmac_f64_e32 v[42:43], v[64:65], v[68:69]
	ds_read_b128 v[0:3], v56 offset:80
	ds_read2_b64 v[62:65], v58 offset0:64 offset1:80
	ds_read_b128 v[66:69], v56 offset:4176
	s_waitcnt lgkmcnt(1)
	v_fmac_f64_e32 v[48:49], v[62:63], v[0:1]
	v_fmac_f64_e32 v[46:47], v[64:65], v[0:1]
	s_waitcnt lgkmcnt(0)
	v_fmac_f64_e32 v[44:45], v[62:63], v[66:67]
	v_fmac_f64_e32 v[42:43], v[64:65], v[66:67]
	ds_read2_b64 v[62:65], v58 offset0:96 offset1:112
	s_waitcnt lgkmcnt(0)
	v_fmac_f64_e32 v[48:49], v[62:63], v[2:3]
	v_fmac_f64_e32 v[46:47], v[64:65], v[2:3]
	v_fmac_f64_e32 v[44:45], v[62:63], v[68:69]
	v_fmac_f64_e32 v[42:43], v[64:65], v[68:69]
	ds_read_b128 v[0:3], v56 offset:96
	ds_read2_b64 v[62:65], v58 offset0:128 offset1:144
	ds_read_b128 v[66:69], v56 offset:4192
	s_waitcnt lgkmcnt(1)
	v_fmac_f64_e32 v[48:49], v[62:63], v[0:1]
	v_fmac_f64_e32 v[46:47], v[64:65], v[0:1]
	s_waitcnt lgkmcnt(0)
	v_fmac_f64_e32 v[44:45], v[62:63], v[66:67]
	v_fmac_f64_e32 v[42:43], v[64:65], v[66:67]
	ds_read2_b64 v[62:65], v58 offset0:160 offset1:176
	s_waitcnt lgkmcnt(0)
	v_fmac_f64_e32 v[48:49], v[62:63], v[2:3]
	v_fmac_f64_e32 v[46:47], v[64:65], v[2:3]
	v_fmac_f64_e32 v[44:45], v[62:63], v[68:69]
	v_fmac_f64_e32 v[42:43], v[64:65], v[68:69]
	ds_read_b128 v[0:3], v56 offset:112
	ds_read2_b64 v[62:65], v58 offset0:192 offset1:208
	ds_read_b128 v[66:69], v56 offset:4208
	s_waitcnt lgkmcnt(1)
	v_fmac_f64_e32 v[48:49], v[62:63], v[0:1]
	v_fmac_f64_e32 v[46:47], v[64:65], v[0:1]
	s_waitcnt lgkmcnt(0)
	v_fmac_f64_e32 v[44:45], v[62:63], v[66:67]
	v_fmac_f64_e32 v[42:43], v[64:65], v[66:67]
	ds_read2_b64 v[62:65], v58 offset0:224 offset1:240
	s_waitcnt lgkmcnt(0)
	v_fmac_f64_e32 v[48:49], v[62:63], v[2:3]
	v_fmac_f64_e32 v[46:47], v[64:65], v[2:3]
	v_fmac_f64_e32 v[44:45], v[62:63], v[68:69]
	v_fmac_f64_e32 v[42:43], v[64:65], v[68:69]
	ds_read_b128 v[0:3], v56 offset:128
	ds_read2_b64 v[62:65], v59 offset1:16
	ds_read_b128 v[66:69], v56 offset:4224
	s_waitcnt lgkmcnt(1)
	v_fmac_f64_e32 v[48:49], v[62:63], v[0:1]
	v_fmac_f64_e32 v[46:47], v[64:65], v[0:1]
	s_waitcnt lgkmcnt(0)
	v_fmac_f64_e32 v[44:45], v[62:63], v[66:67]
	v_fmac_f64_e32 v[42:43], v[64:65], v[66:67]
	ds_read2_b64 v[62:65], v59 offset0:32 offset1:48
	s_waitcnt lgkmcnt(0)
	v_fmac_f64_e32 v[48:49], v[62:63], v[2:3]
	v_fmac_f64_e32 v[46:47], v[64:65], v[2:3]
	v_fmac_f64_e32 v[44:45], v[62:63], v[68:69]
	v_fmac_f64_e32 v[42:43], v[64:65], v[68:69]
	ds_read_b128 v[0:3], v56 offset:144
	ds_read2_b64 v[62:65], v59 offset0:64 offset1:80
	ds_read_b128 v[66:69], v56 offset:4240
	s_waitcnt lgkmcnt(1)
	v_fmac_f64_e32 v[48:49], v[62:63], v[0:1]
	v_fmac_f64_e32 v[46:47], v[64:65], v[0:1]
	s_waitcnt lgkmcnt(0)
	v_fmac_f64_e32 v[44:45], v[62:63], v[66:67]
	v_fmac_f64_e32 v[42:43], v[64:65], v[66:67]
	ds_read2_b64 v[62:65], v59 offset0:96 offset1:112
	s_waitcnt lgkmcnt(0)
	v_fmac_f64_e32 v[48:49], v[62:63], v[2:3]
	v_fmac_f64_e32 v[46:47], v[64:65], v[2:3]
	v_fmac_f64_e32 v[44:45], v[62:63], v[68:69]
	v_fmac_f64_e32 v[42:43], v[64:65], v[68:69]
	ds_read_b128 v[0:3], v56 offset:160
	ds_read2_b64 v[62:65], v59 offset0:128 offset1:144
	ds_read_b128 v[66:69], v56 offset:4256
	s_waitcnt lgkmcnt(1)
	v_fmac_f64_e32 v[48:49], v[62:63], v[0:1]
	v_fmac_f64_e32 v[46:47], v[64:65], v[0:1]
	s_waitcnt lgkmcnt(0)
	v_fmac_f64_e32 v[44:45], v[62:63], v[66:67]
	v_fmac_f64_e32 v[42:43], v[64:65], v[66:67]
	ds_read2_b64 v[62:65], v59 offset0:160 offset1:176
	s_waitcnt lgkmcnt(0)
	v_fmac_f64_e32 v[48:49], v[62:63], v[2:3]
	v_fmac_f64_e32 v[46:47], v[64:65], v[2:3]
	v_fmac_f64_e32 v[44:45], v[62:63], v[68:69]
	v_fmac_f64_e32 v[42:43], v[64:65], v[68:69]
	ds_read_b128 v[0:3], v56 offset:176
	ds_read2_b64 v[62:65], v59 offset0:192 offset1:208
	ds_read_b128 v[66:69], v56 offset:4272
	s_waitcnt lgkmcnt(1)
	v_fmac_f64_e32 v[48:49], v[62:63], v[0:1]
	v_fmac_f64_e32 v[46:47], v[64:65], v[0:1]
	s_waitcnt lgkmcnt(0)
	v_fmac_f64_e32 v[44:45], v[62:63], v[66:67]
	v_fmac_f64_e32 v[42:43], v[64:65], v[66:67]
	ds_read2_b64 v[62:65], v59 offset0:224 offset1:240
	;; [unrolled: 60-line block ×3, first 2 shown]
	s_waitcnt lgkmcnt(0)
	s_barrier
	v_fmac_f64_e32 v[48:49], v[62:63], v[2:3]
	v_fmac_f64_e32 v[46:47], v[64:65], v[2:3]
	;; [unrolled: 1-line block ×4, first 2 shown]
	s_cbranch_scc1 .LBB47_43
.LBB47_7:                               ;   Parent Loop BB47_4 Depth=1
                                        ; =>  This Inner Loop Header: Depth=2
	v_lshl_add_u64 v[54:55], v[4:5], 0, s[40:41]
	v_cmp_le_i64_e64 s[16:17], s[42:43], v[54:55]
	v_cmp_eq_u64_e64 s[4:5], s[40:41], v[20:21]
	v_cmp_gt_i64_e64 s[14:15], v[54:55], v[10:11]
	s_and_b64 s[12:13], s[38:39], s[4:5]
	s_or_b64 s[4:5], s[16:17], s[14:15]
	s_or_b64 s[4:5], s[4:5], s[12:13]
	v_lshl_add_u64 v[0:1], v[12:13], 0, s[36:37]
	s_nor_b64 s[4:5], s[0:1], s[4:5]
                                        ; implicit-def: $vgpr2_vgpr3
	s_and_saveexec_b64 s[18:19], s[4:5]
	s_xor_b64 s[4:5], exec, s[18:19]
	s_cbranch_execz .LBB47_9
; %bb.8:                                ;   in Loop: Header=BB47_7 Depth=2
	global_load_dwordx2 v[2:3], v[0:1], off
.LBB47_9:                               ;   in Loop: Header=BB47_7 Depth=2
	s_andn2_saveexec_b64 s[4:5], s[4:5]
	s_cbranch_execz .LBB47_11
; %bb.10:                               ;   in Loop: Header=BB47_7 Depth=2
	v_cndmask_b32_e64 v7, 0, v37, s[12:13]
	s_waitcnt vmcnt(0)
	v_mov_b64_e32 v[2:3], v[6:7]
.LBB47_11:                              ;   in Loop: Header=BB47_7 Depth=2
	s_or_b64 exec, exec, s[4:5]
	v_cmp_eq_u64_e64 s[4:5], s[40:41], v[22:23]
	s_and_b64 s[18:19], s[38:39], s[4:5]
	v_cmp_lt_i64_e64 s[4:5], v[16:17], v[54:55]
	s_or_b64 s[4:5], s[16:17], s[4:5]
	s_or_b64 s[4:5], s[4:5], s[18:19]
	s_waitcnt vmcnt(0)
	ds_write_b64 v41, v[2:3]
	s_nor_b64 s[4:5], s[20:21], s[4:5]
	v_lshl_add_u64 v[2:3], v[34:35], 0, s[36:37]
	s_and_saveexec_b64 s[16:17], s[4:5]
	s_xor_b64 s[4:5], exec, s[16:17]
	s_cbranch_execz .LBB47_13
; %bb.12:                               ;   in Loop: Header=BB47_7 Depth=2
	global_load_dwordx2 v[62:63], v[2:3], off
	s_waitcnt vmcnt(0)
	ds_write_b64 v41, v[62:63] offset:128
.LBB47_13:                              ;   in Loop: Header=BB47_7 Depth=2
	s_andn2_saveexec_b64 s[4:5], s[4:5]
	s_cbranch_execz .LBB47_19
; %bb.14:                               ;   in Loop: Header=BB47_7 Depth=2
	s_xor_b64 s[16:17], s[18:19], -1
	s_and_saveexec_b64 s[18:19], s[16:17]
	s_xor_b64 s[16:17], exec, s[18:19]
; %bb.15:                               ;   in Loop: Header=BB47_7 Depth=2
	ds_write_b64 v41, v[38:39] offset:128
; %bb.16:                               ;   in Loop: Header=BB47_7 Depth=2
	s_andn2_saveexec_b64 s[16:17], s[16:17]
; %bb.17:                               ;   in Loop: Header=BB47_7 Depth=2
	ds_write_b64 v41, v[36:37] offset:128
; %bb.18:                               ;   in Loop: Header=BB47_7 Depth=2
	s_or_b64 exec, exec, s[16:17]
.LBB47_19:                              ;   in Loop: Header=BB47_7 Depth=2
	s_or_b64 exec, exec, s[4:5]
	v_lshl_add_u64 v[54:55], v[54:55], 0, 16
	v_cmp_eq_u64_e64 s[4:5], s[40:41], v[24:25]
	v_cmp_le_i64_e64 s[16:17], s[42:43], v[54:55]
	s_and_b64 s[18:19], s[38:39], s[4:5]
	v_cmp_gt_i64_e64 s[4:5], v[54:55], v[10:11]
	s_or_b64 s[4:5], s[16:17], s[4:5]
	s_or_b64 s[4:5], s[4:5], s[18:19]
	s_nor_b64 s[4:5], s[0:1], s[4:5]
                                        ; implicit-def: $vgpr54_vgpr55
	s_and_saveexec_b64 s[46:47], s[4:5]
	s_xor_b64 s[4:5], exec, s[46:47]
	s_cbranch_execz .LBB47_21
; %bb.20:                               ;   in Loop: Header=BB47_7 Depth=2
	global_load_dwordx2 v[54:55], v[0:1], off offset:128
.LBB47_21:                              ;   in Loop: Header=BB47_7 Depth=2
	s_andn2_saveexec_b64 s[4:5], s[4:5]
	s_cbranch_execz .LBB47_23
; %bb.22:                               ;   in Loop: Header=BB47_7 Depth=2
	v_cndmask_b32_e64 v7, 0, v37, s[18:19]
	s_waitcnt vmcnt(0)
	v_mov_b64_e32 v[54:55], v[6:7]
.LBB47_23:                              ;   in Loop: Header=BB47_7 Depth=2
	s_or_b64 exec, exec, s[4:5]
	s_or_b64 s[4:5], s[16:17], s[14:15]
	s_or_b64 s[4:5], s[4:5], s[12:13]
	s_nor_b64 s[4:5], s[20:21], s[4:5]
	s_waitcnt vmcnt(0)
	ds_write_b64 v41, v[54:55] offset:4096
	s_and_saveexec_b64 s[14:15], s[4:5]
	s_xor_b64 s[4:5], exec, s[14:15]
	s_cbranch_execz .LBB47_25
; %bb.24:                               ;   in Loop: Header=BB47_7 Depth=2
	global_load_dwordx2 v[0:1], v[2:3], off offset:128
	s_waitcnt vmcnt(0)
	ds_write_b64 v41, v[0:1] offset:4224
.LBB47_25:                              ;   in Loop: Header=BB47_7 Depth=2
	s_andn2_saveexec_b64 s[4:5], s[4:5]
	s_cbranch_execz .LBB47_31
; %bb.26:                               ;   in Loop: Header=BB47_7 Depth=2
	s_xor_b64 s[12:13], s[12:13], -1
	s_and_saveexec_b64 s[14:15], s[12:13]
	s_xor_b64 s[12:13], exec, s[14:15]
; %bb.27:                               ;   in Loop: Header=BB47_7 Depth=2
	ds_write_b64 v41, v[38:39] offset:4224
; %bb.28:                               ;   in Loop: Header=BB47_7 Depth=2
	s_andn2_saveexec_b64 s[12:13], s[12:13]
; %bb.29:                               ;   in Loop: Header=BB47_7 Depth=2
	ds_write_b64 v41, v[36:37] offset:4224
; %bb.30:                               ;   in Loop: Header=BB47_7 Depth=2
	s_or_b64 exec, exec, s[12:13]
.LBB47_31:                              ;   in Loop: Header=BB47_7 Depth=2
	s_or_b64 exec, exec, s[4:5]
	v_lshl_add_u64 v[2:3], v[8:9], 0, s[40:41]
	v_cmp_gt_i64_e64 s[12:13], s[42:43], v[2:3]
	v_lshl_add_u64 v[0:1], v[50:51], 0, s[36:37]
	s_and_b64 s[14:15], vcc, s[12:13]
	v_mov_b64_e32 v[54:55], 0
	s_and_saveexec_b64 s[4:5], s[14:15]
	s_cbranch_execz .LBB47_33
; %bb.32:                               ;   in Loop: Header=BB47_7 Depth=2
	global_load_dwordx2 v[54:55], v[0:1], off offset:-128
.LBB47_33:                              ;   in Loop: Header=BB47_7 Depth=2
	s_or_b64 exec, exec, s[4:5]
	v_cmp_gt_i64_e64 s[14:15], s[52:53], v[2:3]
	s_and_b64 s[4:5], vcc, s[14:15]
	s_xor_b64 s[4:5], s[4:5], -1
	s_waitcnt vmcnt(0)
	ds_write_b64 v57, v[54:55]
	s_and_saveexec_b64 s[16:17], s[4:5]
	s_xor_b64 s[4:5], exec, s[16:17]
; %bb.34:                               ;   in Loop: Header=BB47_7 Depth=2
	ds_write_b64 v57, v[38:39] offset:128
                                        ; implicit-def: $vgpr0_vgpr1
; %bb.35:                               ;   in Loop: Header=BB47_7 Depth=2
	s_andn2_saveexec_b64 s[4:5], s[4:5]
	s_cbranch_execz .LBB47_37
; %bb.36:                               ;   in Loop: Header=BB47_7 Depth=2
	global_load_dwordx2 v[0:1], v[0:1], off
	s_waitcnt vmcnt(0)
	ds_write_b64 v57, v[0:1] offset:128
.LBB47_37:                              ;   in Loop: Header=BB47_7 Depth=2
	s_or_b64 exec, exec, s[4:5]
	v_lshl_add_u64 v[0:1], v[52:53], 0, s[36:37]
	s_and_b64 s[12:13], s[10:11], s[12:13]
	v_mov_b64_e32 v[2:3], 0
	s_and_saveexec_b64 s[4:5], s[12:13]
	s_cbranch_execz .LBB47_39
; %bb.38:                               ;   in Loop: Header=BB47_7 Depth=2
	global_load_dwordx2 v[2:3], v[0:1], off
.LBB47_39:                              ;   in Loop: Header=BB47_7 Depth=2
	s_or_b64 exec, exec, s[4:5]
	s_and_b64 s[4:5], s[10:11], s[14:15]
	s_xor_b64 s[4:5], s[4:5], -1
	s_waitcnt vmcnt(0)
	ds_write_b64 v57, v[2:3] offset:4096
	s_and_saveexec_b64 s[12:13], s[4:5]
	s_xor_b64 s[4:5], exec, s[12:13]
; %bb.40:                               ;   in Loop: Header=BB47_7 Depth=2
	ds_write_b64 v57, v[38:39] offset:4224
                                        ; implicit-def: $vgpr0_vgpr1
; %bb.41:                               ;   in Loop: Header=BB47_7 Depth=2
	s_andn2_saveexec_b64 s[4:5], s[4:5]
	s_cbranch_execz .LBB47_6
; %bb.42:                               ;   in Loop: Header=BB47_7 Depth=2
	global_load_dwordx2 v[0:1], v[0:1], off offset:128
	s_waitcnt vmcnt(0)
	ds_write_b64 v57, v[0:1] offset:4224
	s_branch .LBB47_6
.LBB47_43:                              ;   in Loop: Header=BB47_4 Depth=1
	v_mul_lo_u32 v2, s25, v40
	v_mul_lo_u32 v3, s24, v15
	v_mad_u64_u32 v[0:1], s[4:5], s24, v40, 0
	v_cmp_gt_i32_e32 vcc, s30, v40
	v_add3_u32 v1, v1, v3, v2
	v_lshl_add_u64 v[0:1], v[0:1], 3, s[26:27]
	s_and_b64 s[10:11], s[22:23], vcc
	s_and_saveexec_b64 s[4:5], s[10:11]
	s_cbranch_execz .LBB47_45
; %bb.44:                               ;   in Loop: Header=BB47_4 Depth=1
	v_lshl_add_u64 v[2:3], v[10:11], 3, v[0:1]
	global_load_dwordx2 v[50:51], v[2:3], off
	s_waitcnt vmcnt(0)
	v_fmac_f64_e32 v[50:51], s[34:35], v[48:49]
	global_store_dwordx2 v[2:3], v[50:51], off
.LBB47_45:                              ;   in Loop: Header=BB47_4 Depth=1
	s_or_b64 exec, exec, s[4:5]
	s_and_b64 s[10:11], s[6:7], vcc
	s_and_saveexec_b64 s[4:5], s[10:11]
	s_cbranch_execz .LBB47_47
; %bb.46:                               ;   in Loop: Header=BB47_4 Depth=1
	v_lshl_add_u64 v[0:1], v[18:19], 3, v[0:1]
	global_load_dwordx2 v[2:3], v[0:1], off
	s_waitcnt vmcnt(0)
	v_fmac_f64_e32 v[2:3], s[34:35], v[46:47]
	global_store_dwordx2 v[0:1], v[2:3], off
.LBB47_47:                              ;   in Loop: Header=BB47_4 Depth=1
	s_or_b64 exec, exec, s[4:5]
	v_add_u32_e32 v0, 16, v40
	v_ashrrev_i32_e32 v1, 31, v0
	v_cmp_gt_i32_e32 vcc, s30, v0
	v_mul_lo_u32 v2, s24, v1
	v_mul_lo_u32 v3, s25, v0
	v_mad_u64_u32 v[0:1], s[4:5], s24, v0, 0
	v_add3_u32 v1, v1, v2, v3
	v_lshl_add_u64 v[0:1], v[0:1], 3, s[26:27]
	s_and_b64 s[10:11], s[22:23], vcc
	s_and_saveexec_b64 s[4:5], s[10:11]
	s_cbranch_execz .LBB47_49
; %bb.48:                               ;   in Loop: Header=BB47_4 Depth=1
	v_lshl_add_u64 v[2:3], v[10:11], 3, v[0:1]
	global_load_dwordx2 v[46:47], v[2:3], off
	s_waitcnt vmcnt(0)
	v_fmac_f64_e32 v[46:47], s[34:35], v[44:45]
	global_store_dwordx2 v[2:3], v[46:47], off
.LBB47_49:                              ;   in Loop: Header=BB47_4 Depth=1
	s_or_b64 exec, exec, s[4:5]
	s_and_b64 s[10:11], s[6:7], vcc
	s_and_saveexec_b64 s[4:5], s[10:11]
	s_cbranch_execz .LBB47_3
; %bb.50:                               ;   in Loop: Header=BB47_4 Depth=1
	v_lshl_add_u64 v[0:1], v[18:19], 3, v[0:1]
	global_load_dwordx2 v[2:3], v[0:1], off
	s_waitcnt vmcnt(0)
	v_fmac_f64_e32 v[2:3], s[34:35], v[42:43]
	global_store_dwordx2 v[0:1], v[2:3], off
	s_branch .LBB47_3
.LBB47_51:
	s_endpgm
	.section	.rodata,"a",@progbits
	.p2align	6, 0x0
	.amdhsa_kernel _ZL30rocblas_trmm_outofplace_kernelIdLi32ELi2ELb1ELb1ELb1ELb1EdKddEv17rocblas_diagonal_iiT6_lPT7_lllS4_lllPT8_llli
		.amdhsa_group_segment_fixed_size 16384
		.amdhsa_private_segment_fixed_size 0
		.amdhsa_kernarg_size 392
		.amdhsa_user_sgpr_count 2
		.amdhsa_user_sgpr_dispatch_ptr 0
		.amdhsa_user_sgpr_queue_ptr 0
		.amdhsa_user_sgpr_kernarg_segment_ptr 1
		.amdhsa_user_sgpr_dispatch_id 0
		.amdhsa_user_sgpr_kernarg_preload_length 0
		.amdhsa_user_sgpr_kernarg_preload_offset 0
		.amdhsa_user_sgpr_private_segment_size 0
		.amdhsa_uses_dynamic_stack 0
		.amdhsa_enable_private_segment 0
		.amdhsa_system_sgpr_workgroup_id_x 1
		.amdhsa_system_sgpr_workgroup_id_y 1
		.amdhsa_system_sgpr_workgroup_id_z 1
		.amdhsa_system_sgpr_workgroup_info 0
		.amdhsa_system_vgpr_workitem_id 1
		.amdhsa_next_free_vgpr 82
		.amdhsa_next_free_sgpr 55
		.amdhsa_accum_offset 84
		.amdhsa_reserve_vcc 1
		.amdhsa_float_round_mode_32 0
		.amdhsa_float_round_mode_16_64 0
		.amdhsa_float_denorm_mode_32 3
		.amdhsa_float_denorm_mode_16_64 3
		.amdhsa_dx10_clamp 1
		.amdhsa_ieee_mode 1
		.amdhsa_fp16_overflow 0
		.amdhsa_tg_split 0
		.amdhsa_exception_fp_ieee_invalid_op 0
		.amdhsa_exception_fp_denorm_src 0
		.amdhsa_exception_fp_ieee_div_zero 0
		.amdhsa_exception_fp_ieee_overflow 0
		.amdhsa_exception_fp_ieee_underflow 0
		.amdhsa_exception_fp_ieee_inexact 0
		.amdhsa_exception_int_div_zero 0
	.end_amdhsa_kernel
	.section	.text._ZL30rocblas_trmm_outofplace_kernelIdLi32ELi2ELb1ELb1ELb1ELb1EdKddEv17rocblas_diagonal_iiT6_lPT7_lllS4_lllPT8_llli,"axG",@progbits,_ZL30rocblas_trmm_outofplace_kernelIdLi32ELi2ELb1ELb1ELb1ELb1EdKddEv17rocblas_diagonal_iiT6_lPT7_lllS4_lllPT8_llli,comdat
.Lfunc_end47:
	.size	_ZL30rocblas_trmm_outofplace_kernelIdLi32ELi2ELb1ELb1ELb1ELb1EdKddEv17rocblas_diagonal_iiT6_lPT7_lllS4_lllPT8_llli, .Lfunc_end47-_ZL30rocblas_trmm_outofplace_kernelIdLi32ELi2ELb1ELb1ELb1ELb1EdKddEv17rocblas_diagonal_iiT6_lPT7_lllS4_lllPT8_llli
                                        ; -- End function
	.set _ZL30rocblas_trmm_outofplace_kernelIdLi32ELi2ELb1ELb1ELb1ELb1EdKddEv17rocblas_diagonal_iiT6_lPT7_lllS4_lllPT8_llli.num_vgpr, 82
	.set _ZL30rocblas_trmm_outofplace_kernelIdLi32ELi2ELb1ELb1ELb1ELb1EdKddEv17rocblas_diagonal_iiT6_lPT7_lllS4_lllPT8_llli.num_agpr, 0
	.set _ZL30rocblas_trmm_outofplace_kernelIdLi32ELi2ELb1ELb1ELb1ELb1EdKddEv17rocblas_diagonal_iiT6_lPT7_lllS4_lllPT8_llli.numbered_sgpr, 55
	.set _ZL30rocblas_trmm_outofplace_kernelIdLi32ELi2ELb1ELb1ELb1ELb1EdKddEv17rocblas_diagonal_iiT6_lPT7_lllS4_lllPT8_llli.num_named_barrier, 0
	.set _ZL30rocblas_trmm_outofplace_kernelIdLi32ELi2ELb1ELb1ELb1ELb1EdKddEv17rocblas_diagonal_iiT6_lPT7_lllS4_lllPT8_llli.private_seg_size, 0
	.set _ZL30rocblas_trmm_outofplace_kernelIdLi32ELi2ELb1ELb1ELb1ELb1EdKddEv17rocblas_diagonal_iiT6_lPT7_lllS4_lllPT8_llli.uses_vcc, 1
	.set _ZL30rocblas_trmm_outofplace_kernelIdLi32ELi2ELb1ELb1ELb1ELb1EdKddEv17rocblas_diagonal_iiT6_lPT7_lllS4_lllPT8_llli.uses_flat_scratch, 0
	.set _ZL30rocblas_trmm_outofplace_kernelIdLi32ELi2ELb1ELb1ELb1ELb1EdKddEv17rocblas_diagonal_iiT6_lPT7_lllS4_lllPT8_llli.has_dyn_sized_stack, 0
	.set _ZL30rocblas_trmm_outofplace_kernelIdLi32ELi2ELb1ELb1ELb1ELb1EdKddEv17rocblas_diagonal_iiT6_lPT7_lllS4_lllPT8_llli.has_recursion, 0
	.set _ZL30rocblas_trmm_outofplace_kernelIdLi32ELi2ELb1ELb1ELb1ELb1EdKddEv17rocblas_diagonal_iiT6_lPT7_lllS4_lllPT8_llli.has_indirect_call, 0
	.section	.AMDGPU.csdata,"",@progbits
; Kernel info:
; codeLenInByte = 3040
; TotalNumSgprs: 61
; NumVgprs: 82
; NumAgprs: 0
; TotalNumVgprs: 82
; ScratchSize: 0
; MemoryBound: 0
; FloatMode: 240
; IeeeMode: 1
; LDSByteSize: 16384 bytes/workgroup (compile time only)
; SGPRBlocks: 7
; VGPRBlocks: 10
; NumSGPRsForWavesPerEU: 61
; NumVGPRsForWavesPerEU: 82
; AccumOffset: 84
; Occupancy: 5
; WaveLimiterHint : 0
; COMPUTE_PGM_RSRC2:SCRATCH_EN: 0
; COMPUTE_PGM_RSRC2:USER_SGPR: 2
; COMPUTE_PGM_RSRC2:TRAP_HANDLER: 0
; COMPUTE_PGM_RSRC2:TGID_X_EN: 1
; COMPUTE_PGM_RSRC2:TGID_Y_EN: 1
; COMPUTE_PGM_RSRC2:TGID_Z_EN: 1
; COMPUTE_PGM_RSRC2:TIDIG_COMP_CNT: 1
; COMPUTE_PGM_RSRC3_GFX90A:ACCUM_OFFSET: 20
; COMPUTE_PGM_RSRC3_GFX90A:TG_SPLIT: 0
	.section	.text._ZL30rocblas_trmm_outofplace_kernelIdLi32ELi2ELb0ELb0ELb0ELb0EPKdS0_dEv17rocblas_diagonal_iiT6_lPT7_lllS5_lllPT8_llli,"axG",@progbits,_ZL30rocblas_trmm_outofplace_kernelIdLi32ELi2ELb0ELb0ELb0ELb0EPKdS0_dEv17rocblas_diagonal_iiT6_lPT7_lllS5_lllPT8_llli,comdat
	.globl	_ZL30rocblas_trmm_outofplace_kernelIdLi32ELi2ELb0ELb0ELb0ELb0EPKdS0_dEv17rocblas_diagonal_iiT6_lPT7_lllS5_lllPT8_llli ; -- Begin function _ZL30rocblas_trmm_outofplace_kernelIdLi32ELi2ELb0ELb0ELb0ELb0EPKdS0_dEv17rocblas_diagonal_iiT6_lPT7_lllS5_lllPT8_llli
	.p2align	8
	.type	_ZL30rocblas_trmm_outofplace_kernelIdLi32ELi2ELb0ELb0ELb0ELb0EPKdS0_dEv17rocblas_diagonal_iiT6_lPT7_lllS5_lllPT8_llli,@function
_ZL30rocblas_trmm_outofplace_kernelIdLi32ELi2ELb0ELb0ELb0ELb0EPKdS0_dEv17rocblas_diagonal_iiT6_lPT7_lllS5_lllPT8_llli: ; @_ZL30rocblas_trmm_outofplace_kernelIdLi32ELi2ELb0ELb0ELb0ELb0EPKdS0_dEv17rocblas_diagonal_iiT6_lPT7_lllS5_lllPT8_llli
; %bb.0:
	s_load_dwordx16 s[36:51], s[0:1], 0x10
	s_waitcnt lgkmcnt(0)
	s_mul_i32 s5, s39, s4
	s_mul_hi_u32 s6, s38, s4
	s_add_i32 s7, s6, s5
	s_mul_i32 s6, s38, s4
	s_lshl_b64 s[6:7], s[6:7], 3
	s_add_u32 s6, s36, s6
	s_addc_u32 s7, s37, s7
	s_load_dwordx2 s[34:35], s[6:7], 0x0
	s_waitcnt lgkmcnt(0)
	v_cmp_eq_f64_e64 s[6:7], s[34:35], 0
	s_and_b64 vcc, exec, s[6:7]
	s_cbranch_vccnz .LBB48_52
; %bb.1:
	s_load_dwordx4 s[36:39], s[0:1], 0x0
	s_waitcnt lgkmcnt(0)
	s_add_i32 s5, s38, -1
	s_ashr_i32 s6, s5, 31
	s_lshr_b32 s6, s6, 27
	s_add_i32 s5, s5, s6
	s_ashr_i32 s33, s5, 5
	s_cmp_gt_i32 s3, s33
	s_cbranch_scc1 .LBB48_52
; %bb.2:
	s_load_dwordx4 s[52:55], s[0:1], 0x70
	s_load_dwordx8 s[24:31], s[0:1], 0x50
	s_load_dword s58, s[0:1], 0x8c
	v_bfe_u32 v54, v0, 10, 10
	v_and_b32_e32 v2, 0x3ff, v0
	v_lshl_add_u32 v4, s2, 5, v2
	s_waitcnt lgkmcnt(0)
	s_mul_i32 s0, s55, s4
	s_mul_hi_u32 s1, s54, s4
	s_add_i32 s1, s1, s0
	s_mul_i32 s0, s54, s4
	s_lshl_b64 s[0:1], s[0:1], 3
	s_add_u32 s5, s28, s0
	s_addc_u32 s6, s29, s1
	s_lshl_b64 s[0:1], s[30:31], 3
	s_add_u32 s28, s5, s0
	s_addc_u32 s29, s6, s1
	s_cmpk_eq_i32 s36, 0x84
	s_cselect_b64 s[30:31], -1, 0
	s_ashr_i32 s39, s38, 31
	s_ashr_i32 s0, s37, 31
	s_lshl_b64 s[54:55], s[24:25], 8
	s_add_u32 s56, s38, -16
	s_addc_u32 s57, s39, -1
	s_lshl_b32 s5, s3, 5
	v_add_u32_e32 v8, s5, v2
	v_add_u32_e32 v10, s5, v54
	s_mul_i32 s5, s47, s4
	s_mul_hi_u32 s6, s46, s4
	s_add_i32 s7, s6, s5
	s_mul_i32 s6, s46, s4
	s_lshl_b32 s2, s58, 5
	s_lshl_b64 s[6:7], s[6:7], 3
	s_lshl_b64 s[8:9], s[42:43], 3
	s_add_u32 s5, s6, s8
	s_addc_u32 s6, s7, s9
	v_add_u32_e32 v6, 16, v4
	s_add_u32 s36, s40, s5
	v_sub_co_u32_e32 v0, vcc, s37, v4
	v_cmp_gt_i32_e64 s[20:21], s37, v4
	v_cmp_gt_i32_e64 s[22:23], s37, v6
	s_addc_u32 s37, s41, s6
	s_add_u32 s40, s48, 0x80
	s_mul_i32 s5, s27, s4
	s_mul_hi_u32 s6, s26, s4
	s_addc_u32 s41, s49, 0
	s_add_i32 s5, s6, s5
	s_mul_i32 s4, s26, s4
	s_lshl_b64 s[42:43], s[24:25], 3
	s_lshl_b64 s[4:5], s[4:5], 3
	;; [unrolled: 1-line block ×3, first 2 shown]
	v_ashrrev_i32_e32 v5, 31, v4
	v_lshlrev_b32_e32 v3, 3, v2
	v_mov_b32_e32 v1, s0
	s_add_u32 s4, s4, s6
	v_lshlrev_b32_e32 v55, 8, v54
	v_subb_co_u32_e32 v1, vcc, v1, v5, vcc
	v_or_b32_e32 v57, 0x2000, v3
	s_addc_u32 s5, s5, s7
	v_mov_b32_e32 v14, 0
	v_add_u32_e32 v56, v55, v3
	v_add_u32_e32 v58, v57, v55
	v_cmp_gt_i64_e32 vcc, 1, v[0:1]
	v_cmp_gt_i64_e64 s[0:1], 17, v[0:1]
	v_ashrrev_i32_e32 v7, 31, v6
	v_lshl_add_u64 v[12:13], v[4:5], 3, s[4:5]
	s_lshl_b64 s[26:27], s[44:45], 3
	s_mov_b64 s[46:47], 0x100
	v_mov_b64_e32 v[16:17], 0x80
	v_mov_b32_e32 v19, 0x3ff00000
	v_mov_b32_e32 v20, 0
	;; [unrolled: 1-line block ×4, first 2 shown]
	v_add_u32_e32 v59, 0x800, v57
	v_add_u32_e32 v60, 0x1000, v57
	;; [unrolled: 1-line block ×3, first 2 shown]
	s_branch .LBB48_4
.LBB48_3:                               ;   in Loop: Header=BB48_4 Depth=1
	s_or_b64 exec, exec, s[4:5]
	s_add_i32 s3, s58, s3
	v_add_u32_e32 v8, s2, v8
	s_cmp_le_i32 s3, s33
	v_add_u32_e32 v10, s2, v10
	s_cbranch_scc0 .LBB48_52
.LBB48_4:                               ; =>This Loop Header: Depth=1
                                        ;     Child Loop BB48_7 Depth 2
	s_lshl_b32 s4, s3, 5
	v_add_u32_e32 v22, s4, v54
	s_sub_i32 s59, s38, s4
	v_ashrrev_i32_e32 v9, 31, v8
	v_ashrrev_i32_e32 v11, 31, v10
	s_cmp_lt_i32 s59, 1
	v_ashrrev_i32_e32 v23, 31, v22
	s_cbranch_scc1 .LBB48_43
; %bb.5:                                ;   in Loop: Header=BB48_4 Depth=1
	v_sub_co_u32_e64 v30, s[4:5], v10, v8
	v_lshl_add_u64 v[0:1], v[10:11], 3, v[16:17]
	v_mov_b64_e32 v[2:3], s[36:37]
	v_subb_co_u32_e64 v31, s[4:5], v11, v9, s[4:5]
	v_mul_lo_u32 v15, s44, v1
	v_mul_lo_u32 v24, s45, v0
	v_mad_u64_u32 v[34:35], s[4:5], s44, v0, v[2:3]
	v_add3_u32 v35, v24, v35, v15
	v_mov_b64_e32 v[24:25], s[40:41]
	v_mad_u64_u32 v[40:41], s[4:5], s26, v10, v[2:3]
	v_mul_lo_u32 v2, s26, v11
	v_mul_lo_u32 v3, s27, v10
	v_mad_u64_u32 v[38:39], s[4:5], s42, v10, v[24:25]
	v_mul_lo_u32 v15, s42, v11
	v_mul_lo_u32 v24, s43, v10
	v_add3_u32 v41, v3, v41, v2
	v_mov_b64_e32 v[2:3], s[48:49]
	v_add3_u32 v39, v24, v39, v15
	v_mul_lo_u32 v1, s24, v1
	v_mul_lo_u32 v15, s25, v0
	v_mad_u64_u32 v[42:43], s[4:5], s24, v0, v[2:3]
	v_lshl_add_u64 v[44:45], v[22:23], 0, 16
	v_lshlrev_b64 v[32:33], 3, v[8:9]
	v_add3_u32 v43, v15, v43, v1
	v_cmp_le_i32_e64 s[6:7], s38, v22
	v_cmp_le_i64_e64 s[8:9], s[38:39], v[44:45]
	v_lshl_add_u64 v[46:47], v[30:31], 0, 16
	v_lshl_add_u64 v[48:49], v[30:31], 0, -16
	v_mov_b64_e32 v[24:25], 0
	s_mov_b64 s[50:51], 0
	v_mov_b64_e32 v[50:51], v[12:13]
	v_mov_b64_e32 v[26:27], 0
	;; [unrolled: 1-line block ×4, first 2 shown]
	s_branch .LBB48_7
.LBB48_6:                               ;   in Loop: Header=BB48_7 Depth=2
	s_or_b64 exec, exec, s[4:5]
	s_waitcnt lgkmcnt(0)
	s_barrier
	ds_read_b128 v[62:65], v55
	ds_read_b128 v[66:69], v55 offset:16
	ds_read_b128 v[70:73], v55 offset:32
	;; [unrolled: 1-line block ×3, first 2 shown]
	ds_read2_b64 v[74:77], v57 offset1:16
	ds_read_b128 v[78:81], v55 offset:4096
	s_add_u32 s50, s50, 32
	s_addc_u32 s51, s51, 0
	v_lshl_add_u64 v[34:35], v[34:35], 0, s[46:47]
	s_waitcnt lgkmcnt(1)
	v_fmac_f64_e32 v[36:37], v[74:75], v[62:63]
	v_fmac_f64_e32 v[28:29], v[76:77], v[62:63]
	s_waitcnt lgkmcnt(0)
	v_fmac_f64_e32 v[26:27], v[74:75], v[78:79]
	v_fmac_f64_e32 v[24:25], v[76:77], v[78:79]
	ds_read2_b64 v[74:77], v57 offset0:32 offset1:48
	v_lshl_add_u64 v[50:51], v[50:51], 0, s[54:55]
	v_lshl_add_u64 v[40:41], v[40:41], 0, s[46:47]
	s_cmp_ge_i32 s50, s59
	s_waitcnt lgkmcnt(0)
	v_fmac_f64_e32 v[36:37], v[74:75], v[64:65]
	v_fmac_f64_e32 v[28:29], v[76:77], v[64:65]
	v_fmac_f64_e32 v[26:27], v[74:75], v[80:81]
	v_fmac_f64_e32 v[24:25], v[76:77], v[80:81]
	ds_read2_b64 v[62:65], v57 offset0:64 offset1:80
	ds_read_b128 v[74:77], v55 offset:4112
	s_waitcnt lgkmcnt(1)
	v_fmac_f64_e32 v[36:37], v[62:63], v[66:67]
	v_fmac_f64_e32 v[28:29], v[64:65], v[66:67]
	s_waitcnt lgkmcnt(0)
	v_fmac_f64_e32 v[26:27], v[62:63], v[74:75]
	v_fmac_f64_e32 v[24:25], v[64:65], v[74:75]
	ds_read2_b64 v[62:65], v57 offset0:96 offset1:112
	s_waitcnt lgkmcnt(0)
	v_fmac_f64_e32 v[36:37], v[62:63], v[68:69]
	v_fmac_f64_e32 v[28:29], v[64:65], v[68:69]
	v_fmac_f64_e32 v[26:27], v[62:63], v[76:77]
	v_fmac_f64_e32 v[24:25], v[64:65], v[76:77]
	ds_read2_b64 v[62:65], v57 offset0:128 offset1:144
	ds_read_b128 v[66:69], v55 offset:4128
	s_waitcnt lgkmcnt(1)
	v_fmac_f64_e32 v[36:37], v[62:63], v[70:71]
	v_fmac_f64_e32 v[28:29], v[64:65], v[70:71]
	s_waitcnt lgkmcnt(0)
	v_fmac_f64_e32 v[26:27], v[62:63], v[66:67]
	v_fmac_f64_e32 v[24:25], v[64:65], v[66:67]
	ds_read2_b64 v[62:65], v57 offset0:160 offset1:176
	;; [unrolled: 14-line block ×3, first 2 shown]
	s_waitcnt lgkmcnt(0)
	v_fmac_f64_e32 v[36:37], v[62:63], v[2:3]
	v_fmac_f64_e32 v[28:29], v[64:65], v[2:3]
	v_fmac_f64_e32 v[26:27], v[62:63], v[68:69]
	v_fmac_f64_e32 v[24:25], v[64:65], v[68:69]
	ds_read_b128 v[0:3], v55 offset:64
	ds_read2_b64 v[62:65], v59 offset1:16
	ds_read_b128 v[66:69], v55 offset:4160
	s_waitcnt lgkmcnt(1)
	v_fmac_f64_e32 v[36:37], v[62:63], v[0:1]
	v_fmac_f64_e32 v[28:29], v[64:65], v[0:1]
	s_waitcnt lgkmcnt(0)
	v_fmac_f64_e32 v[26:27], v[62:63], v[66:67]
	v_fmac_f64_e32 v[24:25], v[64:65], v[66:67]
	ds_read2_b64 v[62:65], v59 offset0:32 offset1:48
	s_waitcnt lgkmcnt(0)
	v_fmac_f64_e32 v[36:37], v[62:63], v[2:3]
	v_fmac_f64_e32 v[28:29], v[64:65], v[2:3]
	v_fmac_f64_e32 v[26:27], v[62:63], v[68:69]
	v_fmac_f64_e32 v[24:25], v[64:65], v[68:69]
	ds_read_b128 v[0:3], v55 offset:80
	ds_read2_b64 v[62:65], v59 offset0:64 offset1:80
	ds_read_b128 v[66:69], v55 offset:4176
	s_waitcnt lgkmcnt(1)
	v_fmac_f64_e32 v[36:37], v[62:63], v[0:1]
	v_fmac_f64_e32 v[28:29], v[64:65], v[0:1]
	s_waitcnt lgkmcnt(0)
	v_fmac_f64_e32 v[26:27], v[62:63], v[66:67]
	v_fmac_f64_e32 v[24:25], v[64:65], v[66:67]
	ds_read2_b64 v[62:65], v59 offset0:96 offset1:112
	s_waitcnt lgkmcnt(0)
	v_fmac_f64_e32 v[36:37], v[62:63], v[2:3]
	v_fmac_f64_e32 v[28:29], v[64:65], v[2:3]
	v_fmac_f64_e32 v[26:27], v[62:63], v[68:69]
	v_fmac_f64_e32 v[24:25], v[64:65], v[68:69]
	ds_read_b128 v[0:3], v55 offset:96
	ds_read2_b64 v[62:65], v59 offset0:128 offset1:144
	ds_read_b128 v[66:69], v55 offset:4192
	s_waitcnt lgkmcnt(1)
	v_fmac_f64_e32 v[36:37], v[62:63], v[0:1]
	v_fmac_f64_e32 v[28:29], v[64:65], v[0:1]
	s_waitcnt lgkmcnt(0)
	v_fmac_f64_e32 v[26:27], v[62:63], v[66:67]
	v_fmac_f64_e32 v[24:25], v[64:65], v[66:67]
	ds_read2_b64 v[62:65], v59 offset0:160 offset1:176
	s_waitcnt lgkmcnt(0)
	v_fmac_f64_e32 v[36:37], v[62:63], v[2:3]
	v_fmac_f64_e32 v[28:29], v[64:65], v[2:3]
	v_fmac_f64_e32 v[26:27], v[62:63], v[68:69]
	v_fmac_f64_e32 v[24:25], v[64:65], v[68:69]
	ds_read_b128 v[0:3], v55 offset:112
	ds_read2_b64 v[62:65], v59 offset0:192 offset1:208
	ds_read_b128 v[66:69], v55 offset:4208
	s_waitcnt lgkmcnt(1)
	v_fmac_f64_e32 v[36:37], v[62:63], v[0:1]
	v_fmac_f64_e32 v[28:29], v[64:65], v[0:1]
	s_waitcnt lgkmcnt(0)
	v_fmac_f64_e32 v[26:27], v[62:63], v[66:67]
	v_fmac_f64_e32 v[24:25], v[64:65], v[66:67]
	ds_read2_b64 v[62:65], v59 offset0:224 offset1:240
	s_waitcnt lgkmcnt(0)
	v_fmac_f64_e32 v[36:37], v[62:63], v[2:3]
	v_fmac_f64_e32 v[28:29], v[64:65], v[2:3]
	v_fmac_f64_e32 v[26:27], v[62:63], v[68:69]
	v_fmac_f64_e32 v[24:25], v[64:65], v[68:69]
	ds_read_b128 v[0:3], v55 offset:128
	ds_read2_b64 v[62:65], v60 offset1:16
	ds_read_b128 v[66:69], v55 offset:4224
	s_waitcnt lgkmcnt(1)
	v_fmac_f64_e32 v[36:37], v[62:63], v[0:1]
	v_fmac_f64_e32 v[28:29], v[64:65], v[0:1]
	s_waitcnt lgkmcnt(0)
	v_fmac_f64_e32 v[26:27], v[62:63], v[66:67]
	v_fmac_f64_e32 v[24:25], v[64:65], v[66:67]
	ds_read2_b64 v[62:65], v60 offset0:32 offset1:48
	s_waitcnt lgkmcnt(0)
	v_fmac_f64_e32 v[36:37], v[62:63], v[2:3]
	v_fmac_f64_e32 v[28:29], v[64:65], v[2:3]
	v_fmac_f64_e32 v[26:27], v[62:63], v[68:69]
	v_fmac_f64_e32 v[24:25], v[64:65], v[68:69]
	ds_read_b128 v[0:3], v55 offset:144
	ds_read2_b64 v[62:65], v60 offset0:64 offset1:80
	ds_read_b128 v[66:69], v55 offset:4240
	s_waitcnt lgkmcnt(1)
	v_fmac_f64_e32 v[36:37], v[62:63], v[0:1]
	v_fmac_f64_e32 v[28:29], v[64:65], v[0:1]
	s_waitcnt lgkmcnt(0)
	v_fmac_f64_e32 v[26:27], v[62:63], v[66:67]
	v_fmac_f64_e32 v[24:25], v[64:65], v[66:67]
	ds_read2_b64 v[62:65], v60 offset0:96 offset1:112
	s_waitcnt lgkmcnt(0)
	v_fmac_f64_e32 v[36:37], v[62:63], v[2:3]
	v_fmac_f64_e32 v[28:29], v[64:65], v[2:3]
	v_fmac_f64_e32 v[26:27], v[62:63], v[68:69]
	v_fmac_f64_e32 v[24:25], v[64:65], v[68:69]
	ds_read_b128 v[0:3], v55 offset:160
	ds_read2_b64 v[62:65], v60 offset0:128 offset1:144
	ds_read_b128 v[66:69], v55 offset:4256
	s_waitcnt lgkmcnt(1)
	v_fmac_f64_e32 v[36:37], v[62:63], v[0:1]
	v_fmac_f64_e32 v[28:29], v[64:65], v[0:1]
	s_waitcnt lgkmcnt(0)
	v_fmac_f64_e32 v[26:27], v[62:63], v[66:67]
	v_fmac_f64_e32 v[24:25], v[64:65], v[66:67]
	ds_read2_b64 v[62:65], v60 offset0:160 offset1:176
	s_waitcnt lgkmcnt(0)
	v_fmac_f64_e32 v[36:37], v[62:63], v[2:3]
	v_fmac_f64_e32 v[28:29], v[64:65], v[2:3]
	v_fmac_f64_e32 v[26:27], v[62:63], v[68:69]
	v_fmac_f64_e32 v[24:25], v[64:65], v[68:69]
	ds_read_b128 v[0:3], v55 offset:176
	ds_read2_b64 v[62:65], v60 offset0:192 offset1:208
	ds_read_b128 v[66:69], v55 offset:4272
	s_waitcnt lgkmcnt(1)
	v_fmac_f64_e32 v[36:37], v[62:63], v[0:1]
	v_fmac_f64_e32 v[28:29], v[64:65], v[0:1]
	s_waitcnt lgkmcnt(0)
	v_fmac_f64_e32 v[26:27], v[62:63], v[66:67]
	v_fmac_f64_e32 v[24:25], v[64:65], v[66:67]
	ds_read2_b64 v[62:65], v60 offset0:224 offset1:240
	;; [unrolled: 60-line block ×3, first 2 shown]
	s_waitcnt lgkmcnt(0)
	s_barrier
	v_fmac_f64_e32 v[36:37], v[62:63], v[2:3]
	v_fmac_f64_e32 v[28:29], v[64:65], v[2:3]
	;; [unrolled: 1-line block ×4, first 2 shown]
	s_cbranch_scc1 .LBB48_44
.LBB48_7:                               ;   Parent Loop BB48_4 Depth=1
                                        ; =>  This Inner Loop Header: Depth=2
	v_lshl_add_u64 v[0:1], v[8:9], 0, s[50:51]
	v_cmp_eq_u64_e64 s[4:5], s[50:51], v[30:31]
	v_cmp_lt_i64_e64 s[12:13], v[0:1], v[22:23]
	s_and_b64 s[10:11], s[30:31], s[4:5]
	v_cmp_le_i64_e64 s[14:15], s[38:39], v[0:1]
	s_or_b64 s[4:5], s[6:7], s[12:13]
	s_or_b64 s[4:5], s[14:15], s[4:5]
	v_lshl_add_u64 v[2:3], v[40:41], 0, v[32:33]
	s_nor_b64 s[4:5], s[4:5], s[10:11]
                                        ; implicit-def: $vgpr52_vgpr53
	s_and_saveexec_b64 s[16:17], s[4:5]
	s_xor_b64 s[4:5], exec, s[16:17]
	s_cbranch_execz .LBB48_9
; %bb.8:                                ;   in Loop: Header=BB48_7 Depth=2
	global_load_dwordx2 v[52:53], v[2:3], off
.LBB48_9:                               ;   in Loop: Header=BB48_7 Depth=2
	s_andn2_saveexec_b64 s[4:5], s[4:5]
	s_cbranch_execz .LBB48_11
; %bb.10:                               ;   in Loop: Header=BB48_7 Depth=2
	v_cndmask_b32_e64 v15, 0, v19, s[10:11]
	s_waitcnt vmcnt(0)
	v_mov_b64_e32 v[52:53], v[14:15]
.LBB48_11:                              ;   in Loop: Header=BB48_7 Depth=2
	s_or_b64 exec, exec, s[4:5]
	s_waitcnt vmcnt(0)
	ds_write_b64 v56, v[52:53]
	v_lshl_add_u64 v[52:53], v[0:1], 0, 16
	v_cmp_eq_u64_e64 s[4:5], s[50:51], v[48:49]
	s_and_b64 s[18:19], s[30:31], s[4:5]
	v_cmp_lt_i64_e64 s[4:5], v[52:53], v[22:23]
	v_cmp_le_i64_e64 s[16:17], s[38:39], v[52:53]
	s_or_b64 s[4:5], s[6:7], s[4:5]
	s_or_b64 s[4:5], s[16:17], s[4:5]
	s_nor_b64 s[4:5], s[4:5], s[18:19]
	s_and_saveexec_b64 s[60:61], s[4:5]
	s_xor_b64 s[4:5], exec, s[60:61]
	s_cbranch_execz .LBB48_13
; %bb.12:                               ;   in Loop: Header=BB48_7 Depth=2
	global_load_dwordx2 v[2:3], v[2:3], off offset:128
	s_waitcnt vmcnt(0)
	ds_write_b64 v56, v[2:3] offset:128
.LBB48_13:                              ;   in Loop: Header=BB48_7 Depth=2
	s_andn2_saveexec_b64 s[4:5], s[4:5]
	s_cbranch_execz .LBB48_19
; %bb.14:                               ;   in Loop: Header=BB48_7 Depth=2
	s_xor_b64 s[18:19], s[18:19], -1
	s_and_saveexec_b64 s[60:61], s[18:19]
	s_xor_b64 s[18:19], exec, s[60:61]
; %bb.15:                               ;   in Loop: Header=BB48_7 Depth=2
	ds_write_b64 v56, v[20:21] offset:128
; %bb.16:                               ;   in Loop: Header=BB48_7 Depth=2
	s_andn2_saveexec_b64 s[18:19], s[18:19]
; %bb.17:                               ;   in Loop: Header=BB48_7 Depth=2
	ds_write_b64 v56, v[18:19] offset:128
; %bb.18:                               ;   in Loop: Header=BB48_7 Depth=2
	s_or_b64 exec, exec, s[18:19]
.LBB48_19:                              ;   in Loop: Header=BB48_7 Depth=2
	s_or_b64 exec, exec, s[4:5]
	v_cmp_eq_u64_e64 s[4:5], s[50:51], v[46:47]
	s_and_b64 s[18:19], s[30:31], s[4:5]
	v_cmp_lt_i64_e64 s[4:5], v[0:1], v[44:45]
	s_or_b64 s[4:5], s[8:9], s[4:5]
	s_or_b64 s[4:5], s[4:5], s[18:19]
	v_lshl_add_u64 v[2:3], v[34:35], 0, v[32:33]
	s_nor_b64 s[4:5], s[14:15], s[4:5]
                                        ; implicit-def: $vgpr0_vgpr1
	s_and_saveexec_b64 s[14:15], s[4:5]
	s_xor_b64 s[4:5], exec, s[14:15]
	s_cbranch_execz .LBB48_21
; %bb.20:                               ;   in Loop: Header=BB48_7 Depth=2
	global_load_dwordx2 v[0:1], v[2:3], off
.LBB48_21:                              ;   in Loop: Header=BB48_7 Depth=2
	s_andn2_saveexec_b64 s[4:5], s[4:5]
	s_cbranch_execz .LBB48_23
; %bb.22:                               ;   in Loop: Header=BB48_7 Depth=2
	v_cndmask_b32_e64 v15, 0, v19, s[18:19]
	s_waitcnt vmcnt(0)
	v_mov_b64_e32 v[0:1], v[14:15]
.LBB48_23:                              ;   in Loop: Header=BB48_7 Depth=2
	s_or_b64 exec, exec, s[4:5]
	s_or_b64 s[4:5], s[8:9], s[12:13]
	s_or_b64 s[4:5], s[16:17], s[4:5]
	s_nor_b64 s[4:5], s[4:5], s[10:11]
	s_waitcnt vmcnt(0)
	ds_write_b64 v56, v[0:1] offset:4096
	s_and_saveexec_b64 s[12:13], s[4:5]
	s_xor_b64 s[4:5], exec, s[12:13]
	s_cbranch_execz .LBB48_25
; %bb.24:                               ;   in Loop: Header=BB48_7 Depth=2
	global_load_dwordx2 v[0:1], v[2:3], off offset:128
	s_waitcnt vmcnt(0)
	ds_write_b64 v56, v[0:1] offset:4224
.LBB48_25:                              ;   in Loop: Header=BB48_7 Depth=2
	s_andn2_saveexec_b64 s[4:5], s[4:5]
	s_cbranch_execz .LBB48_31
; %bb.26:                               ;   in Loop: Header=BB48_7 Depth=2
	s_xor_b64 s[10:11], s[10:11], -1
	s_and_saveexec_b64 s[12:13], s[10:11]
	s_xor_b64 s[10:11], exec, s[12:13]
; %bb.27:                               ;   in Loop: Header=BB48_7 Depth=2
	ds_write_b64 v56, v[20:21] offset:4224
; %bb.28:                               ;   in Loop: Header=BB48_7 Depth=2
	s_andn2_saveexec_b64 s[10:11], s[10:11]
; %bb.29:                               ;   in Loop: Header=BB48_7 Depth=2
	ds_write_b64 v56, v[18:19] offset:4224
; %bb.30:                               ;   in Loop: Header=BB48_7 Depth=2
	s_or_b64 exec, exec, s[10:11]
.LBB48_31:                              ;   in Loop: Header=BB48_7 Depth=2
	s_or_b64 exec, exec, s[4:5]
	v_lshl_add_u64 v[0:1], v[10:11], 0, s[50:51]
	v_cmp_le_i64_e64 s[10:11], s[38:39], v[0:1]
	v_lshl_add_u64 v[2:3], v[38:39], 0, v[50:51]
	s_nor_b64 s[12:13], s[10:11], vcc
	v_mov_b64_e32 v[52:53], 0
	s_and_saveexec_b64 s[4:5], s[12:13]
	s_cbranch_execz .LBB48_33
; %bb.32:                               ;   in Loop: Header=BB48_7 Depth=2
	global_load_dwordx2 v[52:53], v[2:3], off offset:-128
.LBB48_33:                              ;   in Loop: Header=BB48_7 Depth=2
	s_or_b64 exec, exec, s[4:5]
	s_nor_b64 s[4:5], s[10:11], s[0:1]
	s_waitcnt vmcnt(0)
	ds_write_b64 v58, v[52:53]
	s_and_saveexec_b64 s[10:11], s[4:5]
	s_xor_b64 s[4:5], exec, s[10:11]
	s_cbranch_execz .LBB48_35
; %bb.34:                               ;   in Loop: Header=BB48_7 Depth=2
	global_load_dwordx2 v[2:3], v[2:3], off
	s_waitcnt vmcnt(0)
	ds_write_b64 v58, v[2:3] offset:128
.LBB48_35:                              ;   in Loop: Header=BB48_7 Depth=2
	s_andn2_saveexec_b64 s[4:5], s[4:5]
; %bb.36:                               ;   in Loop: Header=BB48_7 Depth=2
	ds_write_b64 v58, v[20:21] offset:128
; %bb.37:                               ;   in Loop: Header=BB48_7 Depth=2
	s_or_b64 exec, exec, s[4:5]
	v_cmp_le_i64_e64 s[10:11], s[56:57], v[0:1]
	v_lshl_add_u64 v[0:1], v[42:43], 0, v[50:51]
	s_nor_b64 s[12:13], s[10:11], vcc
	v_mov_b64_e32 v[2:3], 0
	s_and_saveexec_b64 s[4:5], s[12:13]
	s_cbranch_execz .LBB48_39
; %bb.38:                               ;   in Loop: Header=BB48_7 Depth=2
	global_load_dwordx2 v[2:3], v[0:1], off
.LBB48_39:                              ;   in Loop: Header=BB48_7 Depth=2
	s_or_b64 exec, exec, s[4:5]
	s_nor_b64 s[4:5], s[10:11], s[0:1]
	s_waitcnt vmcnt(0)
	ds_write_b64 v58, v[2:3] offset:4096
	s_and_saveexec_b64 s[10:11], s[4:5]
	s_xor_b64 s[4:5], exec, s[10:11]
	s_cbranch_execz .LBB48_41
; %bb.40:                               ;   in Loop: Header=BB48_7 Depth=2
	global_load_dwordx2 v[0:1], v[0:1], off offset:128
	s_waitcnt vmcnt(0)
	ds_write_b64 v58, v[0:1] offset:4224
.LBB48_41:                              ;   in Loop: Header=BB48_7 Depth=2
	s_andn2_saveexec_b64 s[4:5], s[4:5]
	s_cbranch_execz .LBB48_6
; %bb.42:                               ;   in Loop: Header=BB48_7 Depth=2
	ds_write_b64 v58, v[20:21] offset:4224
	s_branch .LBB48_6
.LBB48_43:                              ;   in Loop: Header=BB48_4 Depth=1
	v_mov_b64_e32 v[36:37], 0
	v_mov_b64_e32 v[28:29], 0
	;; [unrolled: 1-line block ×4, first 2 shown]
.LBB48_44:                              ;   in Loop: Header=BB48_4 Depth=1
	v_mul_lo_u32 v2, s53, v22
	v_mul_lo_u32 v3, s52, v23
	v_mad_u64_u32 v[0:1], s[4:5], s52, v22, 0
	v_cmp_gt_i32_e64 s[6:7], s38, v22
	v_add3_u32 v1, v1, v3, v2
	v_lshl_add_u64 v[0:1], v[0:1], 3, s[28:29]
	s_and_b64 s[8:9], s[20:21], s[6:7]
	s_and_saveexec_b64 s[4:5], s[8:9]
	s_cbranch_execz .LBB48_46
; %bb.45:                               ;   in Loop: Header=BB48_4 Depth=1
	v_lshl_add_u64 v[2:3], v[4:5], 3, v[0:1]
	global_load_dwordx2 v[30:31], v[2:3], off
	s_waitcnt vmcnt(0)
	v_fmac_f64_e32 v[30:31], s[34:35], v[36:37]
	global_store_dwordx2 v[2:3], v[30:31], off
.LBB48_46:                              ;   in Loop: Header=BB48_4 Depth=1
	s_or_b64 exec, exec, s[4:5]
	s_and_b64 s[6:7], s[22:23], s[6:7]
	s_and_saveexec_b64 s[4:5], s[6:7]
	s_cbranch_execz .LBB48_48
; %bb.47:                               ;   in Loop: Header=BB48_4 Depth=1
	v_lshl_add_u64 v[0:1], v[6:7], 3, v[0:1]
	global_load_dwordx2 v[2:3], v[0:1], off
	s_waitcnt vmcnt(0)
	v_fmac_f64_e32 v[2:3], s[34:35], v[28:29]
	global_store_dwordx2 v[0:1], v[2:3], off
.LBB48_48:                              ;   in Loop: Header=BB48_4 Depth=1
	s_or_b64 exec, exec, s[4:5]
	v_add_u32_e32 v0, 16, v22
	v_ashrrev_i32_e32 v1, 31, v0
	v_cmp_gt_i32_e64 s[6:7], s38, v0
	v_mul_lo_u32 v2, s52, v1
	v_mul_lo_u32 v3, s53, v0
	v_mad_u64_u32 v[0:1], s[4:5], s52, v0, 0
	v_add3_u32 v1, v1, v2, v3
	v_lshl_add_u64 v[0:1], v[0:1], 3, s[28:29]
	s_and_b64 s[8:9], s[20:21], s[6:7]
	s_and_saveexec_b64 s[4:5], s[8:9]
	s_cbranch_execz .LBB48_50
; %bb.49:                               ;   in Loop: Header=BB48_4 Depth=1
	v_lshl_add_u64 v[2:3], v[4:5], 3, v[0:1]
	global_load_dwordx2 v[22:23], v[2:3], off
	s_waitcnt vmcnt(0)
	v_fmac_f64_e32 v[22:23], s[34:35], v[26:27]
	global_store_dwordx2 v[2:3], v[22:23], off
.LBB48_50:                              ;   in Loop: Header=BB48_4 Depth=1
	s_or_b64 exec, exec, s[4:5]
	s_and_b64 s[6:7], s[22:23], s[6:7]
	s_and_saveexec_b64 s[4:5], s[6:7]
	s_cbranch_execz .LBB48_3
; %bb.51:                               ;   in Loop: Header=BB48_4 Depth=1
	v_lshl_add_u64 v[0:1], v[6:7], 3, v[0:1]
	global_load_dwordx2 v[2:3], v[0:1], off
	s_waitcnt vmcnt(0)
	v_fmac_f64_e32 v[2:3], s[34:35], v[24:25]
	global_store_dwordx2 v[0:1], v[2:3], off
	s_branch .LBB48_3
.LBB48_52:
	s_endpgm
	.section	.rodata,"a",@progbits
	.p2align	6, 0x0
	.amdhsa_kernel _ZL30rocblas_trmm_outofplace_kernelIdLi32ELi2ELb0ELb0ELb0ELb0EPKdS0_dEv17rocblas_diagonal_iiT6_lPT7_lllS5_lllPT8_llli
		.amdhsa_group_segment_fixed_size 16384
		.amdhsa_private_segment_fixed_size 0
		.amdhsa_kernarg_size 392
		.amdhsa_user_sgpr_count 2
		.amdhsa_user_sgpr_dispatch_ptr 0
		.amdhsa_user_sgpr_queue_ptr 0
		.amdhsa_user_sgpr_kernarg_segment_ptr 1
		.amdhsa_user_sgpr_dispatch_id 0
		.amdhsa_user_sgpr_kernarg_preload_length 0
		.amdhsa_user_sgpr_kernarg_preload_offset 0
		.amdhsa_user_sgpr_private_segment_size 0
		.amdhsa_uses_dynamic_stack 0
		.amdhsa_enable_private_segment 0
		.amdhsa_system_sgpr_workgroup_id_x 1
		.amdhsa_system_sgpr_workgroup_id_y 1
		.amdhsa_system_sgpr_workgroup_id_z 1
		.amdhsa_system_sgpr_workgroup_info 0
		.amdhsa_system_vgpr_workitem_id 1
		.amdhsa_next_free_vgpr 82
		.amdhsa_next_free_sgpr 62
		.amdhsa_accum_offset 84
		.amdhsa_reserve_vcc 1
		.amdhsa_float_round_mode_32 0
		.amdhsa_float_round_mode_16_64 0
		.amdhsa_float_denorm_mode_32 3
		.amdhsa_float_denorm_mode_16_64 3
		.amdhsa_dx10_clamp 1
		.amdhsa_ieee_mode 1
		.amdhsa_fp16_overflow 0
		.amdhsa_tg_split 0
		.amdhsa_exception_fp_ieee_invalid_op 0
		.amdhsa_exception_fp_denorm_src 0
		.amdhsa_exception_fp_ieee_div_zero 0
		.amdhsa_exception_fp_ieee_overflow 0
		.amdhsa_exception_fp_ieee_underflow 0
		.amdhsa_exception_fp_ieee_inexact 0
		.amdhsa_exception_int_div_zero 0
	.end_amdhsa_kernel
	.section	.text._ZL30rocblas_trmm_outofplace_kernelIdLi32ELi2ELb0ELb0ELb0ELb0EPKdS0_dEv17rocblas_diagonal_iiT6_lPT7_lllS5_lllPT8_llli,"axG",@progbits,_ZL30rocblas_trmm_outofplace_kernelIdLi32ELi2ELb0ELb0ELb0ELb0EPKdS0_dEv17rocblas_diagonal_iiT6_lPT7_lllS5_lllPT8_llli,comdat
.Lfunc_end48:
	.size	_ZL30rocblas_trmm_outofplace_kernelIdLi32ELi2ELb0ELb0ELb0ELb0EPKdS0_dEv17rocblas_diagonal_iiT6_lPT7_lllS5_lllPT8_llli, .Lfunc_end48-_ZL30rocblas_trmm_outofplace_kernelIdLi32ELi2ELb0ELb0ELb0ELb0EPKdS0_dEv17rocblas_diagonal_iiT6_lPT7_lllS5_lllPT8_llli
                                        ; -- End function
	.set _ZL30rocblas_trmm_outofplace_kernelIdLi32ELi2ELb0ELb0ELb0ELb0EPKdS0_dEv17rocblas_diagonal_iiT6_lPT7_lllS5_lllPT8_llli.num_vgpr, 82
	.set _ZL30rocblas_trmm_outofplace_kernelIdLi32ELi2ELb0ELb0ELb0ELb0EPKdS0_dEv17rocblas_diagonal_iiT6_lPT7_lllS5_lllPT8_llli.num_agpr, 0
	.set _ZL30rocblas_trmm_outofplace_kernelIdLi32ELi2ELb0ELb0ELb0ELb0EPKdS0_dEv17rocblas_diagonal_iiT6_lPT7_lllS5_lllPT8_llli.numbered_sgpr, 62
	.set _ZL30rocblas_trmm_outofplace_kernelIdLi32ELi2ELb0ELb0ELb0ELb0EPKdS0_dEv17rocblas_diagonal_iiT6_lPT7_lllS5_lllPT8_llli.num_named_barrier, 0
	.set _ZL30rocblas_trmm_outofplace_kernelIdLi32ELi2ELb0ELb0ELb0ELb0EPKdS0_dEv17rocblas_diagonal_iiT6_lPT7_lllS5_lllPT8_llli.private_seg_size, 0
	.set _ZL30rocblas_trmm_outofplace_kernelIdLi32ELi2ELb0ELb0ELb0ELb0EPKdS0_dEv17rocblas_diagonal_iiT6_lPT7_lllS5_lllPT8_llli.uses_vcc, 1
	.set _ZL30rocblas_trmm_outofplace_kernelIdLi32ELi2ELb0ELb0ELb0ELb0EPKdS0_dEv17rocblas_diagonal_iiT6_lPT7_lllS5_lllPT8_llli.uses_flat_scratch, 0
	.set _ZL30rocblas_trmm_outofplace_kernelIdLi32ELi2ELb0ELb0ELb0ELb0EPKdS0_dEv17rocblas_diagonal_iiT6_lPT7_lllS5_lllPT8_llli.has_dyn_sized_stack, 0
	.set _ZL30rocblas_trmm_outofplace_kernelIdLi32ELi2ELb0ELb0ELb0ELb0EPKdS0_dEv17rocblas_diagonal_iiT6_lPT7_lllS5_lllPT8_llli.has_recursion, 0
	.set _ZL30rocblas_trmm_outofplace_kernelIdLi32ELi2ELb0ELb0ELb0ELb0EPKdS0_dEv17rocblas_diagonal_iiT6_lPT7_lllS5_lllPT8_llli.has_indirect_call, 0
	.section	.AMDGPU.csdata,"",@progbits
; Kernel info:
; codeLenInByte = 3036
; TotalNumSgprs: 68
; NumVgprs: 82
; NumAgprs: 0
; TotalNumVgprs: 82
; ScratchSize: 0
; MemoryBound: 0
; FloatMode: 240
; IeeeMode: 1
; LDSByteSize: 16384 bytes/workgroup (compile time only)
; SGPRBlocks: 8
; VGPRBlocks: 10
; NumSGPRsForWavesPerEU: 68
; NumVGPRsForWavesPerEU: 82
; AccumOffset: 84
; Occupancy: 5
; WaveLimiterHint : 0
; COMPUTE_PGM_RSRC2:SCRATCH_EN: 0
; COMPUTE_PGM_RSRC2:USER_SGPR: 2
; COMPUTE_PGM_RSRC2:TRAP_HANDLER: 0
; COMPUTE_PGM_RSRC2:TGID_X_EN: 1
; COMPUTE_PGM_RSRC2:TGID_Y_EN: 1
; COMPUTE_PGM_RSRC2:TGID_Z_EN: 1
; COMPUTE_PGM_RSRC2:TIDIG_COMP_CNT: 1
; COMPUTE_PGM_RSRC3_GFX90A:ACCUM_OFFSET: 20
; COMPUTE_PGM_RSRC3_GFX90A:TG_SPLIT: 0
	.section	.text._ZL30rocblas_trmm_outofplace_kernelIdLi32ELi2ELb0ELb0ELb0ELb0EdKddEv17rocblas_diagonal_iiT6_lPT7_lllS4_lllPT8_llli,"axG",@progbits,_ZL30rocblas_trmm_outofplace_kernelIdLi32ELi2ELb0ELb0ELb0ELb0EdKddEv17rocblas_diagonal_iiT6_lPT7_lllS4_lllPT8_llli,comdat
	.globl	_ZL30rocblas_trmm_outofplace_kernelIdLi32ELi2ELb0ELb0ELb0ELb0EdKddEv17rocblas_diagonal_iiT6_lPT7_lllS4_lllPT8_llli ; -- Begin function _ZL30rocblas_trmm_outofplace_kernelIdLi32ELi2ELb0ELb0ELb0ELb0EdKddEv17rocblas_diagonal_iiT6_lPT7_lllS4_lllPT8_llli
	.p2align	8
	.type	_ZL30rocblas_trmm_outofplace_kernelIdLi32ELi2ELb0ELb0ELb0ELb0EdKddEv17rocblas_diagonal_iiT6_lPT7_lllS4_lllPT8_llli,@function
_ZL30rocblas_trmm_outofplace_kernelIdLi32ELi2ELb0ELb0ELb0ELb0EdKddEv17rocblas_diagonal_iiT6_lPT7_lllS4_lllPT8_llli: ; @_ZL30rocblas_trmm_outofplace_kernelIdLi32ELi2ELb0ELb0ELb0ELb0EdKddEv17rocblas_diagonal_iiT6_lPT7_lllS4_lllPT8_llli
; %bb.0:
	s_load_dwordx2 s[34:35], s[0:1], 0x10
	s_waitcnt lgkmcnt(0)
	v_cmp_eq_f64_e64 s[6:7], s[34:35], 0
	s_and_b64 vcc, exec, s[6:7]
	s_cbranch_vccnz .LBB49_52
; %bb.1:
	s_load_dwordx4 s[28:31], s[0:1], 0x0
	s_waitcnt lgkmcnt(0)
	s_add_i32 s5, s30, -1
	s_ashr_i32 s6, s5, 31
	s_lshr_b32 s6, s6, 27
	s_add_i32 s5, s5, s6
	s_ashr_i32 s33, s5, 5
	s_cmp_gt_i32 s3, s33
	s_cbranch_scc1 .LBB49_52
; %bb.2:
	s_load_dwordx8 s[20:27], s[0:1], 0x60
	s_load_dwordx16 s[36:51], s[0:1], 0x20
	v_and_b32_e32 v2, 0x3ff, v0
	v_lshl_add_u32 v4, s2, 5, v2
	v_bfe_u32 v54, v0, 10, 10
	s_waitcnt lgkmcnt(0)
	s_mul_i32 s5, s27, s4
	s_mul_hi_u32 s7, s26, s4
	s_mul_i32 s6, s26, s4
	s_add_i32 s7, s7, s5
	s_lshl_b64 s[6:7], s[6:7], 3
	s_add_u32 s5, s20, s6
	s_addc_u32 s8, s21, s7
	s_lshl_b64 s[6:7], s[22:23], 3
	s_add_u32 s26, s5, s6
	s_addc_u32 s27, s8, s7
	s_cmpk_eq_i32 s28, 0x84
	s_cselect_b64 s[52:53], -1, 0
	s_ashr_i32 s2, s29, 31
	s_ashr_i32 s31, s30, 31
	v_mov_b32_e32 v1, s2
	s_lshl_b64 s[54:55], s[48:49], 8
	s_load_dword s2, s[0:1], 0x8c
	s_add_u32 s56, s30, -16
	s_addc_u32 s57, s31, -1
	s_lshl_b32 s5, s3, 5
	v_add_u32_e32 v8, s5, v2
	v_add_u32_e32 v10, s5, v54
	s_mul_i32 s5, s43, s4
	s_mul_hi_u32 s6, s42, s4
	s_add_i32 s7, s6, s5
	s_mul_i32 s6, s42, s4
	s_waitcnt lgkmcnt(0)
	s_lshl_b32 s58, s2, 5
	s_lshl_b64 s[6:7], s[6:7], 3
	s_lshl_b64 s[8:9], s[38:39], 3
	s_add_u32 s5, s6, s8
	s_addc_u32 s6, s7, s9
	v_add_u32_e32 v6, 16, v4
	s_add_u32 s28, s36, s5
	v_sub_co_u32_e32 v0, vcc, s29, v4
	v_cmp_gt_i32_e64 s[20:21], s29, v4
	v_cmp_gt_i32_e64 s[22:23], s29, v6
	s_addc_u32 s29, s37, s6
	s_add_u32 s36, s44, 0x80
	s_mul_i32 s5, s51, s4
	s_mul_hi_u32 s6, s50, s4
	s_addc_u32 s37, s45, 0
	s_add_i32 s5, s6, s5
	s_mul_i32 s4, s50, s4
	s_lshl_b64 s[38:39], s[48:49], 3
	s_lshl_b64 s[4:5], s[4:5], 3
	;; [unrolled: 1-line block ×3, first 2 shown]
	v_ashrrev_i32_e32 v5, 31, v4
	v_lshlrev_b32_e32 v3, 3, v2
	s_add_u32 s4, s4, s6
	v_lshlrev_b32_e32 v55, 8, v54
	v_subb_co_u32_e32 v1, vcc, v1, v5, vcc
	v_or_b32_e32 v57, 0x2000, v3
	s_addc_u32 s5, s5, s7
	v_mov_b32_e32 v14, 0
	v_add_u32_e32 v56, v55, v3
	v_add_u32_e32 v58, v57, v55
	v_cmp_gt_i64_e32 vcc, 1, v[0:1]
	v_cmp_gt_i64_e64 s[0:1], 17, v[0:1]
	v_ashrrev_i32_e32 v7, 31, v6
	v_lshl_add_u64 v[12:13], v[4:5], 3, s[4:5]
	s_lshl_b64 s[42:43], s[40:41], 3
	s_mov_b64 s[46:47], 0x100
	v_mov_b64_e32 v[16:17], 0x80
	v_mov_b32_e32 v19, 0x3ff00000
	v_mov_b32_e32 v20, 0
	;; [unrolled: 1-line block ×4, first 2 shown]
	v_add_u32_e32 v59, 0x800, v57
	v_add_u32_e32 v60, 0x1000, v57
	;; [unrolled: 1-line block ×3, first 2 shown]
	s_branch .LBB49_4
.LBB49_3:                               ;   in Loop: Header=BB49_4 Depth=1
	s_or_b64 exec, exec, s[4:5]
	s_add_i32 s3, s2, s3
	v_add_u32_e32 v8, s58, v8
	s_cmp_le_i32 s3, s33
	v_add_u32_e32 v10, s58, v10
	s_cbranch_scc0 .LBB49_52
.LBB49_4:                               ; =>This Loop Header: Depth=1
                                        ;     Child Loop BB49_7 Depth 2
	s_lshl_b32 s4, s3, 5
	v_add_u32_e32 v22, s4, v54
	s_sub_i32 s59, s30, s4
	v_ashrrev_i32_e32 v9, 31, v8
	v_ashrrev_i32_e32 v11, 31, v10
	s_cmp_lt_i32 s59, 1
	v_ashrrev_i32_e32 v23, 31, v22
	s_cbranch_scc1 .LBB49_43
; %bb.5:                                ;   in Loop: Header=BB49_4 Depth=1
	v_sub_co_u32_e64 v30, s[4:5], v10, v8
	v_lshl_add_u64 v[0:1], v[10:11], 3, v[16:17]
	v_mov_b64_e32 v[2:3], s[28:29]
	v_subb_co_u32_e64 v31, s[4:5], v11, v9, s[4:5]
	v_mul_lo_u32 v15, s40, v1
	v_mul_lo_u32 v24, s41, v0
	v_mad_u64_u32 v[34:35], s[4:5], s40, v0, v[2:3]
	v_add3_u32 v35, v24, v35, v15
	v_mov_b64_e32 v[24:25], s[36:37]
	v_mad_u64_u32 v[40:41], s[4:5], s42, v10, v[2:3]
	v_mul_lo_u32 v2, s42, v11
	v_mul_lo_u32 v3, s43, v10
	v_mad_u64_u32 v[38:39], s[4:5], s38, v10, v[24:25]
	v_mul_lo_u32 v15, s38, v11
	v_mul_lo_u32 v24, s39, v10
	v_add3_u32 v41, v3, v41, v2
	v_mov_b64_e32 v[2:3], s[44:45]
	v_add3_u32 v39, v24, v39, v15
	v_mul_lo_u32 v1, s48, v1
	v_mul_lo_u32 v15, s49, v0
	v_mad_u64_u32 v[42:43], s[4:5], s48, v0, v[2:3]
	v_lshl_add_u64 v[44:45], v[22:23], 0, 16
	v_lshlrev_b64 v[32:33], 3, v[8:9]
	v_add3_u32 v43, v15, v43, v1
	v_cmp_le_i32_e64 s[6:7], s30, v22
	v_cmp_le_i64_e64 s[8:9], s[30:31], v[44:45]
	v_lshl_add_u64 v[46:47], v[30:31], 0, 16
	v_lshl_add_u64 v[48:49], v[30:31], 0, -16
	v_mov_b64_e32 v[24:25], 0
	s_mov_b64 s[50:51], 0
	v_mov_b64_e32 v[50:51], v[12:13]
	v_mov_b64_e32 v[26:27], 0
	;; [unrolled: 1-line block ×4, first 2 shown]
	s_branch .LBB49_7
.LBB49_6:                               ;   in Loop: Header=BB49_7 Depth=2
	s_or_b64 exec, exec, s[4:5]
	s_waitcnt lgkmcnt(0)
	s_barrier
	ds_read_b128 v[62:65], v55
	ds_read_b128 v[66:69], v55 offset:16
	ds_read_b128 v[70:73], v55 offset:32
	;; [unrolled: 1-line block ×3, first 2 shown]
	ds_read2_b64 v[74:77], v57 offset1:16
	ds_read_b128 v[78:81], v55 offset:4096
	s_add_u32 s50, s50, 32
	s_addc_u32 s51, s51, 0
	v_lshl_add_u64 v[34:35], v[34:35], 0, s[46:47]
	s_waitcnt lgkmcnt(1)
	v_fmac_f64_e32 v[36:37], v[74:75], v[62:63]
	v_fmac_f64_e32 v[28:29], v[76:77], v[62:63]
	s_waitcnt lgkmcnt(0)
	v_fmac_f64_e32 v[26:27], v[74:75], v[78:79]
	v_fmac_f64_e32 v[24:25], v[76:77], v[78:79]
	ds_read2_b64 v[74:77], v57 offset0:32 offset1:48
	v_lshl_add_u64 v[50:51], v[50:51], 0, s[54:55]
	v_lshl_add_u64 v[40:41], v[40:41], 0, s[46:47]
	s_cmp_ge_i32 s50, s59
	s_waitcnt lgkmcnt(0)
	v_fmac_f64_e32 v[36:37], v[74:75], v[64:65]
	v_fmac_f64_e32 v[28:29], v[76:77], v[64:65]
	v_fmac_f64_e32 v[26:27], v[74:75], v[80:81]
	v_fmac_f64_e32 v[24:25], v[76:77], v[80:81]
	ds_read2_b64 v[62:65], v57 offset0:64 offset1:80
	ds_read_b128 v[74:77], v55 offset:4112
	s_waitcnt lgkmcnt(1)
	v_fmac_f64_e32 v[36:37], v[62:63], v[66:67]
	v_fmac_f64_e32 v[28:29], v[64:65], v[66:67]
	s_waitcnt lgkmcnt(0)
	v_fmac_f64_e32 v[26:27], v[62:63], v[74:75]
	v_fmac_f64_e32 v[24:25], v[64:65], v[74:75]
	ds_read2_b64 v[62:65], v57 offset0:96 offset1:112
	s_waitcnt lgkmcnt(0)
	v_fmac_f64_e32 v[36:37], v[62:63], v[68:69]
	v_fmac_f64_e32 v[28:29], v[64:65], v[68:69]
	v_fmac_f64_e32 v[26:27], v[62:63], v[76:77]
	v_fmac_f64_e32 v[24:25], v[64:65], v[76:77]
	ds_read2_b64 v[62:65], v57 offset0:128 offset1:144
	ds_read_b128 v[66:69], v55 offset:4128
	s_waitcnt lgkmcnt(1)
	v_fmac_f64_e32 v[36:37], v[62:63], v[70:71]
	v_fmac_f64_e32 v[28:29], v[64:65], v[70:71]
	s_waitcnt lgkmcnt(0)
	v_fmac_f64_e32 v[26:27], v[62:63], v[66:67]
	v_fmac_f64_e32 v[24:25], v[64:65], v[66:67]
	ds_read2_b64 v[62:65], v57 offset0:160 offset1:176
	;; [unrolled: 14-line block ×3, first 2 shown]
	s_waitcnt lgkmcnt(0)
	v_fmac_f64_e32 v[36:37], v[62:63], v[2:3]
	v_fmac_f64_e32 v[28:29], v[64:65], v[2:3]
	v_fmac_f64_e32 v[26:27], v[62:63], v[68:69]
	v_fmac_f64_e32 v[24:25], v[64:65], v[68:69]
	ds_read_b128 v[0:3], v55 offset:64
	ds_read2_b64 v[62:65], v59 offset1:16
	ds_read_b128 v[66:69], v55 offset:4160
	s_waitcnt lgkmcnt(1)
	v_fmac_f64_e32 v[36:37], v[62:63], v[0:1]
	v_fmac_f64_e32 v[28:29], v[64:65], v[0:1]
	s_waitcnt lgkmcnt(0)
	v_fmac_f64_e32 v[26:27], v[62:63], v[66:67]
	v_fmac_f64_e32 v[24:25], v[64:65], v[66:67]
	ds_read2_b64 v[62:65], v59 offset0:32 offset1:48
	s_waitcnt lgkmcnt(0)
	v_fmac_f64_e32 v[36:37], v[62:63], v[2:3]
	v_fmac_f64_e32 v[28:29], v[64:65], v[2:3]
	v_fmac_f64_e32 v[26:27], v[62:63], v[68:69]
	v_fmac_f64_e32 v[24:25], v[64:65], v[68:69]
	ds_read_b128 v[0:3], v55 offset:80
	ds_read2_b64 v[62:65], v59 offset0:64 offset1:80
	ds_read_b128 v[66:69], v55 offset:4176
	s_waitcnt lgkmcnt(1)
	v_fmac_f64_e32 v[36:37], v[62:63], v[0:1]
	v_fmac_f64_e32 v[28:29], v[64:65], v[0:1]
	s_waitcnt lgkmcnt(0)
	v_fmac_f64_e32 v[26:27], v[62:63], v[66:67]
	v_fmac_f64_e32 v[24:25], v[64:65], v[66:67]
	ds_read2_b64 v[62:65], v59 offset0:96 offset1:112
	s_waitcnt lgkmcnt(0)
	v_fmac_f64_e32 v[36:37], v[62:63], v[2:3]
	v_fmac_f64_e32 v[28:29], v[64:65], v[2:3]
	v_fmac_f64_e32 v[26:27], v[62:63], v[68:69]
	v_fmac_f64_e32 v[24:25], v[64:65], v[68:69]
	ds_read_b128 v[0:3], v55 offset:96
	ds_read2_b64 v[62:65], v59 offset0:128 offset1:144
	ds_read_b128 v[66:69], v55 offset:4192
	s_waitcnt lgkmcnt(1)
	v_fmac_f64_e32 v[36:37], v[62:63], v[0:1]
	v_fmac_f64_e32 v[28:29], v[64:65], v[0:1]
	s_waitcnt lgkmcnt(0)
	v_fmac_f64_e32 v[26:27], v[62:63], v[66:67]
	v_fmac_f64_e32 v[24:25], v[64:65], v[66:67]
	ds_read2_b64 v[62:65], v59 offset0:160 offset1:176
	s_waitcnt lgkmcnt(0)
	v_fmac_f64_e32 v[36:37], v[62:63], v[2:3]
	v_fmac_f64_e32 v[28:29], v[64:65], v[2:3]
	v_fmac_f64_e32 v[26:27], v[62:63], v[68:69]
	v_fmac_f64_e32 v[24:25], v[64:65], v[68:69]
	ds_read_b128 v[0:3], v55 offset:112
	ds_read2_b64 v[62:65], v59 offset0:192 offset1:208
	ds_read_b128 v[66:69], v55 offset:4208
	s_waitcnt lgkmcnt(1)
	v_fmac_f64_e32 v[36:37], v[62:63], v[0:1]
	v_fmac_f64_e32 v[28:29], v[64:65], v[0:1]
	s_waitcnt lgkmcnt(0)
	v_fmac_f64_e32 v[26:27], v[62:63], v[66:67]
	v_fmac_f64_e32 v[24:25], v[64:65], v[66:67]
	ds_read2_b64 v[62:65], v59 offset0:224 offset1:240
	s_waitcnt lgkmcnt(0)
	v_fmac_f64_e32 v[36:37], v[62:63], v[2:3]
	v_fmac_f64_e32 v[28:29], v[64:65], v[2:3]
	v_fmac_f64_e32 v[26:27], v[62:63], v[68:69]
	v_fmac_f64_e32 v[24:25], v[64:65], v[68:69]
	ds_read_b128 v[0:3], v55 offset:128
	ds_read2_b64 v[62:65], v60 offset1:16
	ds_read_b128 v[66:69], v55 offset:4224
	s_waitcnt lgkmcnt(1)
	v_fmac_f64_e32 v[36:37], v[62:63], v[0:1]
	v_fmac_f64_e32 v[28:29], v[64:65], v[0:1]
	s_waitcnt lgkmcnt(0)
	v_fmac_f64_e32 v[26:27], v[62:63], v[66:67]
	v_fmac_f64_e32 v[24:25], v[64:65], v[66:67]
	ds_read2_b64 v[62:65], v60 offset0:32 offset1:48
	s_waitcnt lgkmcnt(0)
	v_fmac_f64_e32 v[36:37], v[62:63], v[2:3]
	v_fmac_f64_e32 v[28:29], v[64:65], v[2:3]
	v_fmac_f64_e32 v[26:27], v[62:63], v[68:69]
	v_fmac_f64_e32 v[24:25], v[64:65], v[68:69]
	ds_read_b128 v[0:3], v55 offset:144
	ds_read2_b64 v[62:65], v60 offset0:64 offset1:80
	ds_read_b128 v[66:69], v55 offset:4240
	s_waitcnt lgkmcnt(1)
	v_fmac_f64_e32 v[36:37], v[62:63], v[0:1]
	v_fmac_f64_e32 v[28:29], v[64:65], v[0:1]
	s_waitcnt lgkmcnt(0)
	v_fmac_f64_e32 v[26:27], v[62:63], v[66:67]
	v_fmac_f64_e32 v[24:25], v[64:65], v[66:67]
	ds_read2_b64 v[62:65], v60 offset0:96 offset1:112
	s_waitcnt lgkmcnt(0)
	v_fmac_f64_e32 v[36:37], v[62:63], v[2:3]
	v_fmac_f64_e32 v[28:29], v[64:65], v[2:3]
	v_fmac_f64_e32 v[26:27], v[62:63], v[68:69]
	v_fmac_f64_e32 v[24:25], v[64:65], v[68:69]
	ds_read_b128 v[0:3], v55 offset:160
	ds_read2_b64 v[62:65], v60 offset0:128 offset1:144
	ds_read_b128 v[66:69], v55 offset:4256
	s_waitcnt lgkmcnt(1)
	v_fmac_f64_e32 v[36:37], v[62:63], v[0:1]
	v_fmac_f64_e32 v[28:29], v[64:65], v[0:1]
	s_waitcnt lgkmcnt(0)
	v_fmac_f64_e32 v[26:27], v[62:63], v[66:67]
	v_fmac_f64_e32 v[24:25], v[64:65], v[66:67]
	ds_read2_b64 v[62:65], v60 offset0:160 offset1:176
	s_waitcnt lgkmcnt(0)
	v_fmac_f64_e32 v[36:37], v[62:63], v[2:3]
	v_fmac_f64_e32 v[28:29], v[64:65], v[2:3]
	v_fmac_f64_e32 v[26:27], v[62:63], v[68:69]
	v_fmac_f64_e32 v[24:25], v[64:65], v[68:69]
	ds_read_b128 v[0:3], v55 offset:176
	ds_read2_b64 v[62:65], v60 offset0:192 offset1:208
	ds_read_b128 v[66:69], v55 offset:4272
	s_waitcnt lgkmcnt(1)
	v_fmac_f64_e32 v[36:37], v[62:63], v[0:1]
	v_fmac_f64_e32 v[28:29], v[64:65], v[0:1]
	s_waitcnt lgkmcnt(0)
	v_fmac_f64_e32 v[26:27], v[62:63], v[66:67]
	v_fmac_f64_e32 v[24:25], v[64:65], v[66:67]
	ds_read2_b64 v[62:65], v60 offset0:224 offset1:240
	;; [unrolled: 60-line block ×3, first 2 shown]
	s_waitcnt lgkmcnt(0)
	s_barrier
	v_fmac_f64_e32 v[36:37], v[62:63], v[2:3]
	v_fmac_f64_e32 v[28:29], v[64:65], v[2:3]
	v_fmac_f64_e32 v[26:27], v[62:63], v[68:69]
	v_fmac_f64_e32 v[24:25], v[64:65], v[68:69]
	s_cbranch_scc1 .LBB49_44
.LBB49_7:                               ;   Parent Loop BB49_4 Depth=1
                                        ; =>  This Inner Loop Header: Depth=2
	v_lshl_add_u64 v[0:1], v[8:9], 0, s[50:51]
	v_cmp_eq_u64_e64 s[4:5], s[50:51], v[30:31]
	v_cmp_lt_i64_e64 s[12:13], v[0:1], v[22:23]
	s_and_b64 s[10:11], s[52:53], s[4:5]
	v_cmp_le_i64_e64 s[14:15], s[30:31], v[0:1]
	s_or_b64 s[4:5], s[6:7], s[12:13]
	s_or_b64 s[4:5], s[14:15], s[4:5]
	v_lshl_add_u64 v[2:3], v[40:41], 0, v[32:33]
	s_nor_b64 s[4:5], s[4:5], s[10:11]
                                        ; implicit-def: $vgpr52_vgpr53
	s_and_saveexec_b64 s[16:17], s[4:5]
	s_xor_b64 s[4:5], exec, s[16:17]
	s_cbranch_execz .LBB49_9
; %bb.8:                                ;   in Loop: Header=BB49_7 Depth=2
	global_load_dwordx2 v[52:53], v[2:3], off
.LBB49_9:                               ;   in Loop: Header=BB49_7 Depth=2
	s_andn2_saveexec_b64 s[4:5], s[4:5]
	s_cbranch_execz .LBB49_11
; %bb.10:                               ;   in Loop: Header=BB49_7 Depth=2
	v_cndmask_b32_e64 v15, 0, v19, s[10:11]
	s_waitcnt vmcnt(0)
	v_mov_b64_e32 v[52:53], v[14:15]
.LBB49_11:                              ;   in Loop: Header=BB49_7 Depth=2
	s_or_b64 exec, exec, s[4:5]
	s_waitcnt vmcnt(0)
	ds_write_b64 v56, v[52:53]
	v_lshl_add_u64 v[52:53], v[0:1], 0, 16
	v_cmp_eq_u64_e64 s[4:5], s[50:51], v[48:49]
	s_and_b64 s[18:19], s[52:53], s[4:5]
	v_cmp_lt_i64_e64 s[4:5], v[52:53], v[22:23]
	v_cmp_le_i64_e64 s[16:17], s[30:31], v[52:53]
	s_or_b64 s[4:5], s[6:7], s[4:5]
	s_or_b64 s[4:5], s[16:17], s[4:5]
	s_nor_b64 s[4:5], s[4:5], s[18:19]
	s_and_saveexec_b64 s[60:61], s[4:5]
	s_xor_b64 s[4:5], exec, s[60:61]
	s_cbranch_execz .LBB49_13
; %bb.12:                               ;   in Loop: Header=BB49_7 Depth=2
	global_load_dwordx2 v[2:3], v[2:3], off offset:128
	s_waitcnt vmcnt(0)
	ds_write_b64 v56, v[2:3] offset:128
.LBB49_13:                              ;   in Loop: Header=BB49_7 Depth=2
	s_andn2_saveexec_b64 s[4:5], s[4:5]
	s_cbranch_execz .LBB49_19
; %bb.14:                               ;   in Loop: Header=BB49_7 Depth=2
	s_xor_b64 s[18:19], s[18:19], -1
	s_and_saveexec_b64 s[60:61], s[18:19]
	s_xor_b64 s[18:19], exec, s[60:61]
; %bb.15:                               ;   in Loop: Header=BB49_7 Depth=2
	ds_write_b64 v56, v[20:21] offset:128
; %bb.16:                               ;   in Loop: Header=BB49_7 Depth=2
	s_andn2_saveexec_b64 s[18:19], s[18:19]
; %bb.17:                               ;   in Loop: Header=BB49_7 Depth=2
	ds_write_b64 v56, v[18:19] offset:128
; %bb.18:                               ;   in Loop: Header=BB49_7 Depth=2
	s_or_b64 exec, exec, s[18:19]
.LBB49_19:                              ;   in Loop: Header=BB49_7 Depth=2
	s_or_b64 exec, exec, s[4:5]
	v_cmp_eq_u64_e64 s[4:5], s[50:51], v[46:47]
	s_and_b64 s[18:19], s[52:53], s[4:5]
	v_cmp_lt_i64_e64 s[4:5], v[0:1], v[44:45]
	s_or_b64 s[4:5], s[8:9], s[4:5]
	s_or_b64 s[4:5], s[4:5], s[18:19]
	v_lshl_add_u64 v[2:3], v[34:35], 0, v[32:33]
	s_nor_b64 s[4:5], s[14:15], s[4:5]
                                        ; implicit-def: $vgpr0_vgpr1
	s_and_saveexec_b64 s[14:15], s[4:5]
	s_xor_b64 s[4:5], exec, s[14:15]
	s_cbranch_execz .LBB49_21
; %bb.20:                               ;   in Loop: Header=BB49_7 Depth=2
	global_load_dwordx2 v[0:1], v[2:3], off
.LBB49_21:                              ;   in Loop: Header=BB49_7 Depth=2
	s_andn2_saveexec_b64 s[4:5], s[4:5]
	s_cbranch_execz .LBB49_23
; %bb.22:                               ;   in Loop: Header=BB49_7 Depth=2
	v_cndmask_b32_e64 v15, 0, v19, s[18:19]
	s_waitcnt vmcnt(0)
	v_mov_b64_e32 v[0:1], v[14:15]
.LBB49_23:                              ;   in Loop: Header=BB49_7 Depth=2
	s_or_b64 exec, exec, s[4:5]
	s_or_b64 s[4:5], s[8:9], s[12:13]
	s_or_b64 s[4:5], s[16:17], s[4:5]
	s_nor_b64 s[4:5], s[4:5], s[10:11]
	s_waitcnt vmcnt(0)
	ds_write_b64 v56, v[0:1] offset:4096
	s_and_saveexec_b64 s[12:13], s[4:5]
	s_xor_b64 s[4:5], exec, s[12:13]
	s_cbranch_execz .LBB49_25
; %bb.24:                               ;   in Loop: Header=BB49_7 Depth=2
	global_load_dwordx2 v[0:1], v[2:3], off offset:128
	s_waitcnt vmcnt(0)
	ds_write_b64 v56, v[0:1] offset:4224
.LBB49_25:                              ;   in Loop: Header=BB49_7 Depth=2
	s_andn2_saveexec_b64 s[4:5], s[4:5]
	s_cbranch_execz .LBB49_31
; %bb.26:                               ;   in Loop: Header=BB49_7 Depth=2
	s_xor_b64 s[10:11], s[10:11], -1
	s_and_saveexec_b64 s[12:13], s[10:11]
	s_xor_b64 s[10:11], exec, s[12:13]
; %bb.27:                               ;   in Loop: Header=BB49_7 Depth=2
	ds_write_b64 v56, v[20:21] offset:4224
; %bb.28:                               ;   in Loop: Header=BB49_7 Depth=2
	s_andn2_saveexec_b64 s[10:11], s[10:11]
; %bb.29:                               ;   in Loop: Header=BB49_7 Depth=2
	ds_write_b64 v56, v[18:19] offset:4224
; %bb.30:                               ;   in Loop: Header=BB49_7 Depth=2
	s_or_b64 exec, exec, s[10:11]
.LBB49_31:                              ;   in Loop: Header=BB49_7 Depth=2
	s_or_b64 exec, exec, s[4:5]
	v_lshl_add_u64 v[0:1], v[10:11], 0, s[50:51]
	v_cmp_le_i64_e64 s[10:11], s[30:31], v[0:1]
	v_lshl_add_u64 v[2:3], v[38:39], 0, v[50:51]
	s_nor_b64 s[12:13], s[10:11], vcc
	v_mov_b64_e32 v[52:53], 0
	s_and_saveexec_b64 s[4:5], s[12:13]
	s_cbranch_execz .LBB49_33
; %bb.32:                               ;   in Loop: Header=BB49_7 Depth=2
	global_load_dwordx2 v[52:53], v[2:3], off offset:-128
.LBB49_33:                              ;   in Loop: Header=BB49_7 Depth=2
	s_or_b64 exec, exec, s[4:5]
	s_nor_b64 s[4:5], s[10:11], s[0:1]
	s_waitcnt vmcnt(0)
	ds_write_b64 v58, v[52:53]
	s_and_saveexec_b64 s[10:11], s[4:5]
	s_xor_b64 s[4:5], exec, s[10:11]
	s_cbranch_execz .LBB49_35
; %bb.34:                               ;   in Loop: Header=BB49_7 Depth=2
	global_load_dwordx2 v[2:3], v[2:3], off
	s_waitcnt vmcnt(0)
	ds_write_b64 v58, v[2:3] offset:128
.LBB49_35:                              ;   in Loop: Header=BB49_7 Depth=2
	s_andn2_saveexec_b64 s[4:5], s[4:5]
; %bb.36:                               ;   in Loop: Header=BB49_7 Depth=2
	ds_write_b64 v58, v[20:21] offset:128
; %bb.37:                               ;   in Loop: Header=BB49_7 Depth=2
	s_or_b64 exec, exec, s[4:5]
	v_cmp_le_i64_e64 s[10:11], s[56:57], v[0:1]
	v_lshl_add_u64 v[0:1], v[42:43], 0, v[50:51]
	s_nor_b64 s[12:13], s[10:11], vcc
	v_mov_b64_e32 v[2:3], 0
	s_and_saveexec_b64 s[4:5], s[12:13]
	s_cbranch_execz .LBB49_39
; %bb.38:                               ;   in Loop: Header=BB49_7 Depth=2
	global_load_dwordx2 v[2:3], v[0:1], off
.LBB49_39:                              ;   in Loop: Header=BB49_7 Depth=2
	s_or_b64 exec, exec, s[4:5]
	s_nor_b64 s[4:5], s[10:11], s[0:1]
	s_waitcnt vmcnt(0)
	ds_write_b64 v58, v[2:3] offset:4096
	s_and_saveexec_b64 s[10:11], s[4:5]
	s_xor_b64 s[4:5], exec, s[10:11]
	s_cbranch_execz .LBB49_41
; %bb.40:                               ;   in Loop: Header=BB49_7 Depth=2
	global_load_dwordx2 v[0:1], v[0:1], off offset:128
	s_waitcnt vmcnt(0)
	ds_write_b64 v58, v[0:1] offset:4224
.LBB49_41:                              ;   in Loop: Header=BB49_7 Depth=2
	s_andn2_saveexec_b64 s[4:5], s[4:5]
	s_cbranch_execz .LBB49_6
; %bb.42:                               ;   in Loop: Header=BB49_7 Depth=2
	ds_write_b64 v58, v[20:21] offset:4224
	s_branch .LBB49_6
.LBB49_43:                              ;   in Loop: Header=BB49_4 Depth=1
	v_mov_b64_e32 v[36:37], 0
	v_mov_b64_e32 v[28:29], 0
	;; [unrolled: 1-line block ×4, first 2 shown]
.LBB49_44:                              ;   in Loop: Header=BB49_4 Depth=1
	v_mul_lo_u32 v2, s25, v22
	v_mul_lo_u32 v3, s24, v23
	v_mad_u64_u32 v[0:1], s[4:5], s24, v22, 0
	v_cmp_gt_i32_e64 s[6:7], s30, v22
	v_add3_u32 v1, v1, v3, v2
	v_lshl_add_u64 v[0:1], v[0:1], 3, s[26:27]
	s_and_b64 s[8:9], s[20:21], s[6:7]
	s_and_saveexec_b64 s[4:5], s[8:9]
	s_cbranch_execz .LBB49_46
; %bb.45:                               ;   in Loop: Header=BB49_4 Depth=1
	v_lshl_add_u64 v[2:3], v[4:5], 3, v[0:1]
	global_load_dwordx2 v[30:31], v[2:3], off
	s_waitcnt vmcnt(0)
	v_fmac_f64_e32 v[30:31], s[34:35], v[36:37]
	global_store_dwordx2 v[2:3], v[30:31], off
.LBB49_46:                              ;   in Loop: Header=BB49_4 Depth=1
	s_or_b64 exec, exec, s[4:5]
	s_and_b64 s[6:7], s[22:23], s[6:7]
	s_and_saveexec_b64 s[4:5], s[6:7]
	s_cbranch_execz .LBB49_48
; %bb.47:                               ;   in Loop: Header=BB49_4 Depth=1
	v_lshl_add_u64 v[0:1], v[6:7], 3, v[0:1]
	global_load_dwordx2 v[2:3], v[0:1], off
	s_waitcnt vmcnt(0)
	v_fmac_f64_e32 v[2:3], s[34:35], v[28:29]
	global_store_dwordx2 v[0:1], v[2:3], off
.LBB49_48:                              ;   in Loop: Header=BB49_4 Depth=1
	s_or_b64 exec, exec, s[4:5]
	v_add_u32_e32 v0, 16, v22
	v_ashrrev_i32_e32 v1, 31, v0
	v_cmp_gt_i32_e64 s[6:7], s30, v0
	v_mul_lo_u32 v2, s24, v1
	v_mul_lo_u32 v3, s25, v0
	v_mad_u64_u32 v[0:1], s[4:5], s24, v0, 0
	v_add3_u32 v1, v1, v2, v3
	v_lshl_add_u64 v[0:1], v[0:1], 3, s[26:27]
	s_and_b64 s[8:9], s[20:21], s[6:7]
	s_and_saveexec_b64 s[4:5], s[8:9]
	s_cbranch_execz .LBB49_50
; %bb.49:                               ;   in Loop: Header=BB49_4 Depth=1
	v_lshl_add_u64 v[2:3], v[4:5], 3, v[0:1]
	global_load_dwordx2 v[22:23], v[2:3], off
	s_waitcnt vmcnt(0)
	v_fmac_f64_e32 v[22:23], s[34:35], v[26:27]
	global_store_dwordx2 v[2:3], v[22:23], off
.LBB49_50:                              ;   in Loop: Header=BB49_4 Depth=1
	s_or_b64 exec, exec, s[4:5]
	s_and_b64 s[6:7], s[22:23], s[6:7]
	s_and_saveexec_b64 s[4:5], s[6:7]
	s_cbranch_execz .LBB49_3
; %bb.51:                               ;   in Loop: Header=BB49_4 Depth=1
	v_lshl_add_u64 v[0:1], v[6:7], 3, v[0:1]
	global_load_dwordx2 v[2:3], v[0:1], off
	s_waitcnt vmcnt(0)
	v_fmac_f64_e32 v[2:3], s[34:35], v[24:25]
	global_store_dwordx2 v[0:1], v[2:3], off
	s_branch .LBB49_3
.LBB49_52:
	s_endpgm
	.section	.rodata,"a",@progbits
	.p2align	6, 0x0
	.amdhsa_kernel _ZL30rocblas_trmm_outofplace_kernelIdLi32ELi2ELb0ELb0ELb0ELb0EdKddEv17rocblas_diagonal_iiT6_lPT7_lllS4_lllPT8_llli
		.amdhsa_group_segment_fixed_size 16384
		.amdhsa_private_segment_fixed_size 0
		.amdhsa_kernarg_size 392
		.amdhsa_user_sgpr_count 2
		.amdhsa_user_sgpr_dispatch_ptr 0
		.amdhsa_user_sgpr_queue_ptr 0
		.amdhsa_user_sgpr_kernarg_segment_ptr 1
		.amdhsa_user_sgpr_dispatch_id 0
		.amdhsa_user_sgpr_kernarg_preload_length 0
		.amdhsa_user_sgpr_kernarg_preload_offset 0
		.amdhsa_user_sgpr_private_segment_size 0
		.amdhsa_uses_dynamic_stack 0
		.amdhsa_enable_private_segment 0
		.amdhsa_system_sgpr_workgroup_id_x 1
		.amdhsa_system_sgpr_workgroup_id_y 1
		.amdhsa_system_sgpr_workgroup_id_z 1
		.amdhsa_system_sgpr_workgroup_info 0
		.amdhsa_system_vgpr_workitem_id 1
		.amdhsa_next_free_vgpr 82
		.amdhsa_next_free_sgpr 62
		.amdhsa_accum_offset 84
		.amdhsa_reserve_vcc 1
		.amdhsa_float_round_mode_32 0
		.amdhsa_float_round_mode_16_64 0
		.amdhsa_float_denorm_mode_32 3
		.amdhsa_float_denorm_mode_16_64 3
		.amdhsa_dx10_clamp 1
		.amdhsa_ieee_mode 1
		.amdhsa_fp16_overflow 0
		.amdhsa_tg_split 0
		.amdhsa_exception_fp_ieee_invalid_op 0
		.amdhsa_exception_fp_denorm_src 0
		.amdhsa_exception_fp_ieee_div_zero 0
		.amdhsa_exception_fp_ieee_overflow 0
		.amdhsa_exception_fp_ieee_underflow 0
		.amdhsa_exception_fp_ieee_inexact 0
		.amdhsa_exception_int_div_zero 0
	.end_amdhsa_kernel
	.section	.text._ZL30rocblas_trmm_outofplace_kernelIdLi32ELi2ELb0ELb0ELb0ELb0EdKddEv17rocblas_diagonal_iiT6_lPT7_lllS4_lllPT8_llli,"axG",@progbits,_ZL30rocblas_trmm_outofplace_kernelIdLi32ELi2ELb0ELb0ELb0ELb0EdKddEv17rocblas_diagonal_iiT6_lPT7_lllS4_lllPT8_llli,comdat
.Lfunc_end49:
	.size	_ZL30rocblas_trmm_outofplace_kernelIdLi32ELi2ELb0ELb0ELb0ELb0EdKddEv17rocblas_diagonal_iiT6_lPT7_lllS4_lllPT8_llli, .Lfunc_end49-_ZL30rocblas_trmm_outofplace_kernelIdLi32ELi2ELb0ELb0ELb0ELb0EdKddEv17rocblas_diagonal_iiT6_lPT7_lllS4_lllPT8_llli
                                        ; -- End function
	.set _ZL30rocblas_trmm_outofplace_kernelIdLi32ELi2ELb0ELb0ELb0ELb0EdKddEv17rocblas_diagonal_iiT6_lPT7_lllS4_lllPT8_llli.num_vgpr, 82
	.set _ZL30rocblas_trmm_outofplace_kernelIdLi32ELi2ELb0ELb0ELb0ELb0EdKddEv17rocblas_diagonal_iiT6_lPT7_lllS4_lllPT8_llli.num_agpr, 0
	.set _ZL30rocblas_trmm_outofplace_kernelIdLi32ELi2ELb0ELb0ELb0ELb0EdKddEv17rocblas_diagonal_iiT6_lPT7_lllS4_lllPT8_llli.numbered_sgpr, 62
	.set _ZL30rocblas_trmm_outofplace_kernelIdLi32ELi2ELb0ELb0ELb0ELb0EdKddEv17rocblas_diagonal_iiT6_lPT7_lllS4_lllPT8_llli.num_named_barrier, 0
	.set _ZL30rocblas_trmm_outofplace_kernelIdLi32ELi2ELb0ELb0ELb0ELb0EdKddEv17rocblas_diagonal_iiT6_lPT7_lllS4_lllPT8_llli.private_seg_size, 0
	.set _ZL30rocblas_trmm_outofplace_kernelIdLi32ELi2ELb0ELb0ELb0ELb0EdKddEv17rocblas_diagonal_iiT6_lPT7_lllS4_lllPT8_llli.uses_vcc, 1
	.set _ZL30rocblas_trmm_outofplace_kernelIdLi32ELi2ELb0ELb0ELb0ELb0EdKddEv17rocblas_diagonal_iiT6_lPT7_lllS4_lllPT8_llli.uses_flat_scratch, 0
	.set _ZL30rocblas_trmm_outofplace_kernelIdLi32ELi2ELb0ELb0ELb0ELb0EdKddEv17rocblas_diagonal_iiT6_lPT7_lllS4_lllPT8_llli.has_dyn_sized_stack, 0
	.set _ZL30rocblas_trmm_outofplace_kernelIdLi32ELi2ELb0ELb0ELb0ELb0EdKddEv17rocblas_diagonal_iiT6_lPT7_lllS4_lllPT8_llli.has_recursion, 0
	.set _ZL30rocblas_trmm_outofplace_kernelIdLi32ELi2ELb0ELb0ELb0ELb0EdKddEv17rocblas_diagonal_iiT6_lPT7_lllS4_lllPT8_llli.has_indirect_call, 0
	.section	.AMDGPU.csdata,"",@progbits
; Kernel info:
; codeLenInByte = 3000
; TotalNumSgprs: 68
; NumVgprs: 82
; NumAgprs: 0
; TotalNumVgprs: 82
; ScratchSize: 0
; MemoryBound: 0
; FloatMode: 240
; IeeeMode: 1
; LDSByteSize: 16384 bytes/workgroup (compile time only)
; SGPRBlocks: 8
; VGPRBlocks: 10
; NumSGPRsForWavesPerEU: 68
; NumVGPRsForWavesPerEU: 82
; AccumOffset: 84
; Occupancy: 5
; WaveLimiterHint : 0
; COMPUTE_PGM_RSRC2:SCRATCH_EN: 0
; COMPUTE_PGM_RSRC2:USER_SGPR: 2
; COMPUTE_PGM_RSRC2:TRAP_HANDLER: 0
; COMPUTE_PGM_RSRC2:TGID_X_EN: 1
; COMPUTE_PGM_RSRC2:TGID_Y_EN: 1
; COMPUTE_PGM_RSRC2:TGID_Z_EN: 1
; COMPUTE_PGM_RSRC2:TIDIG_COMP_CNT: 1
; COMPUTE_PGM_RSRC3_GFX90A:ACCUM_OFFSET: 20
; COMPUTE_PGM_RSRC3_GFX90A:TG_SPLIT: 0
	.section	.text._ZL30rocblas_trmm_outofplace_kernelIdLi32ELi2ELb0ELb1ELb0ELb0EPKdS0_dEv17rocblas_diagonal_iiT6_lPT7_lllS5_lllPT8_llli,"axG",@progbits,_ZL30rocblas_trmm_outofplace_kernelIdLi32ELi2ELb0ELb1ELb0ELb0EPKdS0_dEv17rocblas_diagonal_iiT6_lPT7_lllS5_lllPT8_llli,comdat
	.globl	_ZL30rocblas_trmm_outofplace_kernelIdLi32ELi2ELb0ELb1ELb0ELb0EPKdS0_dEv17rocblas_diagonal_iiT6_lPT7_lllS5_lllPT8_llli ; -- Begin function _ZL30rocblas_trmm_outofplace_kernelIdLi32ELi2ELb0ELb1ELb0ELb0EPKdS0_dEv17rocblas_diagonal_iiT6_lPT7_lllS5_lllPT8_llli
	.p2align	8
	.type	_ZL30rocblas_trmm_outofplace_kernelIdLi32ELi2ELb0ELb1ELb0ELb0EPKdS0_dEv17rocblas_diagonal_iiT6_lPT7_lllS5_lllPT8_llli,@function
_ZL30rocblas_trmm_outofplace_kernelIdLi32ELi2ELb0ELb1ELb0ELb0EPKdS0_dEv17rocblas_diagonal_iiT6_lPT7_lllS5_lllPT8_llli: ; @_ZL30rocblas_trmm_outofplace_kernelIdLi32ELi2ELb0ELb1ELb0ELb0EPKdS0_dEv17rocblas_diagonal_iiT6_lPT7_lllS5_lllPT8_llli
; %bb.0:
	s_load_dwordx16 s[36:51], s[0:1], 0x10
	s_waitcnt lgkmcnt(0)
	s_mul_i32 s5, s39, s4
	s_mul_hi_u32 s6, s38, s4
	s_add_i32 s7, s6, s5
	s_mul_i32 s6, s38, s4
	s_lshl_b64 s[6:7], s[6:7], 3
	s_add_u32 s6, s36, s6
	s_addc_u32 s7, s37, s7
	s_load_dwordx2 s[34:35], s[6:7], 0x0
	s_waitcnt lgkmcnt(0)
	v_cmp_eq_f64_e64 s[6:7], s[34:35], 0
	s_and_b64 vcc, exec, s[6:7]
	s_cbranch_vccnz .LBB50_51
; %bb.1:
	s_load_dwordx4 s[24:27], s[0:1], 0x0
	s_waitcnt lgkmcnt(0)
	s_add_i32 s5, s26, -1
	s_ashr_i32 s6, s5, 31
	s_lshr_b32 s6, s6, 27
	s_add_i32 s5, s5, s6
	s_ashr_i32 s33, s5, 5
	s_cmp_gt_i32 s3, s33
	s_cbranch_scc1 .LBB50_51
; %bb.2:
	s_load_dwordx8 s[8:15], s[0:1], 0x50
	s_load_dwordx4 s[28:31], s[0:1], 0x70
	v_and_b32_e32 v6, 0x3ff, v0
	v_lshl_add_u32 v10, s2, 5, v6
	v_ashrrev_i32_e32 v11, 31, v10
	s_waitcnt lgkmcnt(0)
	s_mul_i32 s5, s11, s4
	s_mul_hi_u32 s7, s10, s4
	s_mul_i32 s6, s10, s4
	s_add_i32 s7, s7, s5
	s_lshl_b64 s[6:7], s[6:7], 3
	s_add_u32 s5, s48, s6
	s_addc_u32 s10, s49, s7
	s_lshl_b64 s[6:7], s[50:51], 3
	s_add_u32 s6, s5, s6
	s_load_dword s50, s[0:1], 0x8c
	s_mul_i32 s0, s31, s4
	s_mul_hi_u32 s1, s30, s4
	s_addc_u32 s7, s10, s7
	s_add_i32 s1, s1, s0
	s_mul_i32 s0, s30, s4
	s_lshl_b64 s[0:1], s[0:1], 3
	s_add_u32 s5, s12, s0
	s_addc_u32 s10, s13, s1
	s_lshl_b64 s[0:1], s[14:15], 3
	s_add_u32 s30, s5, s0
	s_addc_u32 s31, s10, s1
	v_lshl_add_u64 v[12:13], v[10:11], 3, s[6:7]
	s_cmpk_eq_i32 s24, 0x84
	v_sub_co_u32_e64 v18, s[6:7], 0, v6
	s_cselect_b64 s[36:37], -1, 0
	s_ashr_i32 s27, s26, 31
	s_ashr_i32 s0, s25, 31
	s_lshl_b64 s[38:39], s[8:9], 8
	v_subb_co_u32_e64 v19, s[6:7], 0, 0, s[6:7]
	s_add_u32 s48, s26, -16
	s_mul_i32 s5, s47, s4
	s_mul_hi_u32 s6, s46, s4
	s_addc_u32 s49, s27, -1
	s_add_i32 s5, s6, s5
	s_mul_i32 s4, s46, s4
	s_waitcnt lgkmcnt(0)
	s_lshl_b32 s2, s50, 5
	s_lshl_b64 s[4:5], s[4:5], 3
	s_lshl_b64 s[6:7], s[42:43], 3
	s_add_u32 s4, s4, s6
	v_bfe_u32 v4, v0, 10, 10
	v_mov_b32_e32 v1, s0
	v_sub_co_u32_e32 v0, vcc, s25, v10
	s_addc_u32 s5, s5, s7
	s_nop 0
	v_subb_co_u32_e32 v1, vcc, v1, v11, vcc
	v_add_u32_e32 v16, 16, v10
	s_add_u32 s24, s40, s4
	v_cmp_gt_i64_e32 vcc, 1, v[0:1]
	v_cmp_gt_i64_e64 s[0:1], 17, v[0:1]
	v_cmp_gt_i32_e64 s[20:21], s25, v10
	v_cmp_gt_i32_e64 s[22:23], s25, v16
	s_addc_u32 s25, s41, s5
	v_mad_u64_u32 v[0:1], s[4:5], s8, v4, 0
	v_mov_b32_e32 v2, v1
	v_mad_u64_u32 v[2:3], s[4:5], s9, v4, v[2:3]
	v_mov_b32_e32 v1, v2
	v_mov_b64_e32 v[22:23], 0x80
	v_lshl_add_u64 v[24:25], v[0:1], 3, v[22:23]
	v_mov_b32_e32 v0, 0x80
	v_lshl_add_u32 v1, v4, 3, v0
	v_mad_u64_u32 v[26:27], s[4:5], s8, v1, 0
	v_lshlrev_b32_e32 v14, 3, v6
	v_mov_b32_e32 v0, v27
	v_mov_b32_e32 v8, 0
	v_lshlrev_b32_e32 v58, 8, v4
	v_or_b32_e32 v60, 0x2000, v14
	v_mad_u64_u32 v[0:1], s[4:5], s9, v1, v[0:1]
	v_mov_b32_e32 v7, v8
	v_mov_b32_e32 v5, v8
	v_add_u32_e32 v59, v58, v14
	v_add_u32_e32 v61, v60, v58
	v_ashrrev_i32_e32 v17, 31, v16
	v_lshl_add_u32 v20, s3, 5, v4
	v_mov_b32_e32 v15, v8
	s_lshl_b64 s[40:41], s[44:45], 3
	v_mov_b32_e32 v27, v0
	s_mov_b64 s[42:43], 0x100
	v_mov_b32_e32 v29, 0x3ff00000
	v_mov_b32_e32 v30, 0
	v_mov_b32_e32 v31, v8
	v_mov_b32_e32 v28, 0
	v_add_u32_e32 v62, 0x800, v60
	v_add_u32_e32 v63, 0x1000, v60
	;; [unrolled: 1-line block ×3, first 2 shown]
	s_branch .LBB50_4
.LBB50_3:                               ;   in Loop: Header=BB50_4 Depth=1
	s_or_b64 exec, exec, s[4:5]
	s_add_i32 s3, s50, s3
	s_cmp_le_i32 s3, s33
	v_add_u32_e32 v20, s2, v20
	s_cbranch_scc0 .LBB50_51
.LBB50_4:                               ; =>This Loop Header: Depth=1
                                        ;     Child Loop BB50_7 Depth 2
	s_lshl_b32 s51, s3, 5
	v_add_u32_e32 v32, s51, v4
	v_ashrrev_i32_e32 v33, 31, v32
	v_mov_b64_e32 v[40:41], 0
	s_cmp_lt_i32 s3, 0
	v_mov_b64_e32 v[38:39], 0
	v_mov_b64_e32 v[36:37], 0
	;; [unrolled: 1-line block ×3, first 2 shown]
	s_cbranch_scc1 .LBB50_43
; %bb.5:                                ;   in Loop: Header=BB50_4 Depth=1
	v_ashrrev_i32_e32 v21, 31, v20
	v_lshl_add_u64 v[0:1], v[20:21], 3, v[22:23]
	v_mov_b64_e32 v[2:3], s[24:25]
	v_mul_lo_u32 v1, s44, v1
	v_mul_lo_u32 v9, s45, v0
	v_mad_u64_u32 v[44:45], s[4:5], s44, v0, v[2:3]
	v_lshl_add_u64 v[42:43], v[18:19], 0, v[20:21]
	v_add3_u32 v45, v9, v45, v1
	v_mad_u64_u32 v[46:47], s[4:5], s40, v20, v[2:3]
	v_mul_lo_u32 v0, s41, v20
	v_mul_lo_u32 v1, s40, v21
	v_lshl_add_u64 v[48:49], v[32:33], 0, 16
	v_add3_u32 v47, v0, v47, v1
	v_cmp_le_i32_e64 s[6:7], s26, v32
	v_cmp_le_i64_e64 s[8:9], s[26:27], v[48:49]
	v_lshl_add_u64 v[50:51], v[42:43], 0, 16
	v_lshl_add_u64 v[52:53], v[42:43], 0, -16
	v_mov_b64_e32 v[34:35], 0
	s_mov_b64 s[46:47], 0
	v_mov_b64_e32 v[54:55], v[12:13]
	v_mov_b64_e32 v[36:37], 0
	;; [unrolled: 1-line block ×4, first 2 shown]
	s_branch .LBB50_7
.LBB50_6:                               ;   in Loop: Header=BB50_7 Depth=2
	s_or_b64 exec, exec, s[4:5]
	s_waitcnt lgkmcnt(0)
	s_barrier
	ds_read_b128 v[66:69], v58
	ds_read_b128 v[70:73], v58 offset:16
	ds_read_b128 v[74:77], v58 offset:32
	;; [unrolled: 1-line block ×3, first 2 shown]
	ds_read2_b64 v[78:81], v60 offset1:16
	ds_read_b128 v[82:85], v58 offset:4096
	s_add_u32 s46, s46, 32
	s_addc_u32 s47, s47, 0
	s_sub_i32 s4, s46, 32
	s_waitcnt lgkmcnt(1)
	v_fmac_f64_e32 v[40:41], v[78:79], v[66:67]
	v_fmac_f64_e32 v[38:39], v[80:81], v[66:67]
	s_waitcnt lgkmcnt(0)
	v_fmac_f64_e32 v[36:37], v[78:79], v[82:83]
	v_fmac_f64_e32 v[34:35], v[80:81], v[82:83]
	ds_read2_b64 v[78:81], v60 offset0:32 offset1:48
	v_lshl_add_u64 v[44:45], v[44:45], 0, s[42:43]
	v_lshl_add_u64 v[54:55], v[54:55], 0, s[38:39]
	v_lshl_add_u64 v[46:47], v[46:47], 0, s[42:43]
	s_cmp_ge_i32 s4, s51
	s_waitcnt lgkmcnt(0)
	v_fmac_f64_e32 v[40:41], v[78:79], v[68:69]
	v_fmac_f64_e32 v[38:39], v[80:81], v[68:69]
	v_fmac_f64_e32 v[36:37], v[78:79], v[84:85]
	v_fmac_f64_e32 v[34:35], v[80:81], v[84:85]
	ds_read2_b64 v[66:69], v60 offset0:64 offset1:80
	ds_read_b128 v[78:81], v58 offset:4112
	s_waitcnt lgkmcnt(1)
	v_fmac_f64_e32 v[40:41], v[66:67], v[70:71]
	v_fmac_f64_e32 v[38:39], v[68:69], v[70:71]
	s_waitcnt lgkmcnt(0)
	v_fmac_f64_e32 v[36:37], v[66:67], v[78:79]
	v_fmac_f64_e32 v[34:35], v[68:69], v[78:79]
	ds_read2_b64 v[66:69], v60 offset0:96 offset1:112
	s_waitcnt lgkmcnt(0)
	v_fmac_f64_e32 v[40:41], v[66:67], v[72:73]
	v_fmac_f64_e32 v[38:39], v[68:69], v[72:73]
	v_fmac_f64_e32 v[36:37], v[66:67], v[80:81]
	v_fmac_f64_e32 v[34:35], v[68:69], v[80:81]
	ds_read2_b64 v[66:69], v60 offset0:128 offset1:144
	ds_read_b128 v[70:73], v58 offset:4128
	s_waitcnt lgkmcnt(1)
	v_fmac_f64_e32 v[40:41], v[66:67], v[74:75]
	v_fmac_f64_e32 v[38:39], v[68:69], v[74:75]
	s_waitcnt lgkmcnt(0)
	v_fmac_f64_e32 v[36:37], v[66:67], v[70:71]
	v_fmac_f64_e32 v[34:35], v[68:69], v[70:71]
	ds_read2_b64 v[66:69], v60 offset0:160 offset1:176
	;; [unrolled: 14-line block ×3, first 2 shown]
	s_waitcnt lgkmcnt(0)
	v_fmac_f64_e32 v[40:41], v[66:67], v[2:3]
	v_fmac_f64_e32 v[38:39], v[68:69], v[2:3]
	v_fmac_f64_e32 v[36:37], v[66:67], v[72:73]
	v_fmac_f64_e32 v[34:35], v[68:69], v[72:73]
	ds_read_b128 v[0:3], v58 offset:64
	ds_read2_b64 v[66:69], v62 offset1:16
	ds_read_b128 v[70:73], v58 offset:4160
	s_waitcnt lgkmcnt(1)
	v_fmac_f64_e32 v[40:41], v[66:67], v[0:1]
	v_fmac_f64_e32 v[38:39], v[68:69], v[0:1]
	s_waitcnt lgkmcnt(0)
	v_fmac_f64_e32 v[36:37], v[66:67], v[70:71]
	v_fmac_f64_e32 v[34:35], v[68:69], v[70:71]
	ds_read2_b64 v[66:69], v62 offset0:32 offset1:48
	s_waitcnt lgkmcnt(0)
	v_fmac_f64_e32 v[40:41], v[66:67], v[2:3]
	v_fmac_f64_e32 v[38:39], v[68:69], v[2:3]
	v_fmac_f64_e32 v[36:37], v[66:67], v[72:73]
	v_fmac_f64_e32 v[34:35], v[68:69], v[72:73]
	ds_read_b128 v[0:3], v58 offset:80
	ds_read2_b64 v[66:69], v62 offset0:64 offset1:80
	ds_read_b128 v[70:73], v58 offset:4176
	s_waitcnt lgkmcnt(1)
	v_fmac_f64_e32 v[40:41], v[66:67], v[0:1]
	v_fmac_f64_e32 v[38:39], v[68:69], v[0:1]
	s_waitcnt lgkmcnt(0)
	v_fmac_f64_e32 v[36:37], v[66:67], v[70:71]
	v_fmac_f64_e32 v[34:35], v[68:69], v[70:71]
	ds_read2_b64 v[66:69], v62 offset0:96 offset1:112
	s_waitcnt lgkmcnt(0)
	v_fmac_f64_e32 v[40:41], v[66:67], v[2:3]
	v_fmac_f64_e32 v[38:39], v[68:69], v[2:3]
	v_fmac_f64_e32 v[36:37], v[66:67], v[72:73]
	v_fmac_f64_e32 v[34:35], v[68:69], v[72:73]
	ds_read_b128 v[0:3], v58 offset:96
	ds_read2_b64 v[66:69], v62 offset0:128 offset1:144
	ds_read_b128 v[70:73], v58 offset:4192
	s_waitcnt lgkmcnt(1)
	v_fmac_f64_e32 v[40:41], v[66:67], v[0:1]
	v_fmac_f64_e32 v[38:39], v[68:69], v[0:1]
	s_waitcnt lgkmcnt(0)
	v_fmac_f64_e32 v[36:37], v[66:67], v[70:71]
	v_fmac_f64_e32 v[34:35], v[68:69], v[70:71]
	ds_read2_b64 v[66:69], v62 offset0:160 offset1:176
	s_waitcnt lgkmcnt(0)
	v_fmac_f64_e32 v[40:41], v[66:67], v[2:3]
	v_fmac_f64_e32 v[38:39], v[68:69], v[2:3]
	v_fmac_f64_e32 v[36:37], v[66:67], v[72:73]
	v_fmac_f64_e32 v[34:35], v[68:69], v[72:73]
	ds_read_b128 v[0:3], v58 offset:112
	ds_read2_b64 v[66:69], v62 offset0:192 offset1:208
	ds_read_b128 v[70:73], v58 offset:4208
	s_waitcnt lgkmcnt(1)
	v_fmac_f64_e32 v[40:41], v[66:67], v[0:1]
	v_fmac_f64_e32 v[38:39], v[68:69], v[0:1]
	s_waitcnt lgkmcnt(0)
	v_fmac_f64_e32 v[36:37], v[66:67], v[70:71]
	v_fmac_f64_e32 v[34:35], v[68:69], v[70:71]
	ds_read2_b64 v[66:69], v62 offset0:224 offset1:240
	s_waitcnt lgkmcnt(0)
	v_fmac_f64_e32 v[40:41], v[66:67], v[2:3]
	v_fmac_f64_e32 v[38:39], v[68:69], v[2:3]
	v_fmac_f64_e32 v[36:37], v[66:67], v[72:73]
	v_fmac_f64_e32 v[34:35], v[68:69], v[72:73]
	ds_read_b128 v[0:3], v58 offset:128
	ds_read2_b64 v[66:69], v63 offset1:16
	ds_read_b128 v[70:73], v58 offset:4224
	s_waitcnt lgkmcnt(1)
	v_fmac_f64_e32 v[40:41], v[66:67], v[0:1]
	v_fmac_f64_e32 v[38:39], v[68:69], v[0:1]
	s_waitcnt lgkmcnt(0)
	v_fmac_f64_e32 v[36:37], v[66:67], v[70:71]
	v_fmac_f64_e32 v[34:35], v[68:69], v[70:71]
	ds_read2_b64 v[66:69], v63 offset0:32 offset1:48
	s_waitcnt lgkmcnt(0)
	v_fmac_f64_e32 v[40:41], v[66:67], v[2:3]
	v_fmac_f64_e32 v[38:39], v[68:69], v[2:3]
	v_fmac_f64_e32 v[36:37], v[66:67], v[72:73]
	v_fmac_f64_e32 v[34:35], v[68:69], v[72:73]
	ds_read_b128 v[0:3], v58 offset:144
	ds_read2_b64 v[66:69], v63 offset0:64 offset1:80
	ds_read_b128 v[70:73], v58 offset:4240
	s_waitcnt lgkmcnt(1)
	v_fmac_f64_e32 v[40:41], v[66:67], v[0:1]
	v_fmac_f64_e32 v[38:39], v[68:69], v[0:1]
	s_waitcnt lgkmcnt(0)
	v_fmac_f64_e32 v[36:37], v[66:67], v[70:71]
	v_fmac_f64_e32 v[34:35], v[68:69], v[70:71]
	ds_read2_b64 v[66:69], v63 offset0:96 offset1:112
	s_waitcnt lgkmcnt(0)
	v_fmac_f64_e32 v[40:41], v[66:67], v[2:3]
	v_fmac_f64_e32 v[38:39], v[68:69], v[2:3]
	v_fmac_f64_e32 v[36:37], v[66:67], v[72:73]
	v_fmac_f64_e32 v[34:35], v[68:69], v[72:73]
	ds_read_b128 v[0:3], v58 offset:160
	ds_read2_b64 v[66:69], v63 offset0:128 offset1:144
	ds_read_b128 v[70:73], v58 offset:4256
	s_waitcnt lgkmcnt(1)
	v_fmac_f64_e32 v[40:41], v[66:67], v[0:1]
	v_fmac_f64_e32 v[38:39], v[68:69], v[0:1]
	s_waitcnt lgkmcnt(0)
	v_fmac_f64_e32 v[36:37], v[66:67], v[70:71]
	v_fmac_f64_e32 v[34:35], v[68:69], v[70:71]
	ds_read2_b64 v[66:69], v63 offset0:160 offset1:176
	s_waitcnt lgkmcnt(0)
	v_fmac_f64_e32 v[40:41], v[66:67], v[2:3]
	v_fmac_f64_e32 v[38:39], v[68:69], v[2:3]
	v_fmac_f64_e32 v[36:37], v[66:67], v[72:73]
	v_fmac_f64_e32 v[34:35], v[68:69], v[72:73]
	ds_read_b128 v[0:3], v58 offset:176
	ds_read2_b64 v[66:69], v63 offset0:192 offset1:208
	ds_read_b128 v[70:73], v58 offset:4272
	s_waitcnt lgkmcnt(1)
	v_fmac_f64_e32 v[40:41], v[66:67], v[0:1]
	v_fmac_f64_e32 v[38:39], v[68:69], v[0:1]
	s_waitcnt lgkmcnt(0)
	v_fmac_f64_e32 v[36:37], v[66:67], v[70:71]
	v_fmac_f64_e32 v[34:35], v[68:69], v[70:71]
	ds_read2_b64 v[66:69], v63 offset0:224 offset1:240
	;; [unrolled: 60-line block ×3, first 2 shown]
	s_waitcnt lgkmcnt(0)
	s_barrier
	v_fmac_f64_e32 v[40:41], v[66:67], v[2:3]
	v_fmac_f64_e32 v[38:39], v[68:69], v[2:3]
	;; [unrolled: 1-line block ×4, first 2 shown]
	s_cbranch_scc1 .LBB50_43
.LBB50_7:                               ;   Parent Loop BB50_4 Depth=1
                                        ; =>  This Inner Loop Header: Depth=2
	v_lshl_add_u64 v[0:1], v[6:7], 0, s[46:47]
	v_cmp_eq_u64_e64 s[4:5], s[46:47], v[42:43]
	v_cmp_gt_i64_e64 s[12:13], v[0:1], v[32:33]
	s_and_b64 s[10:11], s[36:37], s[4:5]
	s_or_b64 s[4:5], s[6:7], s[12:13]
	v_cmp_le_i64_e64 s[14:15], s[26:27], v[0:1]
	s_or_b64 s[4:5], s[4:5], s[10:11]
	v_lshl_add_u64 v[2:3], v[46:47], 0, v[14:15]
	s_nor_b64 s[4:5], s[14:15], s[4:5]
                                        ; implicit-def: $vgpr56_vgpr57
	s_and_saveexec_b64 s[16:17], s[4:5]
	s_xor_b64 s[4:5], exec, s[16:17]
	s_cbranch_execz .LBB50_9
; %bb.8:                                ;   in Loop: Header=BB50_7 Depth=2
	global_load_dwordx2 v[56:57], v[2:3], off
.LBB50_9:                               ;   in Loop: Header=BB50_7 Depth=2
	s_andn2_saveexec_b64 s[4:5], s[4:5]
	s_cbranch_execz .LBB50_11
; %bb.10:                               ;   in Loop: Header=BB50_7 Depth=2
	v_cndmask_b32_e64 v9, 0, v29, s[10:11]
	s_waitcnt vmcnt(0)
	v_mov_b64_e32 v[56:57], v[8:9]
.LBB50_11:                              ;   in Loop: Header=BB50_7 Depth=2
	s_or_b64 exec, exec, s[4:5]
	s_waitcnt vmcnt(0)
	ds_write_b64 v59, v[56:57]
	v_lshl_add_u64 v[56:57], v[0:1], 0, 16
	v_cmp_eq_u64_e64 s[4:5], s[46:47], v[52:53]
	s_and_b64 s[18:19], s[36:37], s[4:5]
	v_cmp_gt_i64_e64 s[4:5], v[56:57], v[32:33]
	s_or_b64 s[4:5], s[6:7], s[4:5]
	v_cmp_le_i64_e64 s[16:17], s[26:27], v[56:57]
	s_or_b64 s[4:5], s[4:5], s[18:19]
	s_nor_b64 s[4:5], s[16:17], s[4:5]
	s_and_saveexec_b64 s[52:53], s[4:5]
	s_xor_b64 s[4:5], exec, s[52:53]
	s_cbranch_execz .LBB50_13
; %bb.12:                               ;   in Loop: Header=BB50_7 Depth=2
	global_load_dwordx2 v[2:3], v[2:3], off offset:128
	s_waitcnt vmcnt(0)
	ds_write_b64 v59, v[2:3] offset:128
.LBB50_13:                              ;   in Loop: Header=BB50_7 Depth=2
	s_andn2_saveexec_b64 s[4:5], s[4:5]
	s_cbranch_execz .LBB50_19
; %bb.14:                               ;   in Loop: Header=BB50_7 Depth=2
	s_xor_b64 s[18:19], s[18:19], -1
	s_and_saveexec_b64 s[52:53], s[18:19]
	s_xor_b64 s[18:19], exec, s[52:53]
; %bb.15:                               ;   in Loop: Header=BB50_7 Depth=2
	ds_write_b64 v59, v[30:31] offset:128
; %bb.16:                               ;   in Loop: Header=BB50_7 Depth=2
	s_andn2_saveexec_b64 s[18:19], s[18:19]
; %bb.17:                               ;   in Loop: Header=BB50_7 Depth=2
	ds_write_b64 v59, v[28:29] offset:128
; %bb.18:                               ;   in Loop: Header=BB50_7 Depth=2
	s_or_b64 exec, exec, s[18:19]
.LBB50_19:                              ;   in Loop: Header=BB50_7 Depth=2
	s_or_b64 exec, exec, s[4:5]
	v_cmp_eq_u64_e64 s[4:5], s[46:47], v[50:51]
	s_and_b64 s[18:19], s[36:37], s[4:5]
	v_cmp_gt_i64_e64 s[4:5], v[0:1], v[48:49]
	s_or_b64 s[4:5], s[8:9], s[4:5]
	s_or_b64 s[4:5], s[4:5], s[18:19]
	v_lshl_add_u64 v[2:3], v[44:45], 0, v[14:15]
	s_nor_b64 s[4:5], s[14:15], s[4:5]
                                        ; implicit-def: $vgpr0_vgpr1
	s_and_saveexec_b64 s[14:15], s[4:5]
	s_xor_b64 s[4:5], exec, s[14:15]
	s_cbranch_execz .LBB50_21
; %bb.20:                               ;   in Loop: Header=BB50_7 Depth=2
	global_load_dwordx2 v[0:1], v[2:3], off
.LBB50_21:                              ;   in Loop: Header=BB50_7 Depth=2
	s_andn2_saveexec_b64 s[4:5], s[4:5]
	s_cbranch_execz .LBB50_23
; %bb.22:                               ;   in Loop: Header=BB50_7 Depth=2
	v_cndmask_b32_e64 v9, 0, v29, s[18:19]
	s_waitcnt vmcnt(0)
	v_mov_b64_e32 v[0:1], v[8:9]
.LBB50_23:                              ;   in Loop: Header=BB50_7 Depth=2
	s_or_b64 exec, exec, s[4:5]
	s_or_b64 s[4:5], s[8:9], s[12:13]
	s_or_b64 s[4:5], s[4:5], s[10:11]
	s_nor_b64 s[4:5], s[16:17], s[4:5]
	s_waitcnt vmcnt(0)
	ds_write_b64 v59, v[0:1] offset:4096
	s_and_saveexec_b64 s[12:13], s[4:5]
	s_xor_b64 s[4:5], exec, s[12:13]
	s_cbranch_execz .LBB50_25
; %bb.24:                               ;   in Loop: Header=BB50_7 Depth=2
	global_load_dwordx2 v[0:1], v[2:3], off offset:128
	s_waitcnt vmcnt(0)
	ds_write_b64 v59, v[0:1] offset:4224
.LBB50_25:                              ;   in Loop: Header=BB50_7 Depth=2
	s_andn2_saveexec_b64 s[4:5], s[4:5]
	s_cbranch_execz .LBB50_31
; %bb.26:                               ;   in Loop: Header=BB50_7 Depth=2
	s_xor_b64 s[10:11], s[10:11], -1
	s_and_saveexec_b64 s[12:13], s[10:11]
	s_xor_b64 s[10:11], exec, s[12:13]
; %bb.27:                               ;   in Loop: Header=BB50_7 Depth=2
	ds_write_b64 v59, v[30:31] offset:4224
; %bb.28:                               ;   in Loop: Header=BB50_7 Depth=2
	s_andn2_saveexec_b64 s[10:11], s[10:11]
; %bb.29:                               ;   in Loop: Header=BB50_7 Depth=2
	ds_write_b64 v59, v[28:29] offset:4224
; %bb.30:                               ;   in Loop: Header=BB50_7 Depth=2
	s_or_b64 exec, exec, s[10:11]
.LBB50_31:                              ;   in Loop: Header=BB50_7 Depth=2
	s_or_b64 exec, exec, s[4:5]
	v_lshl_add_u64 v[0:1], v[4:5], 0, s[46:47]
	v_cmp_le_i64_e64 s[10:11], s[26:27], v[0:1]
	v_lshl_add_u64 v[2:3], v[54:55], 0, v[24:25]
	s_nor_b64 s[12:13], s[10:11], vcc
	v_mov_b64_e32 v[56:57], 0
	s_and_saveexec_b64 s[4:5], s[12:13]
	s_cbranch_execz .LBB50_33
; %bb.32:                               ;   in Loop: Header=BB50_7 Depth=2
	global_load_dwordx2 v[56:57], v[2:3], off offset:-128
.LBB50_33:                              ;   in Loop: Header=BB50_7 Depth=2
	s_or_b64 exec, exec, s[4:5]
	s_nor_b64 s[4:5], s[10:11], s[0:1]
	s_waitcnt vmcnt(0)
	ds_write_b64 v61, v[56:57]
	s_and_saveexec_b64 s[10:11], s[4:5]
	s_xor_b64 s[4:5], exec, s[10:11]
	s_cbranch_execz .LBB50_35
; %bb.34:                               ;   in Loop: Header=BB50_7 Depth=2
	global_load_dwordx2 v[2:3], v[2:3], off
	s_waitcnt vmcnt(0)
	ds_write_b64 v61, v[2:3] offset:128
.LBB50_35:                              ;   in Loop: Header=BB50_7 Depth=2
	s_andn2_saveexec_b64 s[4:5], s[4:5]
; %bb.36:                               ;   in Loop: Header=BB50_7 Depth=2
	ds_write_b64 v61, v[30:31] offset:128
; %bb.37:                               ;   in Loop: Header=BB50_7 Depth=2
	s_or_b64 exec, exec, s[4:5]
	v_cmp_le_i64_e64 s[10:11], s[48:49], v[0:1]
	v_lshl_add_u64 v[0:1], v[54:55], 0, v[26:27]
	s_nor_b64 s[12:13], s[10:11], vcc
	v_mov_b64_e32 v[2:3], 0
	s_and_saveexec_b64 s[4:5], s[12:13]
	s_cbranch_execz .LBB50_39
; %bb.38:                               ;   in Loop: Header=BB50_7 Depth=2
	global_load_dwordx2 v[2:3], v[0:1], off
.LBB50_39:                              ;   in Loop: Header=BB50_7 Depth=2
	s_or_b64 exec, exec, s[4:5]
	s_nor_b64 s[4:5], s[10:11], s[0:1]
	s_waitcnt vmcnt(0)
	ds_write_b64 v61, v[2:3] offset:4096
	s_and_saveexec_b64 s[10:11], s[4:5]
	s_xor_b64 s[4:5], exec, s[10:11]
	s_cbranch_execz .LBB50_41
; %bb.40:                               ;   in Loop: Header=BB50_7 Depth=2
	global_load_dwordx2 v[0:1], v[0:1], off offset:128
	s_waitcnt vmcnt(0)
	ds_write_b64 v61, v[0:1] offset:4224
.LBB50_41:                              ;   in Loop: Header=BB50_7 Depth=2
	s_andn2_saveexec_b64 s[4:5], s[4:5]
	s_cbranch_execz .LBB50_6
; %bb.42:                               ;   in Loop: Header=BB50_7 Depth=2
	ds_write_b64 v61, v[30:31] offset:4224
	s_branch .LBB50_6
.LBB50_43:                              ;   in Loop: Header=BB50_4 Depth=1
	v_mul_lo_u32 v2, s29, v32
	v_mul_lo_u32 v3, s28, v33
	v_mad_u64_u32 v[0:1], s[4:5], s28, v32, 0
	v_cmp_gt_i32_e64 s[6:7], s26, v32
	v_add3_u32 v1, v1, v3, v2
	v_lshl_add_u64 v[0:1], v[0:1], 3, s[30:31]
	s_and_b64 s[8:9], s[20:21], s[6:7]
	s_and_saveexec_b64 s[4:5], s[8:9]
	s_cbranch_execz .LBB50_45
; %bb.44:                               ;   in Loop: Header=BB50_4 Depth=1
	v_lshl_add_u64 v[2:3], v[10:11], 3, v[0:1]
	global_load_dwordx2 v[42:43], v[2:3], off
	s_waitcnt vmcnt(0)
	v_fmac_f64_e32 v[42:43], s[34:35], v[40:41]
	global_store_dwordx2 v[2:3], v[42:43], off
.LBB50_45:                              ;   in Loop: Header=BB50_4 Depth=1
	s_or_b64 exec, exec, s[4:5]
	s_and_b64 s[6:7], s[22:23], s[6:7]
	s_and_saveexec_b64 s[4:5], s[6:7]
	s_cbranch_execz .LBB50_47
; %bb.46:                               ;   in Loop: Header=BB50_4 Depth=1
	v_lshl_add_u64 v[0:1], v[16:17], 3, v[0:1]
	global_load_dwordx2 v[2:3], v[0:1], off
	s_waitcnt vmcnt(0)
	v_fmac_f64_e32 v[2:3], s[34:35], v[38:39]
	global_store_dwordx2 v[0:1], v[2:3], off
.LBB50_47:                              ;   in Loop: Header=BB50_4 Depth=1
	s_or_b64 exec, exec, s[4:5]
	v_add_u32_e32 v0, 16, v32
	v_ashrrev_i32_e32 v1, 31, v0
	v_cmp_gt_i32_e64 s[6:7], s26, v0
	v_mul_lo_u32 v2, s28, v1
	v_mul_lo_u32 v3, s29, v0
	v_mad_u64_u32 v[0:1], s[4:5], s28, v0, 0
	v_add3_u32 v1, v1, v2, v3
	v_lshl_add_u64 v[0:1], v[0:1], 3, s[30:31]
	s_and_b64 s[8:9], s[20:21], s[6:7]
	s_and_saveexec_b64 s[4:5], s[8:9]
	s_cbranch_execz .LBB50_49
; %bb.48:                               ;   in Loop: Header=BB50_4 Depth=1
	v_lshl_add_u64 v[2:3], v[10:11], 3, v[0:1]
	global_load_dwordx2 v[32:33], v[2:3], off
	s_waitcnt vmcnt(0)
	v_fmac_f64_e32 v[32:33], s[34:35], v[36:37]
	global_store_dwordx2 v[2:3], v[32:33], off
.LBB50_49:                              ;   in Loop: Header=BB50_4 Depth=1
	s_or_b64 exec, exec, s[4:5]
	s_and_b64 s[6:7], s[22:23], s[6:7]
	s_and_saveexec_b64 s[4:5], s[6:7]
	s_cbranch_execz .LBB50_3
; %bb.50:                               ;   in Loop: Header=BB50_4 Depth=1
	v_lshl_add_u64 v[0:1], v[16:17], 3, v[0:1]
	global_load_dwordx2 v[2:3], v[0:1], off
	s_waitcnt vmcnt(0)
	v_fmac_f64_e32 v[2:3], s[34:35], v[34:35]
	global_store_dwordx2 v[0:1], v[2:3], off
	s_branch .LBB50_3
.LBB50_51:
	s_endpgm
	.section	.rodata,"a",@progbits
	.p2align	6, 0x0
	.amdhsa_kernel _ZL30rocblas_trmm_outofplace_kernelIdLi32ELi2ELb0ELb1ELb0ELb0EPKdS0_dEv17rocblas_diagonal_iiT6_lPT7_lllS5_lllPT8_llli
		.amdhsa_group_segment_fixed_size 16384
		.amdhsa_private_segment_fixed_size 0
		.amdhsa_kernarg_size 392
		.amdhsa_user_sgpr_count 2
		.amdhsa_user_sgpr_dispatch_ptr 0
		.amdhsa_user_sgpr_queue_ptr 0
		.amdhsa_user_sgpr_kernarg_segment_ptr 1
		.amdhsa_user_sgpr_dispatch_id 0
		.amdhsa_user_sgpr_kernarg_preload_length 0
		.amdhsa_user_sgpr_kernarg_preload_offset 0
		.amdhsa_user_sgpr_private_segment_size 0
		.amdhsa_uses_dynamic_stack 0
		.amdhsa_enable_private_segment 0
		.amdhsa_system_sgpr_workgroup_id_x 1
		.amdhsa_system_sgpr_workgroup_id_y 1
		.amdhsa_system_sgpr_workgroup_id_z 1
		.amdhsa_system_sgpr_workgroup_info 0
		.amdhsa_system_vgpr_workitem_id 1
		.amdhsa_next_free_vgpr 86
		.amdhsa_next_free_sgpr 54
		.amdhsa_accum_offset 88
		.amdhsa_reserve_vcc 1
		.amdhsa_float_round_mode_32 0
		.amdhsa_float_round_mode_16_64 0
		.amdhsa_float_denorm_mode_32 3
		.amdhsa_float_denorm_mode_16_64 3
		.amdhsa_dx10_clamp 1
		.amdhsa_ieee_mode 1
		.amdhsa_fp16_overflow 0
		.amdhsa_tg_split 0
		.amdhsa_exception_fp_ieee_invalid_op 0
		.amdhsa_exception_fp_denorm_src 0
		.amdhsa_exception_fp_ieee_div_zero 0
		.amdhsa_exception_fp_ieee_overflow 0
		.amdhsa_exception_fp_ieee_underflow 0
		.amdhsa_exception_fp_ieee_inexact 0
		.amdhsa_exception_int_div_zero 0
	.end_amdhsa_kernel
	.section	.text._ZL30rocblas_trmm_outofplace_kernelIdLi32ELi2ELb0ELb1ELb0ELb0EPKdS0_dEv17rocblas_diagonal_iiT6_lPT7_lllS5_lllPT8_llli,"axG",@progbits,_ZL30rocblas_trmm_outofplace_kernelIdLi32ELi2ELb0ELb1ELb0ELb0EPKdS0_dEv17rocblas_diagonal_iiT6_lPT7_lllS5_lllPT8_llli,comdat
.Lfunc_end50:
	.size	_ZL30rocblas_trmm_outofplace_kernelIdLi32ELi2ELb0ELb1ELb0ELb0EPKdS0_dEv17rocblas_diagonal_iiT6_lPT7_lllS5_lllPT8_llli, .Lfunc_end50-_ZL30rocblas_trmm_outofplace_kernelIdLi32ELi2ELb0ELb1ELb0ELb0EPKdS0_dEv17rocblas_diagonal_iiT6_lPT7_lllS5_lllPT8_llli
                                        ; -- End function
	.set _ZL30rocblas_trmm_outofplace_kernelIdLi32ELi2ELb0ELb1ELb0ELb0EPKdS0_dEv17rocblas_diagonal_iiT6_lPT7_lllS5_lllPT8_llli.num_vgpr, 86
	.set _ZL30rocblas_trmm_outofplace_kernelIdLi32ELi2ELb0ELb1ELb0ELb0EPKdS0_dEv17rocblas_diagonal_iiT6_lPT7_lllS5_lllPT8_llli.num_agpr, 0
	.set _ZL30rocblas_trmm_outofplace_kernelIdLi32ELi2ELb0ELb1ELb0ELb0EPKdS0_dEv17rocblas_diagonal_iiT6_lPT7_lllS5_lllPT8_llli.numbered_sgpr, 54
	.set _ZL30rocblas_trmm_outofplace_kernelIdLi32ELi2ELb0ELb1ELb0ELb0EPKdS0_dEv17rocblas_diagonal_iiT6_lPT7_lllS5_lllPT8_llli.num_named_barrier, 0
	.set _ZL30rocblas_trmm_outofplace_kernelIdLi32ELi2ELb0ELb1ELb0ELb0EPKdS0_dEv17rocblas_diagonal_iiT6_lPT7_lllS5_lllPT8_llli.private_seg_size, 0
	.set _ZL30rocblas_trmm_outofplace_kernelIdLi32ELi2ELb0ELb1ELb0ELb0EPKdS0_dEv17rocblas_diagonal_iiT6_lPT7_lllS5_lllPT8_llli.uses_vcc, 1
	.set _ZL30rocblas_trmm_outofplace_kernelIdLi32ELi2ELb0ELb1ELb0ELb0EPKdS0_dEv17rocblas_diagonal_iiT6_lPT7_lllS5_lllPT8_llli.uses_flat_scratch, 0
	.set _ZL30rocblas_trmm_outofplace_kernelIdLi32ELi2ELb0ELb1ELb0ELb0EPKdS0_dEv17rocblas_diagonal_iiT6_lPT7_lllS5_lllPT8_llli.has_dyn_sized_stack, 0
	.set _ZL30rocblas_trmm_outofplace_kernelIdLi32ELi2ELb0ELb1ELb0ELb0EPKdS0_dEv17rocblas_diagonal_iiT6_lPT7_lllS5_lllPT8_llli.has_recursion, 0
	.set _ZL30rocblas_trmm_outofplace_kernelIdLi32ELi2ELb0ELb1ELb0ELb0EPKdS0_dEv17rocblas_diagonal_iiT6_lPT7_lllS5_lllPT8_llli.has_indirect_call, 0
	.section	.AMDGPU.csdata,"",@progbits
; Kernel info:
; codeLenInByte = 3036
; TotalNumSgprs: 60
; NumVgprs: 86
; NumAgprs: 0
; TotalNumVgprs: 86
; ScratchSize: 0
; MemoryBound: 0
; FloatMode: 240
; IeeeMode: 1
; LDSByteSize: 16384 bytes/workgroup (compile time only)
; SGPRBlocks: 7
; VGPRBlocks: 10
; NumSGPRsForWavesPerEU: 60
; NumVGPRsForWavesPerEU: 86
; AccumOffset: 88
; Occupancy: 5
; WaveLimiterHint : 0
; COMPUTE_PGM_RSRC2:SCRATCH_EN: 0
; COMPUTE_PGM_RSRC2:USER_SGPR: 2
; COMPUTE_PGM_RSRC2:TRAP_HANDLER: 0
; COMPUTE_PGM_RSRC2:TGID_X_EN: 1
; COMPUTE_PGM_RSRC2:TGID_Y_EN: 1
; COMPUTE_PGM_RSRC2:TGID_Z_EN: 1
; COMPUTE_PGM_RSRC2:TIDIG_COMP_CNT: 1
; COMPUTE_PGM_RSRC3_GFX90A:ACCUM_OFFSET: 21
; COMPUTE_PGM_RSRC3_GFX90A:TG_SPLIT: 0
	.section	.text._ZL30rocblas_trmm_outofplace_kernelIdLi32ELi2ELb0ELb1ELb0ELb0EdKddEv17rocblas_diagonal_iiT6_lPT7_lllS4_lllPT8_llli,"axG",@progbits,_ZL30rocblas_trmm_outofplace_kernelIdLi32ELi2ELb0ELb1ELb0ELb0EdKddEv17rocblas_diagonal_iiT6_lPT7_lllS4_lllPT8_llli,comdat
	.globl	_ZL30rocblas_trmm_outofplace_kernelIdLi32ELi2ELb0ELb1ELb0ELb0EdKddEv17rocblas_diagonal_iiT6_lPT7_lllS4_lllPT8_llli ; -- Begin function _ZL30rocblas_trmm_outofplace_kernelIdLi32ELi2ELb0ELb1ELb0ELb0EdKddEv17rocblas_diagonal_iiT6_lPT7_lllS4_lllPT8_llli
	.p2align	8
	.type	_ZL30rocblas_trmm_outofplace_kernelIdLi32ELi2ELb0ELb1ELb0ELb0EdKddEv17rocblas_diagonal_iiT6_lPT7_lllS4_lllPT8_llli,@function
_ZL30rocblas_trmm_outofplace_kernelIdLi32ELi2ELb0ELb1ELb0ELb0EdKddEv17rocblas_diagonal_iiT6_lPT7_lllS4_lllPT8_llli: ; @_ZL30rocblas_trmm_outofplace_kernelIdLi32ELi2ELb0ELb1ELb0ELb0EdKddEv17rocblas_diagonal_iiT6_lPT7_lllS4_lllPT8_llli
; %bb.0:
	s_load_dwordx2 s[34:35], s[0:1], 0x10
	s_waitcnt lgkmcnt(0)
	v_cmp_eq_f64_e64 s[6:7], s[34:35], 0
	s_and_b64 vcc, exec, s[6:7]
	s_cbranch_vccnz .LBB51_51
; %bb.1:
	s_load_dwordx4 s[28:31], s[0:1], 0x0
	s_waitcnt lgkmcnt(0)
	s_add_i32 s5, s30, -1
	s_ashr_i32 s6, s5, 31
	s_lshr_b32 s6, s6, 27
	s_add_i32 s5, s5, s6
	s_ashr_i32 s33, s5, 5
	s_cmp_gt_i32 s3, s33
	s_cbranch_scc1 .LBB51_51
; %bb.2:
	s_load_dwordx16 s[36:51], s[0:1], 0x20
	s_load_dwordx8 s[20:27], s[0:1], 0x60
	v_and_b32_e32 v6, 0x3ff, v0
	v_lshl_add_u32 v10, s2, 5, v6
	v_ashrrev_i32_e32 v11, 31, v10
	s_waitcnt lgkmcnt(0)
	s_mul_i32 s5, s51, s4
	s_mul_hi_u32 s7, s50, s4
	s_mul_i32 s6, s50, s4
	s_add_i32 s7, s7, s5
	s_lshl_b64 s[6:7], s[6:7], 3
	s_add_u32 s5, s44, s6
	s_addc_u32 s8, s45, s7
	s_lshl_b64 s[6:7], s[46:47], 3
	s_add_u32 s6, s5, s6
	s_addc_u32 s7, s8, s7
	s_mul_i32 s5, s27, s4
	s_mul_hi_u32 s8, s26, s4
	s_add_i32 s9, s8, s5
	s_mul_i32 s8, s26, s4
	s_lshl_b64 s[8:9], s[8:9], 3
	s_add_u32 s5, s20, s8
	s_addc_u32 s10, s21, s9
	s_lshl_b64 s[8:9], s[22:23], 3
	s_add_u32 s26, s5, s8
	s_addc_u32 s27, s10, s9
	s_cmpk_eq_i32 s28, 0x84
	s_cselect_b64 s[44:45], -1, 0
	s_ashr_i32 s2, s29, 31
	v_mov_b32_e32 v1, s2
	s_load_dword s2, s[0:1], 0x8c
	v_lshl_add_u64 v[12:13], v[10:11], 3, s[6:7]
	v_sub_co_u32_e64 v18, s[6:7], 0, v6
	s_ashr_i32 s31, s30, 31
	s_lshl_b64 s[46:47], s[48:49], 8
	v_subb_co_u32_e64 v19, s[6:7], 0, 0, s[6:7]
	s_add_u32 s50, s30, -16
	s_mul_i32 s5, s43, s4
	s_mul_hi_u32 s6, s42, s4
	s_addc_u32 s51, s31, -1
	s_add_i32 s5, s6, s5
	s_mul_i32 s4, s42, s4
	s_waitcnt lgkmcnt(0)
	s_lshl_b32 s52, s2, 5
	s_lshl_b64 s[4:5], s[4:5], 3
	s_lshl_b64 s[6:7], s[38:39], 3
	s_add_u32 s4, s4, s6
	v_bfe_u32 v4, v0, 10, 10
	v_sub_co_u32_e32 v0, vcc, s29, v10
	s_addc_u32 s5, s5, s7
	s_nop 0
	v_subb_co_u32_e32 v1, vcc, v1, v11, vcc
	v_add_u32_e32 v16, 16, v10
	s_add_u32 s28, s36, s4
	v_cmp_gt_i64_e32 vcc, 1, v[0:1]
	v_cmp_gt_i64_e64 s[0:1], 17, v[0:1]
	v_cmp_gt_i32_e64 s[20:21], s29, v10
	v_cmp_gt_i32_e64 s[22:23], s29, v16
	s_addc_u32 s29, s37, s5
	v_mad_u64_u32 v[0:1], s[4:5], s48, v4, 0
	v_mov_b32_e32 v2, v1
	v_mad_u64_u32 v[2:3], s[4:5], s49, v4, v[2:3]
	v_mov_b32_e32 v1, v2
	v_mov_b64_e32 v[22:23], 0x80
	v_lshl_add_u64 v[24:25], v[0:1], 3, v[22:23]
	v_mov_b32_e32 v0, 0x80
	v_lshl_add_u32 v1, v4, 3, v0
	v_mad_u64_u32 v[26:27], s[4:5], s48, v1, 0
	v_lshlrev_b32_e32 v14, 3, v6
	v_mov_b32_e32 v0, v27
	v_mov_b32_e32 v8, 0
	v_lshlrev_b32_e32 v58, 8, v4
	v_or_b32_e32 v60, 0x2000, v14
	v_mad_u64_u32 v[0:1], s[4:5], s49, v1, v[0:1]
	v_mov_b32_e32 v7, v8
	v_mov_b32_e32 v5, v8
	v_add_u32_e32 v59, v58, v14
	v_add_u32_e32 v61, v60, v58
	v_ashrrev_i32_e32 v17, 31, v16
	v_lshl_add_u32 v20, s3, 5, v4
	v_mov_b32_e32 v15, v8
	s_lshl_b64 s[36:37], s[40:41], 3
	v_mov_b32_e32 v27, v0
	s_mov_b64 s[38:39], 0x100
	v_mov_b32_e32 v29, 0x3ff00000
	v_mov_b32_e32 v30, 0
	;; [unrolled: 1-line block ×4, first 2 shown]
	v_add_u32_e32 v62, 0x800, v60
	v_add_u32_e32 v63, 0x1000, v60
	;; [unrolled: 1-line block ×3, first 2 shown]
	s_branch .LBB51_4
.LBB51_3:                               ;   in Loop: Header=BB51_4 Depth=1
	s_or_b64 exec, exec, s[4:5]
	s_add_i32 s3, s2, s3
	s_cmp_le_i32 s3, s33
	v_add_u32_e32 v20, s52, v20
	s_cbranch_scc0 .LBB51_51
.LBB51_4:                               ; =>This Loop Header: Depth=1
                                        ;     Child Loop BB51_7 Depth 2
	s_lshl_b32 s48, s3, 5
	v_add_u32_e32 v32, s48, v4
	v_ashrrev_i32_e32 v33, 31, v32
	v_mov_b64_e32 v[40:41], 0
	s_cmp_lt_i32 s3, 0
	v_mov_b64_e32 v[38:39], 0
	v_mov_b64_e32 v[36:37], 0
	;; [unrolled: 1-line block ×3, first 2 shown]
	s_cbranch_scc1 .LBB51_43
; %bb.5:                                ;   in Loop: Header=BB51_4 Depth=1
	v_ashrrev_i32_e32 v21, 31, v20
	v_lshl_add_u64 v[0:1], v[20:21], 3, v[22:23]
	v_mov_b64_e32 v[2:3], s[28:29]
	v_mul_lo_u32 v1, s40, v1
	v_mul_lo_u32 v9, s41, v0
	v_mad_u64_u32 v[44:45], s[4:5], s40, v0, v[2:3]
	v_lshl_add_u64 v[42:43], v[18:19], 0, v[20:21]
	v_add3_u32 v45, v9, v45, v1
	v_mad_u64_u32 v[46:47], s[4:5], s36, v20, v[2:3]
	v_mul_lo_u32 v0, s37, v20
	v_mul_lo_u32 v1, s36, v21
	v_lshl_add_u64 v[48:49], v[32:33], 0, 16
	v_add3_u32 v47, v0, v47, v1
	v_cmp_le_i32_e64 s[6:7], s30, v32
	v_cmp_le_i64_e64 s[8:9], s[30:31], v[48:49]
	v_lshl_add_u64 v[50:51], v[42:43], 0, 16
	v_lshl_add_u64 v[52:53], v[42:43], 0, -16
	v_mov_b64_e32 v[34:35], 0
	s_mov_b64 s[42:43], 0
	v_mov_b64_e32 v[54:55], v[12:13]
	v_mov_b64_e32 v[36:37], 0
	;; [unrolled: 1-line block ×4, first 2 shown]
	s_branch .LBB51_7
.LBB51_6:                               ;   in Loop: Header=BB51_7 Depth=2
	s_or_b64 exec, exec, s[4:5]
	s_waitcnt lgkmcnt(0)
	s_barrier
	ds_read_b128 v[66:69], v58
	ds_read_b128 v[70:73], v58 offset:16
	ds_read_b128 v[74:77], v58 offset:32
	;; [unrolled: 1-line block ×3, first 2 shown]
	ds_read2_b64 v[78:81], v60 offset1:16
	ds_read_b128 v[82:85], v58 offset:4096
	s_add_u32 s42, s42, 32
	s_addc_u32 s43, s43, 0
	s_sub_i32 s4, s42, 32
	s_waitcnt lgkmcnt(1)
	v_fmac_f64_e32 v[40:41], v[78:79], v[66:67]
	v_fmac_f64_e32 v[38:39], v[80:81], v[66:67]
	s_waitcnt lgkmcnt(0)
	v_fmac_f64_e32 v[36:37], v[78:79], v[82:83]
	v_fmac_f64_e32 v[34:35], v[80:81], v[82:83]
	ds_read2_b64 v[78:81], v60 offset0:32 offset1:48
	v_lshl_add_u64 v[44:45], v[44:45], 0, s[38:39]
	v_lshl_add_u64 v[54:55], v[54:55], 0, s[46:47]
	;; [unrolled: 1-line block ×3, first 2 shown]
	s_cmp_ge_i32 s4, s48
	s_waitcnt lgkmcnt(0)
	v_fmac_f64_e32 v[40:41], v[78:79], v[68:69]
	v_fmac_f64_e32 v[38:39], v[80:81], v[68:69]
	v_fmac_f64_e32 v[36:37], v[78:79], v[84:85]
	v_fmac_f64_e32 v[34:35], v[80:81], v[84:85]
	ds_read2_b64 v[66:69], v60 offset0:64 offset1:80
	ds_read_b128 v[78:81], v58 offset:4112
	s_waitcnt lgkmcnt(1)
	v_fmac_f64_e32 v[40:41], v[66:67], v[70:71]
	v_fmac_f64_e32 v[38:39], v[68:69], v[70:71]
	s_waitcnt lgkmcnt(0)
	v_fmac_f64_e32 v[36:37], v[66:67], v[78:79]
	v_fmac_f64_e32 v[34:35], v[68:69], v[78:79]
	ds_read2_b64 v[66:69], v60 offset0:96 offset1:112
	s_waitcnt lgkmcnt(0)
	v_fmac_f64_e32 v[40:41], v[66:67], v[72:73]
	v_fmac_f64_e32 v[38:39], v[68:69], v[72:73]
	v_fmac_f64_e32 v[36:37], v[66:67], v[80:81]
	v_fmac_f64_e32 v[34:35], v[68:69], v[80:81]
	ds_read2_b64 v[66:69], v60 offset0:128 offset1:144
	ds_read_b128 v[70:73], v58 offset:4128
	s_waitcnt lgkmcnt(1)
	v_fmac_f64_e32 v[40:41], v[66:67], v[74:75]
	v_fmac_f64_e32 v[38:39], v[68:69], v[74:75]
	s_waitcnt lgkmcnt(0)
	v_fmac_f64_e32 v[36:37], v[66:67], v[70:71]
	v_fmac_f64_e32 v[34:35], v[68:69], v[70:71]
	ds_read2_b64 v[66:69], v60 offset0:160 offset1:176
	;; [unrolled: 14-line block ×3, first 2 shown]
	s_waitcnt lgkmcnt(0)
	v_fmac_f64_e32 v[40:41], v[66:67], v[2:3]
	v_fmac_f64_e32 v[38:39], v[68:69], v[2:3]
	v_fmac_f64_e32 v[36:37], v[66:67], v[72:73]
	v_fmac_f64_e32 v[34:35], v[68:69], v[72:73]
	ds_read_b128 v[0:3], v58 offset:64
	ds_read2_b64 v[66:69], v62 offset1:16
	ds_read_b128 v[70:73], v58 offset:4160
	s_waitcnt lgkmcnt(1)
	v_fmac_f64_e32 v[40:41], v[66:67], v[0:1]
	v_fmac_f64_e32 v[38:39], v[68:69], v[0:1]
	s_waitcnt lgkmcnt(0)
	v_fmac_f64_e32 v[36:37], v[66:67], v[70:71]
	v_fmac_f64_e32 v[34:35], v[68:69], v[70:71]
	ds_read2_b64 v[66:69], v62 offset0:32 offset1:48
	s_waitcnt lgkmcnt(0)
	v_fmac_f64_e32 v[40:41], v[66:67], v[2:3]
	v_fmac_f64_e32 v[38:39], v[68:69], v[2:3]
	v_fmac_f64_e32 v[36:37], v[66:67], v[72:73]
	v_fmac_f64_e32 v[34:35], v[68:69], v[72:73]
	ds_read_b128 v[0:3], v58 offset:80
	ds_read2_b64 v[66:69], v62 offset0:64 offset1:80
	ds_read_b128 v[70:73], v58 offset:4176
	s_waitcnt lgkmcnt(1)
	v_fmac_f64_e32 v[40:41], v[66:67], v[0:1]
	v_fmac_f64_e32 v[38:39], v[68:69], v[0:1]
	s_waitcnt lgkmcnt(0)
	v_fmac_f64_e32 v[36:37], v[66:67], v[70:71]
	v_fmac_f64_e32 v[34:35], v[68:69], v[70:71]
	ds_read2_b64 v[66:69], v62 offset0:96 offset1:112
	s_waitcnt lgkmcnt(0)
	v_fmac_f64_e32 v[40:41], v[66:67], v[2:3]
	v_fmac_f64_e32 v[38:39], v[68:69], v[2:3]
	v_fmac_f64_e32 v[36:37], v[66:67], v[72:73]
	v_fmac_f64_e32 v[34:35], v[68:69], v[72:73]
	ds_read_b128 v[0:3], v58 offset:96
	ds_read2_b64 v[66:69], v62 offset0:128 offset1:144
	ds_read_b128 v[70:73], v58 offset:4192
	s_waitcnt lgkmcnt(1)
	v_fmac_f64_e32 v[40:41], v[66:67], v[0:1]
	v_fmac_f64_e32 v[38:39], v[68:69], v[0:1]
	s_waitcnt lgkmcnt(0)
	v_fmac_f64_e32 v[36:37], v[66:67], v[70:71]
	v_fmac_f64_e32 v[34:35], v[68:69], v[70:71]
	ds_read2_b64 v[66:69], v62 offset0:160 offset1:176
	s_waitcnt lgkmcnt(0)
	v_fmac_f64_e32 v[40:41], v[66:67], v[2:3]
	v_fmac_f64_e32 v[38:39], v[68:69], v[2:3]
	v_fmac_f64_e32 v[36:37], v[66:67], v[72:73]
	v_fmac_f64_e32 v[34:35], v[68:69], v[72:73]
	ds_read_b128 v[0:3], v58 offset:112
	ds_read2_b64 v[66:69], v62 offset0:192 offset1:208
	ds_read_b128 v[70:73], v58 offset:4208
	s_waitcnt lgkmcnt(1)
	v_fmac_f64_e32 v[40:41], v[66:67], v[0:1]
	v_fmac_f64_e32 v[38:39], v[68:69], v[0:1]
	s_waitcnt lgkmcnt(0)
	v_fmac_f64_e32 v[36:37], v[66:67], v[70:71]
	v_fmac_f64_e32 v[34:35], v[68:69], v[70:71]
	ds_read2_b64 v[66:69], v62 offset0:224 offset1:240
	s_waitcnt lgkmcnt(0)
	v_fmac_f64_e32 v[40:41], v[66:67], v[2:3]
	v_fmac_f64_e32 v[38:39], v[68:69], v[2:3]
	v_fmac_f64_e32 v[36:37], v[66:67], v[72:73]
	v_fmac_f64_e32 v[34:35], v[68:69], v[72:73]
	ds_read_b128 v[0:3], v58 offset:128
	ds_read2_b64 v[66:69], v63 offset1:16
	ds_read_b128 v[70:73], v58 offset:4224
	s_waitcnt lgkmcnt(1)
	v_fmac_f64_e32 v[40:41], v[66:67], v[0:1]
	v_fmac_f64_e32 v[38:39], v[68:69], v[0:1]
	s_waitcnt lgkmcnt(0)
	v_fmac_f64_e32 v[36:37], v[66:67], v[70:71]
	v_fmac_f64_e32 v[34:35], v[68:69], v[70:71]
	ds_read2_b64 v[66:69], v63 offset0:32 offset1:48
	s_waitcnt lgkmcnt(0)
	v_fmac_f64_e32 v[40:41], v[66:67], v[2:3]
	v_fmac_f64_e32 v[38:39], v[68:69], v[2:3]
	v_fmac_f64_e32 v[36:37], v[66:67], v[72:73]
	v_fmac_f64_e32 v[34:35], v[68:69], v[72:73]
	ds_read_b128 v[0:3], v58 offset:144
	ds_read2_b64 v[66:69], v63 offset0:64 offset1:80
	ds_read_b128 v[70:73], v58 offset:4240
	s_waitcnt lgkmcnt(1)
	v_fmac_f64_e32 v[40:41], v[66:67], v[0:1]
	v_fmac_f64_e32 v[38:39], v[68:69], v[0:1]
	s_waitcnt lgkmcnt(0)
	v_fmac_f64_e32 v[36:37], v[66:67], v[70:71]
	v_fmac_f64_e32 v[34:35], v[68:69], v[70:71]
	ds_read2_b64 v[66:69], v63 offset0:96 offset1:112
	s_waitcnt lgkmcnt(0)
	v_fmac_f64_e32 v[40:41], v[66:67], v[2:3]
	v_fmac_f64_e32 v[38:39], v[68:69], v[2:3]
	v_fmac_f64_e32 v[36:37], v[66:67], v[72:73]
	v_fmac_f64_e32 v[34:35], v[68:69], v[72:73]
	ds_read_b128 v[0:3], v58 offset:160
	ds_read2_b64 v[66:69], v63 offset0:128 offset1:144
	ds_read_b128 v[70:73], v58 offset:4256
	s_waitcnt lgkmcnt(1)
	v_fmac_f64_e32 v[40:41], v[66:67], v[0:1]
	v_fmac_f64_e32 v[38:39], v[68:69], v[0:1]
	s_waitcnt lgkmcnt(0)
	v_fmac_f64_e32 v[36:37], v[66:67], v[70:71]
	v_fmac_f64_e32 v[34:35], v[68:69], v[70:71]
	ds_read2_b64 v[66:69], v63 offset0:160 offset1:176
	s_waitcnt lgkmcnt(0)
	v_fmac_f64_e32 v[40:41], v[66:67], v[2:3]
	v_fmac_f64_e32 v[38:39], v[68:69], v[2:3]
	v_fmac_f64_e32 v[36:37], v[66:67], v[72:73]
	v_fmac_f64_e32 v[34:35], v[68:69], v[72:73]
	ds_read_b128 v[0:3], v58 offset:176
	ds_read2_b64 v[66:69], v63 offset0:192 offset1:208
	ds_read_b128 v[70:73], v58 offset:4272
	s_waitcnt lgkmcnt(1)
	v_fmac_f64_e32 v[40:41], v[66:67], v[0:1]
	v_fmac_f64_e32 v[38:39], v[68:69], v[0:1]
	s_waitcnt lgkmcnt(0)
	v_fmac_f64_e32 v[36:37], v[66:67], v[70:71]
	v_fmac_f64_e32 v[34:35], v[68:69], v[70:71]
	ds_read2_b64 v[66:69], v63 offset0:224 offset1:240
	;; [unrolled: 60-line block ×3, first 2 shown]
	s_waitcnt lgkmcnt(0)
	s_barrier
	v_fmac_f64_e32 v[40:41], v[66:67], v[2:3]
	v_fmac_f64_e32 v[38:39], v[68:69], v[2:3]
	;; [unrolled: 1-line block ×4, first 2 shown]
	s_cbranch_scc1 .LBB51_43
.LBB51_7:                               ;   Parent Loop BB51_4 Depth=1
                                        ; =>  This Inner Loop Header: Depth=2
	v_lshl_add_u64 v[0:1], v[6:7], 0, s[42:43]
	v_cmp_eq_u64_e64 s[4:5], s[42:43], v[42:43]
	v_cmp_gt_i64_e64 s[12:13], v[0:1], v[32:33]
	s_and_b64 s[10:11], s[44:45], s[4:5]
	s_or_b64 s[4:5], s[6:7], s[12:13]
	v_cmp_le_i64_e64 s[14:15], s[30:31], v[0:1]
	s_or_b64 s[4:5], s[4:5], s[10:11]
	v_lshl_add_u64 v[2:3], v[46:47], 0, v[14:15]
	s_nor_b64 s[4:5], s[14:15], s[4:5]
                                        ; implicit-def: $vgpr56_vgpr57
	s_and_saveexec_b64 s[16:17], s[4:5]
	s_xor_b64 s[4:5], exec, s[16:17]
	s_cbranch_execz .LBB51_9
; %bb.8:                                ;   in Loop: Header=BB51_7 Depth=2
	global_load_dwordx2 v[56:57], v[2:3], off
.LBB51_9:                               ;   in Loop: Header=BB51_7 Depth=2
	s_andn2_saveexec_b64 s[4:5], s[4:5]
	s_cbranch_execz .LBB51_11
; %bb.10:                               ;   in Loop: Header=BB51_7 Depth=2
	v_cndmask_b32_e64 v9, 0, v29, s[10:11]
	s_waitcnt vmcnt(0)
	v_mov_b64_e32 v[56:57], v[8:9]
.LBB51_11:                              ;   in Loop: Header=BB51_7 Depth=2
	s_or_b64 exec, exec, s[4:5]
	s_waitcnt vmcnt(0)
	ds_write_b64 v59, v[56:57]
	v_lshl_add_u64 v[56:57], v[0:1], 0, 16
	v_cmp_eq_u64_e64 s[4:5], s[42:43], v[52:53]
	s_and_b64 s[18:19], s[44:45], s[4:5]
	v_cmp_gt_i64_e64 s[4:5], v[56:57], v[32:33]
	s_or_b64 s[4:5], s[6:7], s[4:5]
	v_cmp_le_i64_e64 s[16:17], s[30:31], v[56:57]
	s_or_b64 s[4:5], s[4:5], s[18:19]
	s_nor_b64 s[4:5], s[16:17], s[4:5]
	s_and_saveexec_b64 s[54:55], s[4:5]
	s_xor_b64 s[4:5], exec, s[54:55]
	s_cbranch_execz .LBB51_13
; %bb.12:                               ;   in Loop: Header=BB51_7 Depth=2
	global_load_dwordx2 v[2:3], v[2:3], off offset:128
	s_waitcnt vmcnt(0)
	ds_write_b64 v59, v[2:3] offset:128
.LBB51_13:                              ;   in Loop: Header=BB51_7 Depth=2
	s_andn2_saveexec_b64 s[4:5], s[4:5]
	s_cbranch_execz .LBB51_19
; %bb.14:                               ;   in Loop: Header=BB51_7 Depth=2
	s_xor_b64 s[18:19], s[18:19], -1
	s_and_saveexec_b64 s[54:55], s[18:19]
	s_xor_b64 s[18:19], exec, s[54:55]
; %bb.15:                               ;   in Loop: Header=BB51_7 Depth=2
	ds_write_b64 v59, v[30:31] offset:128
; %bb.16:                               ;   in Loop: Header=BB51_7 Depth=2
	s_andn2_saveexec_b64 s[18:19], s[18:19]
; %bb.17:                               ;   in Loop: Header=BB51_7 Depth=2
	ds_write_b64 v59, v[28:29] offset:128
; %bb.18:                               ;   in Loop: Header=BB51_7 Depth=2
	s_or_b64 exec, exec, s[18:19]
.LBB51_19:                              ;   in Loop: Header=BB51_7 Depth=2
	s_or_b64 exec, exec, s[4:5]
	v_cmp_eq_u64_e64 s[4:5], s[42:43], v[50:51]
	s_and_b64 s[18:19], s[44:45], s[4:5]
	v_cmp_gt_i64_e64 s[4:5], v[0:1], v[48:49]
	s_or_b64 s[4:5], s[8:9], s[4:5]
	s_or_b64 s[4:5], s[4:5], s[18:19]
	v_lshl_add_u64 v[2:3], v[44:45], 0, v[14:15]
	s_nor_b64 s[4:5], s[14:15], s[4:5]
                                        ; implicit-def: $vgpr0_vgpr1
	s_and_saveexec_b64 s[14:15], s[4:5]
	s_xor_b64 s[4:5], exec, s[14:15]
	s_cbranch_execz .LBB51_21
; %bb.20:                               ;   in Loop: Header=BB51_7 Depth=2
	global_load_dwordx2 v[0:1], v[2:3], off
.LBB51_21:                              ;   in Loop: Header=BB51_7 Depth=2
	s_andn2_saveexec_b64 s[4:5], s[4:5]
	s_cbranch_execz .LBB51_23
; %bb.22:                               ;   in Loop: Header=BB51_7 Depth=2
	v_cndmask_b32_e64 v9, 0, v29, s[18:19]
	s_waitcnt vmcnt(0)
	v_mov_b64_e32 v[0:1], v[8:9]
.LBB51_23:                              ;   in Loop: Header=BB51_7 Depth=2
	s_or_b64 exec, exec, s[4:5]
	s_or_b64 s[4:5], s[8:9], s[12:13]
	s_or_b64 s[4:5], s[4:5], s[10:11]
	s_nor_b64 s[4:5], s[16:17], s[4:5]
	s_waitcnt vmcnt(0)
	ds_write_b64 v59, v[0:1] offset:4096
	s_and_saveexec_b64 s[12:13], s[4:5]
	s_xor_b64 s[4:5], exec, s[12:13]
	s_cbranch_execz .LBB51_25
; %bb.24:                               ;   in Loop: Header=BB51_7 Depth=2
	global_load_dwordx2 v[0:1], v[2:3], off offset:128
	s_waitcnt vmcnt(0)
	ds_write_b64 v59, v[0:1] offset:4224
.LBB51_25:                              ;   in Loop: Header=BB51_7 Depth=2
	s_andn2_saveexec_b64 s[4:5], s[4:5]
	s_cbranch_execz .LBB51_31
; %bb.26:                               ;   in Loop: Header=BB51_7 Depth=2
	s_xor_b64 s[10:11], s[10:11], -1
	s_and_saveexec_b64 s[12:13], s[10:11]
	s_xor_b64 s[10:11], exec, s[12:13]
; %bb.27:                               ;   in Loop: Header=BB51_7 Depth=2
	ds_write_b64 v59, v[30:31] offset:4224
; %bb.28:                               ;   in Loop: Header=BB51_7 Depth=2
	s_andn2_saveexec_b64 s[10:11], s[10:11]
; %bb.29:                               ;   in Loop: Header=BB51_7 Depth=2
	ds_write_b64 v59, v[28:29] offset:4224
; %bb.30:                               ;   in Loop: Header=BB51_7 Depth=2
	s_or_b64 exec, exec, s[10:11]
.LBB51_31:                              ;   in Loop: Header=BB51_7 Depth=2
	s_or_b64 exec, exec, s[4:5]
	v_lshl_add_u64 v[0:1], v[4:5], 0, s[42:43]
	v_cmp_le_i64_e64 s[10:11], s[30:31], v[0:1]
	v_lshl_add_u64 v[2:3], v[54:55], 0, v[24:25]
	s_nor_b64 s[12:13], s[10:11], vcc
	v_mov_b64_e32 v[56:57], 0
	s_and_saveexec_b64 s[4:5], s[12:13]
	s_cbranch_execz .LBB51_33
; %bb.32:                               ;   in Loop: Header=BB51_7 Depth=2
	global_load_dwordx2 v[56:57], v[2:3], off offset:-128
.LBB51_33:                              ;   in Loop: Header=BB51_7 Depth=2
	s_or_b64 exec, exec, s[4:5]
	s_nor_b64 s[4:5], s[10:11], s[0:1]
	s_waitcnt vmcnt(0)
	ds_write_b64 v61, v[56:57]
	s_and_saveexec_b64 s[10:11], s[4:5]
	s_xor_b64 s[4:5], exec, s[10:11]
	s_cbranch_execz .LBB51_35
; %bb.34:                               ;   in Loop: Header=BB51_7 Depth=2
	global_load_dwordx2 v[2:3], v[2:3], off
	s_waitcnt vmcnt(0)
	ds_write_b64 v61, v[2:3] offset:128
.LBB51_35:                              ;   in Loop: Header=BB51_7 Depth=2
	s_andn2_saveexec_b64 s[4:5], s[4:5]
; %bb.36:                               ;   in Loop: Header=BB51_7 Depth=2
	ds_write_b64 v61, v[30:31] offset:128
; %bb.37:                               ;   in Loop: Header=BB51_7 Depth=2
	s_or_b64 exec, exec, s[4:5]
	v_cmp_le_i64_e64 s[10:11], s[50:51], v[0:1]
	v_lshl_add_u64 v[0:1], v[54:55], 0, v[26:27]
	s_nor_b64 s[12:13], s[10:11], vcc
	v_mov_b64_e32 v[2:3], 0
	s_and_saveexec_b64 s[4:5], s[12:13]
	s_cbranch_execz .LBB51_39
; %bb.38:                               ;   in Loop: Header=BB51_7 Depth=2
	global_load_dwordx2 v[2:3], v[0:1], off
.LBB51_39:                              ;   in Loop: Header=BB51_7 Depth=2
	s_or_b64 exec, exec, s[4:5]
	s_nor_b64 s[4:5], s[10:11], s[0:1]
	s_waitcnt vmcnt(0)
	ds_write_b64 v61, v[2:3] offset:4096
	s_and_saveexec_b64 s[10:11], s[4:5]
	s_xor_b64 s[4:5], exec, s[10:11]
	s_cbranch_execz .LBB51_41
; %bb.40:                               ;   in Loop: Header=BB51_7 Depth=2
	global_load_dwordx2 v[0:1], v[0:1], off offset:128
	s_waitcnt vmcnt(0)
	ds_write_b64 v61, v[0:1] offset:4224
.LBB51_41:                              ;   in Loop: Header=BB51_7 Depth=2
	s_andn2_saveexec_b64 s[4:5], s[4:5]
	s_cbranch_execz .LBB51_6
; %bb.42:                               ;   in Loop: Header=BB51_7 Depth=2
	ds_write_b64 v61, v[30:31] offset:4224
	s_branch .LBB51_6
.LBB51_43:                              ;   in Loop: Header=BB51_4 Depth=1
	v_mul_lo_u32 v2, s25, v32
	v_mul_lo_u32 v3, s24, v33
	v_mad_u64_u32 v[0:1], s[4:5], s24, v32, 0
	v_cmp_gt_i32_e64 s[6:7], s30, v32
	v_add3_u32 v1, v1, v3, v2
	v_lshl_add_u64 v[0:1], v[0:1], 3, s[26:27]
	s_and_b64 s[8:9], s[20:21], s[6:7]
	s_and_saveexec_b64 s[4:5], s[8:9]
	s_cbranch_execz .LBB51_45
; %bb.44:                               ;   in Loop: Header=BB51_4 Depth=1
	v_lshl_add_u64 v[2:3], v[10:11], 3, v[0:1]
	global_load_dwordx2 v[42:43], v[2:3], off
	s_waitcnt vmcnt(0)
	v_fmac_f64_e32 v[42:43], s[34:35], v[40:41]
	global_store_dwordx2 v[2:3], v[42:43], off
.LBB51_45:                              ;   in Loop: Header=BB51_4 Depth=1
	s_or_b64 exec, exec, s[4:5]
	s_and_b64 s[6:7], s[22:23], s[6:7]
	s_and_saveexec_b64 s[4:5], s[6:7]
	s_cbranch_execz .LBB51_47
; %bb.46:                               ;   in Loop: Header=BB51_4 Depth=1
	v_lshl_add_u64 v[0:1], v[16:17], 3, v[0:1]
	global_load_dwordx2 v[2:3], v[0:1], off
	s_waitcnt vmcnt(0)
	v_fmac_f64_e32 v[2:3], s[34:35], v[38:39]
	global_store_dwordx2 v[0:1], v[2:3], off
.LBB51_47:                              ;   in Loop: Header=BB51_4 Depth=1
	s_or_b64 exec, exec, s[4:5]
	v_add_u32_e32 v0, 16, v32
	v_ashrrev_i32_e32 v1, 31, v0
	v_cmp_gt_i32_e64 s[6:7], s30, v0
	v_mul_lo_u32 v2, s24, v1
	v_mul_lo_u32 v3, s25, v0
	v_mad_u64_u32 v[0:1], s[4:5], s24, v0, 0
	v_add3_u32 v1, v1, v2, v3
	v_lshl_add_u64 v[0:1], v[0:1], 3, s[26:27]
	s_and_b64 s[8:9], s[20:21], s[6:7]
	s_and_saveexec_b64 s[4:5], s[8:9]
	s_cbranch_execz .LBB51_49
; %bb.48:                               ;   in Loop: Header=BB51_4 Depth=1
	v_lshl_add_u64 v[2:3], v[10:11], 3, v[0:1]
	global_load_dwordx2 v[32:33], v[2:3], off
	s_waitcnt vmcnt(0)
	v_fmac_f64_e32 v[32:33], s[34:35], v[36:37]
	global_store_dwordx2 v[2:3], v[32:33], off
.LBB51_49:                              ;   in Loop: Header=BB51_4 Depth=1
	s_or_b64 exec, exec, s[4:5]
	s_and_b64 s[6:7], s[22:23], s[6:7]
	s_and_saveexec_b64 s[4:5], s[6:7]
	s_cbranch_execz .LBB51_3
; %bb.50:                               ;   in Loop: Header=BB51_4 Depth=1
	v_lshl_add_u64 v[0:1], v[16:17], 3, v[0:1]
	global_load_dwordx2 v[2:3], v[0:1], off
	s_waitcnt vmcnt(0)
	v_fmac_f64_e32 v[2:3], s[34:35], v[34:35]
	global_store_dwordx2 v[0:1], v[2:3], off
	s_branch .LBB51_3
.LBB51_51:
	s_endpgm
	.section	.rodata,"a",@progbits
	.p2align	6, 0x0
	.amdhsa_kernel _ZL30rocblas_trmm_outofplace_kernelIdLi32ELi2ELb0ELb1ELb0ELb0EdKddEv17rocblas_diagonal_iiT6_lPT7_lllS4_lllPT8_llli
		.amdhsa_group_segment_fixed_size 16384
		.amdhsa_private_segment_fixed_size 0
		.amdhsa_kernarg_size 392
		.amdhsa_user_sgpr_count 2
		.amdhsa_user_sgpr_dispatch_ptr 0
		.amdhsa_user_sgpr_queue_ptr 0
		.amdhsa_user_sgpr_kernarg_segment_ptr 1
		.amdhsa_user_sgpr_dispatch_id 0
		.amdhsa_user_sgpr_kernarg_preload_length 0
		.amdhsa_user_sgpr_kernarg_preload_offset 0
		.amdhsa_user_sgpr_private_segment_size 0
		.amdhsa_uses_dynamic_stack 0
		.amdhsa_enable_private_segment 0
		.amdhsa_system_sgpr_workgroup_id_x 1
		.amdhsa_system_sgpr_workgroup_id_y 1
		.amdhsa_system_sgpr_workgroup_id_z 1
		.amdhsa_system_sgpr_workgroup_info 0
		.amdhsa_system_vgpr_workitem_id 1
		.amdhsa_next_free_vgpr 86
		.amdhsa_next_free_sgpr 56
		.amdhsa_accum_offset 88
		.amdhsa_reserve_vcc 1
		.amdhsa_float_round_mode_32 0
		.amdhsa_float_round_mode_16_64 0
		.amdhsa_float_denorm_mode_32 3
		.amdhsa_float_denorm_mode_16_64 3
		.amdhsa_dx10_clamp 1
		.amdhsa_ieee_mode 1
		.amdhsa_fp16_overflow 0
		.amdhsa_tg_split 0
		.amdhsa_exception_fp_ieee_invalid_op 0
		.amdhsa_exception_fp_denorm_src 0
		.amdhsa_exception_fp_ieee_div_zero 0
		.amdhsa_exception_fp_ieee_overflow 0
		.amdhsa_exception_fp_ieee_underflow 0
		.amdhsa_exception_fp_ieee_inexact 0
		.amdhsa_exception_int_div_zero 0
	.end_amdhsa_kernel
	.section	.text._ZL30rocblas_trmm_outofplace_kernelIdLi32ELi2ELb0ELb1ELb0ELb0EdKddEv17rocblas_diagonal_iiT6_lPT7_lllS4_lllPT8_llli,"axG",@progbits,_ZL30rocblas_trmm_outofplace_kernelIdLi32ELi2ELb0ELb1ELb0ELb0EdKddEv17rocblas_diagonal_iiT6_lPT7_lllS4_lllPT8_llli,comdat
.Lfunc_end51:
	.size	_ZL30rocblas_trmm_outofplace_kernelIdLi32ELi2ELb0ELb1ELb0ELb0EdKddEv17rocblas_diagonal_iiT6_lPT7_lllS4_lllPT8_llli, .Lfunc_end51-_ZL30rocblas_trmm_outofplace_kernelIdLi32ELi2ELb0ELb1ELb0ELb0EdKddEv17rocblas_diagonal_iiT6_lPT7_lllS4_lllPT8_llli
                                        ; -- End function
	.set _ZL30rocblas_trmm_outofplace_kernelIdLi32ELi2ELb0ELb1ELb0ELb0EdKddEv17rocblas_diagonal_iiT6_lPT7_lllS4_lllPT8_llli.num_vgpr, 86
	.set _ZL30rocblas_trmm_outofplace_kernelIdLi32ELi2ELb0ELb1ELb0ELb0EdKddEv17rocblas_diagonal_iiT6_lPT7_lllS4_lllPT8_llli.num_agpr, 0
	.set _ZL30rocblas_trmm_outofplace_kernelIdLi32ELi2ELb0ELb1ELb0ELb0EdKddEv17rocblas_diagonal_iiT6_lPT7_lllS4_lllPT8_llli.numbered_sgpr, 56
	.set _ZL30rocblas_trmm_outofplace_kernelIdLi32ELi2ELb0ELb1ELb0ELb0EdKddEv17rocblas_diagonal_iiT6_lPT7_lllS4_lllPT8_llli.num_named_barrier, 0
	.set _ZL30rocblas_trmm_outofplace_kernelIdLi32ELi2ELb0ELb1ELb0ELb0EdKddEv17rocblas_diagonal_iiT6_lPT7_lllS4_lllPT8_llli.private_seg_size, 0
	.set _ZL30rocblas_trmm_outofplace_kernelIdLi32ELi2ELb0ELb1ELb0ELb0EdKddEv17rocblas_diagonal_iiT6_lPT7_lllS4_lllPT8_llli.uses_vcc, 1
	.set _ZL30rocblas_trmm_outofplace_kernelIdLi32ELi2ELb0ELb1ELb0ELb0EdKddEv17rocblas_diagonal_iiT6_lPT7_lllS4_lllPT8_llli.uses_flat_scratch, 0
	.set _ZL30rocblas_trmm_outofplace_kernelIdLi32ELi2ELb0ELb1ELb0ELb0EdKddEv17rocblas_diagonal_iiT6_lPT7_lllS4_lllPT8_llli.has_dyn_sized_stack, 0
	.set _ZL30rocblas_trmm_outofplace_kernelIdLi32ELi2ELb0ELb1ELb0ELb0EdKddEv17rocblas_diagonal_iiT6_lPT7_lllS4_lllPT8_llli.has_recursion, 0
	.set _ZL30rocblas_trmm_outofplace_kernelIdLi32ELi2ELb0ELb1ELb0ELb0EdKddEv17rocblas_diagonal_iiT6_lPT7_lllS4_lllPT8_llli.has_indirect_call, 0
	.section	.AMDGPU.csdata,"",@progbits
; Kernel info:
; codeLenInByte = 2996
; TotalNumSgprs: 62
; NumVgprs: 86
; NumAgprs: 0
; TotalNumVgprs: 86
; ScratchSize: 0
; MemoryBound: 0
; FloatMode: 240
; IeeeMode: 1
; LDSByteSize: 16384 bytes/workgroup (compile time only)
; SGPRBlocks: 7
; VGPRBlocks: 10
; NumSGPRsForWavesPerEU: 62
; NumVGPRsForWavesPerEU: 86
; AccumOffset: 88
; Occupancy: 5
; WaveLimiterHint : 0
; COMPUTE_PGM_RSRC2:SCRATCH_EN: 0
; COMPUTE_PGM_RSRC2:USER_SGPR: 2
; COMPUTE_PGM_RSRC2:TRAP_HANDLER: 0
; COMPUTE_PGM_RSRC2:TGID_X_EN: 1
; COMPUTE_PGM_RSRC2:TGID_Y_EN: 1
; COMPUTE_PGM_RSRC2:TGID_Z_EN: 1
; COMPUTE_PGM_RSRC2:TIDIG_COMP_CNT: 1
; COMPUTE_PGM_RSRC3_GFX90A:ACCUM_OFFSET: 21
; COMPUTE_PGM_RSRC3_GFX90A:TG_SPLIT: 0
	.section	.text._ZL30rocblas_trmm_outofplace_kernelIdLi32ELi2ELb0ELb0ELb1ELb0EPKdS0_dEv17rocblas_diagonal_iiT6_lPT7_lllS5_lllPT8_llli,"axG",@progbits,_ZL30rocblas_trmm_outofplace_kernelIdLi32ELi2ELb0ELb0ELb1ELb0EPKdS0_dEv17rocblas_diagonal_iiT6_lPT7_lllS5_lllPT8_llli,comdat
	.globl	_ZL30rocblas_trmm_outofplace_kernelIdLi32ELi2ELb0ELb0ELb1ELb0EPKdS0_dEv17rocblas_diagonal_iiT6_lPT7_lllS5_lllPT8_llli ; -- Begin function _ZL30rocblas_trmm_outofplace_kernelIdLi32ELi2ELb0ELb0ELb1ELb0EPKdS0_dEv17rocblas_diagonal_iiT6_lPT7_lllS5_lllPT8_llli
	.p2align	8
	.type	_ZL30rocblas_trmm_outofplace_kernelIdLi32ELi2ELb0ELb0ELb1ELb0EPKdS0_dEv17rocblas_diagonal_iiT6_lPT7_lllS5_lllPT8_llli,@function
_ZL30rocblas_trmm_outofplace_kernelIdLi32ELi2ELb0ELb0ELb1ELb0EPKdS0_dEv17rocblas_diagonal_iiT6_lPT7_lllS5_lllPT8_llli: ; @_ZL30rocblas_trmm_outofplace_kernelIdLi32ELi2ELb0ELb0ELb1ELb0EPKdS0_dEv17rocblas_diagonal_iiT6_lPT7_lllS5_lllPT8_llli
; %bb.0:
	s_load_dwordx16 s[8:23], s[0:1], 0x10
	s_waitcnt lgkmcnt(0)
	s_mul_i32 s5, s11, s4
	s_mul_hi_u32 s6, s10, s4
	s_add_i32 s7, s6, s5
	s_mul_i32 s6, s10, s4
	s_lshl_b64 s[6:7], s[6:7], 3
	s_add_u32 s6, s8, s6
	s_addc_u32 s7, s9, s7
	s_load_dwordx2 s[34:35], s[6:7], 0x0
	s_waitcnt lgkmcnt(0)
	v_cmp_eq_f64_e64 s[6:7], s[34:35], 0
	s_and_b64 vcc, exec, s[6:7]
	s_cbranch_vccnz .LBB52_51
; %bb.1:
	s_load_dwordx4 s[36:39], s[0:1], 0x0
	s_waitcnt lgkmcnt(0)
	s_add_i32 s5, s38, -1
	s_ashr_i32 s6, s5, 31
	s_lshr_b32 s6, s6, 27
	s_add_i32 s5, s5, s6
	s_ashr_i32 s33, s5, 5
	s_cmp_gt_i32 s3, s33
	s_cbranch_scc1 .LBB52_51
; %bb.2:
	s_mul_i32 s5, s19, s4
	s_mul_hi_u32 s6, s18, s4
	s_load_dwordx8 s[24:31], s[0:1], 0x50
	s_load_dwordx4 s[40:43], s[0:1], 0x70
	s_add_i32 s7, s6, s5
	s_mul_i32 s6, s18, s4
	s_lshl_b64 s[8:9], s[6:7], 3
	s_add_u32 s5, s12, s8
	s_addc_u32 s7, s13, s9
	s_lshl_b64 s[10:11], s[14:15], 3
	s_add_u32 s6, s5, s10
	s_waitcnt lgkmcnt(0)
	s_mul_i32 s5, s27, s4
	s_mul_hi_u32 s14, s26, s4
	s_addc_u32 s7, s7, s11
	s_add_i32 s15, s14, s5
	s_mul_i32 s14, s26, s4
	s_lshl_b64 s[14:15], s[14:15], 3
	s_add_u32 s5, s20, s14
	s_addc_u32 s18, s21, s15
	s_lshl_b64 s[14:15], s[22:23], 3
	s_add_u32 s14, s5, s14
	s_load_dword s46, s[0:1], 0x8c
	s_mul_i32 s0, s43, s4
	s_mul_hi_u32 s1, s42, s4
	s_addc_u32 s15, s18, s15
	s_add_i32 s1, s1, s0
	s_mul_i32 s0, s42, s4
	s_lshl_b64 s[0:1], s[0:1], 3
	s_add_u32 s4, s28, s0
	s_addc_u32 s5, s29, s1
	s_lshl_b64 s[0:1], s[30:31], 3
	s_add_u32 s26, s4, s0
	v_and_b32_e32 v6, 0x3ff, v0
	v_bfe_u32 v4, v0, 10, 10
	s_addc_u32 s27, s5, s1
	v_mad_u64_u32 v[0:1], s[0:1], s16, v6, 0
	v_mov_b32_e32 v2, v1
	v_mad_u64_u32 v[2:3], s[0:1], s17, v6, v[2:3]
	s_cmpk_eq_i32 s36, 0x84
	v_lshl_add_u32 v10, s2, 5, v6
	v_mov_b32_e32 v1, v2
	s_cselect_b64 s[28:29], -1, 0
	s_ashr_i32 s0, s37, 31
	v_ashrrev_i32_e32 v11, 31, v10
	v_lshl_add_u64 v[12:13], v[0:1], 3, s[6:7]
	v_mov_b32_e32 v1, s0
	v_sub_co_u32_e32 v0, vcc, s37, v10
	v_sub_co_u32_e64 v18, s[6:7], 0, v6
	s_nop 0
	v_subb_co_u32_e32 v1, vcc, v1, v11, vcc
	s_ashr_i32 s39, s38, 31
	s_lshl_b64 s[30:31], s[16:17], 8
	s_lshl_b64 s[42:43], s[24:25], 8
	v_cmp_gt_i64_e32 vcc, 1, v[0:1]
	v_cmp_gt_i64_e64 s[0:1], 17, v[0:1]
	v_subb_co_u32_e64 v19, s[6:7], 0, 0, s[6:7]
	v_mad_u64_u32 v[0:1], s[6:7], s24, v4, 0
	s_add_u32 s44, s38, -16
	v_mov_b32_e32 v2, v1
	s_addc_u32 s45, s39, -1
	s_waitcnt lgkmcnt(0)
	s_lshl_b32 s2, s46, 5
	v_mad_u64_u32 v[2:3], s[6:7], s25, v4, v[2:3]
	s_add_u32 s6, s12, s10
	s_addc_u32 s7, s13, s11
	s_add_u32 s6, s6, s8
	v_lshlrev_b32_e32 v9, 3, v6
	v_mov_b32_e32 v1, v2
	v_mov_b64_e32 v[2:3], 0x80
	s_addc_u32 s7, s7, s9
	v_lshl_add_u64 v[22:23], v[0:1], 3, v[2:3]
	v_add_u32_e32 v2, 0x80, v9
	v_mov_b64_e32 v[0:1], s[6:7]
	v_mad_u64_u32 v[24:25], s[6:7], s16, v2, v[0:1]
	v_mov_b32_e32 v0, v25
	v_mad_u64_u32 v[0:1], s[6:7], s17, v2, v[0:1]
	v_mov_b32_e32 v25, v0
	v_mov_b32_e32 v0, 0x80
	v_lshl_add_u32 v1, v4, 3, v0
	v_mad_u64_u32 v[26:27], s[6:7], s24, v1, 0
	v_mov_b32_e32 v0, v27
	v_mov_b32_e32 v8, 0
	v_lshlrev_b32_e32 v60, 8, v4
	v_or_b32_e32 v62, 0x2000, v9
	v_add_u32_e32 v16, 16, v10
	v_mad_u64_u32 v[0:1], s[6:7], s25, v1, v[0:1]
	v_mov_b32_e32 v7, v8
	v_mov_b32_e32 v5, v8
	v_lshl_add_u64 v[14:15], v[10:11], 3, s[14:15]
	v_add_u32_e32 v61, v60, v9
	v_add_u32_e32 v63, v62, v60
	v_cmp_gt_i32_e64 s[20:21], s37, v10
	v_cmp_gt_i32_e64 s[4:5], s37, v16
	v_ashrrev_i32_e32 v17, 31, v16
	v_lshl_add_u32 v20, s3, 5, v4
	v_mov_b32_e32 v27, v0
	v_mov_b32_e32 v29, 0x3ff00000
	;; [unrolled: 1-line block ×5, first 2 shown]
	v_add_u32_e32 v64, 0x800, v62
	v_add_u32_e32 v65, 0x1000, v62
	;; [unrolled: 1-line block ×3, first 2 shown]
	s_branch .LBB52_4
.LBB52_3:                               ;   in Loop: Header=BB52_4 Depth=1
	s_or_b64 exec, exec, s[6:7]
	s_add_i32 s3, s46, s3
	s_cmp_le_i32 s3, s33
	v_add_u32_e32 v20, s2, v20
	s_cbranch_scc0 .LBB52_51
.LBB52_4:                               ; =>This Loop Header: Depth=1
                                        ;     Child Loop BB52_7 Depth 2
	s_lshl_b32 s36, s3, 5
	v_add_u32_e32 v34, s36, v4
	v_ashrrev_i32_e32 v35, 31, v34
	v_mov_b64_e32 v[40:41], 0
	s_cmp_lt_i32 s3, 0
	v_mov_b64_e32 v[38:39], 0
	v_mov_b64_e32 v[36:37], 0
	;; [unrolled: 1-line block ×3, first 2 shown]
	s_cbranch_scc1 .LBB52_43
; %bb.5:                                ;   in Loop: Header=BB52_4 Depth=1
	v_ashrrev_i32_e32 v21, 31, v20
	v_lshl_add_u64 v[42:43], v[18:19], 0, v[20:21]
	v_lshl_add_u64 v[46:47], v[34:35], 0, 16
	v_lshlrev_b64 v[44:45], 3, v[20:21]
	v_cmp_le_i32_e64 s[6:7], s38, v34
	v_cmp_le_i64_e64 s[8:9], s[38:39], v[46:47]
	v_lshl_add_u64 v[48:49], v[42:43], 0, 16
	v_lshl_add_u64 v[50:51], v[42:43], 0, -16
	v_mov_b64_e32 v[32:33], 0
	s_mov_b64 s[24:25], 0
	v_mov_b64_e32 v[52:53], v[12:13]
	v_mov_b64_e32 v[54:55], v[24:25]
	v_mov_b64_e32 v[56:57], v[14:15]
	v_mov_b64_e32 v[36:37], 0
	v_mov_b64_e32 v[38:39], 0
	v_mov_b64_e32 v[40:41], 0
	s_branch .LBB52_7
.LBB52_6:                               ;   in Loop: Header=BB52_7 Depth=2
	s_or_b64 exec, exec, s[10:11]
	s_waitcnt lgkmcnt(0)
	s_barrier
	ds_read2_b64 v[68:71], v62 offset1:16
	ds_read_b128 v[72:75], v60
	ds_read_b128 v[76:79], v60 offset:16
	ds_read_b128 v[80:83], v60 offset:32
	;; [unrolled: 1-line block ×4, first 2 shown]
	ds_read2_b64 v[88:91], v62 offset0:32 offset1:48
	s_waitcnt lgkmcnt(5)
	v_fmac_f64_e32 v[40:41], v[68:69], v[72:73]
	v_fmac_f64_e32 v[38:39], v[70:71], v[72:73]
	ds_read_b128 v[92:95], v60 offset:4112
	s_waitcnt lgkmcnt(2)
	v_fmac_f64_e32 v[36:37], v[68:69], v[84:85]
	v_fmac_f64_e32 v[32:33], v[70:71], v[84:85]
	ds_read2_b64 v[68:71], v62 offset0:64 offset1:80
	s_waitcnt lgkmcnt(2)
	v_fmac_f64_e32 v[40:41], v[88:89], v[74:75]
	v_fmac_f64_e32 v[38:39], v[90:91], v[74:75]
	ds_read2_b64 v[72:75], v62 offset0:96 offset1:112
	v_fmac_f64_e32 v[36:37], v[88:89], v[86:87]
	v_fmac_f64_e32 v[32:33], v[90:91], v[86:87]
	s_waitcnt lgkmcnt(1)
	v_fmac_f64_e32 v[40:41], v[68:69], v[76:77]
	v_fmac_f64_e32 v[38:39], v[70:71], v[76:77]
	ds_read_b128 v[84:87], v60 offset:4144
	v_fmac_f64_e32 v[36:37], v[68:69], v[92:93]
	v_fmac_f64_e32 v[32:33], v[70:71], v[92:93]
	s_waitcnt lgkmcnt(1)
	v_fmac_f64_e32 v[40:41], v[72:73], v[78:79]
	ds_read2_b64 v[68:71], v62 offset0:128 offset1:144
	v_fmac_f64_e32 v[38:39], v[74:75], v[78:79]
	v_fmac_f64_e32 v[36:37], v[72:73], v[94:95]
	;; [unrolled: 1-line block ×3, first 2 shown]
	ds_read_b128 v[72:75], v60 offset:4128
	ds_read2_b64 v[76:79], v62 offset0:160 offset1:176
	s_waitcnt lgkmcnt(2)
	v_fmac_f64_e32 v[40:41], v[68:69], v[80:81]
	v_fmac_f64_e32 v[38:39], v[70:71], v[80:81]
	s_add_u32 s24, s24, 32
	s_waitcnt lgkmcnt(1)
	v_fmac_f64_e32 v[36:37], v[68:69], v[72:73]
	v_fmac_f64_e32 v[32:33], v[70:71], v[72:73]
	ds_read2_b64 v[68:71], v62 offset0:192 offset1:208
	s_waitcnt lgkmcnt(1)
	v_fmac_f64_e32 v[36:37], v[76:77], v[74:75]
	v_fmac_f64_e32 v[32:33], v[78:79], v[74:75]
	ds_read2_b64 v[72:75], v62 offset0:224 offset1:240
	v_fmac_f64_e32 v[40:41], v[76:77], v[82:83]
	v_fmac_f64_e32 v[38:39], v[78:79], v[82:83]
	s_waitcnt lgkmcnt(1)
	v_fmac_f64_e32 v[40:41], v[68:69], v[0:1]
	v_fmac_f64_e32 v[38:39], v[70:71], v[0:1]
	;; [unrolled: 1-line block ×4, first 2 shown]
	s_waitcnt lgkmcnt(0)
	v_fmac_f64_e32 v[40:41], v[72:73], v[2:3]
	v_fmac_f64_e32 v[38:39], v[74:75], v[2:3]
	ds_read_b128 v[0:3], v60 offset:64
	ds_read2_b64 v[68:71], v64 offset1:16
	v_fmac_f64_e32 v[36:37], v[72:73], v[86:87]
	v_fmac_f64_e32 v[32:33], v[74:75], v[86:87]
	ds_read_b128 v[72:75], v60 offset:4160
	ds_read_b128 v[76:79], v60 offset:80
	ds_read2_b64 v[80:83], v64 offset0:32 offset1:48
	s_waitcnt lgkmcnt(3)
	v_fmac_f64_e32 v[40:41], v[68:69], v[0:1]
	v_fmac_f64_e32 v[38:39], v[70:71], v[0:1]
	ds_read_b128 v[84:87], v60 offset:4176
	s_waitcnt lgkmcnt(3)
	v_fmac_f64_e32 v[36:37], v[68:69], v[72:73]
	v_fmac_f64_e32 v[32:33], v[70:71], v[72:73]
	ds_read2_b64 v[68:71], v64 offset0:64 offset1:80
	s_waitcnt lgkmcnt(2)
	v_fmac_f64_e32 v[40:41], v[80:81], v[2:3]
	v_fmac_f64_e32 v[38:39], v[82:83], v[2:3]
	ds_read2_b64 v[0:3], v64 offset0:96 offset1:112
	v_fmac_f64_e32 v[36:37], v[80:81], v[74:75]
	v_fmac_f64_e32 v[32:33], v[82:83], v[74:75]
	s_waitcnt lgkmcnt(1)
	v_fmac_f64_e32 v[40:41], v[68:69], v[76:77]
	v_fmac_f64_e32 v[38:39], v[70:71], v[76:77]
	;; [unrolled: 1-line block ×4, first 2 shown]
	ds_read_b128 v[68:71], v60 offset:96
	ds_read2_b64 v[72:75], v64 offset0:128 offset1:144
	s_waitcnt lgkmcnt(2)
	v_fmac_f64_e32 v[40:41], v[0:1], v[78:79]
	v_fmac_f64_e32 v[38:39], v[2:3], v[78:79]
	;; [unrolled: 1-line block ×4, first 2 shown]
	ds_read_b128 v[0:3], v60 offset:4192
	ds_read_b128 v[76:79], v60 offset:112
	ds_read2_b64 v[80:83], v64 offset0:160 offset1:176
	s_waitcnt lgkmcnt(3)
	v_fmac_f64_e32 v[40:41], v[72:73], v[68:69]
	v_fmac_f64_e32 v[38:39], v[74:75], v[68:69]
	ds_read_b128 v[84:87], v60 offset:4208
	s_waitcnt lgkmcnt(3)
	v_fmac_f64_e32 v[36:37], v[72:73], v[0:1]
	v_fmac_f64_e32 v[32:33], v[74:75], v[0:1]
	ds_read2_b64 v[72:75], v64 offset0:192 offset1:208
	s_waitcnt lgkmcnt(2)
	v_fmac_f64_e32 v[36:37], v[80:81], v[2:3]
	v_fmac_f64_e32 v[32:33], v[82:83], v[2:3]
	ds_read2_b64 v[0:3], v64 offset0:224 offset1:240
	v_fmac_f64_e32 v[40:41], v[80:81], v[70:71]
	v_fmac_f64_e32 v[38:39], v[82:83], v[70:71]
	s_waitcnt lgkmcnt(1)
	v_fmac_f64_e32 v[40:41], v[72:73], v[76:77]
	v_fmac_f64_e32 v[38:39], v[74:75], v[76:77]
	;; [unrolled: 1-line block ×4, first 2 shown]
	ds_read_b128 v[68:71], v60 offset:128
	ds_read2_b64 v[72:75], v65 offset1:16
	s_waitcnt lgkmcnt(2)
	v_fmac_f64_e32 v[40:41], v[0:1], v[78:79]
	v_fmac_f64_e32 v[38:39], v[2:3], v[78:79]
	;; [unrolled: 1-line block ×4, first 2 shown]
	ds_read_b128 v[0:3], v60 offset:4224
	ds_read_b128 v[76:79], v60 offset:144
	ds_read2_b64 v[80:83], v65 offset0:32 offset1:48
	s_waitcnt lgkmcnt(3)
	v_fmac_f64_e32 v[40:41], v[72:73], v[68:69]
	v_fmac_f64_e32 v[38:39], v[74:75], v[68:69]
	ds_read_b128 v[84:87], v60 offset:4240
	s_waitcnt lgkmcnt(3)
	v_fmac_f64_e32 v[36:37], v[72:73], v[0:1]
	v_fmac_f64_e32 v[32:33], v[74:75], v[0:1]
	ds_read2_b64 v[72:75], v65 offset0:64 offset1:80
	s_waitcnt lgkmcnt(2)
	v_fmac_f64_e32 v[36:37], v[80:81], v[2:3]
	v_fmac_f64_e32 v[32:33], v[82:83], v[2:3]
	ds_read2_b64 v[0:3], v65 offset0:96 offset1:112
	v_fmac_f64_e32 v[40:41], v[80:81], v[70:71]
	v_fmac_f64_e32 v[38:39], v[82:83], v[70:71]
	s_waitcnt lgkmcnt(1)
	v_fmac_f64_e32 v[40:41], v[72:73], v[76:77]
	v_fmac_f64_e32 v[38:39], v[74:75], v[76:77]
	;; [unrolled: 1-line block ×4, first 2 shown]
	ds_read_b128 v[68:71], v60 offset:160
	ds_read2_b64 v[72:75], v65 offset0:128 offset1:144
	s_waitcnt lgkmcnt(2)
	v_fmac_f64_e32 v[40:41], v[0:1], v[78:79]
	v_fmac_f64_e32 v[38:39], v[2:3], v[78:79]
	v_fmac_f64_e32 v[36:37], v[0:1], v[86:87]
	v_fmac_f64_e32 v[32:33], v[2:3], v[86:87]
	ds_read_b128 v[0:3], v60 offset:4256
	ds_read_b128 v[76:79], v60 offset:176
	ds_read2_b64 v[80:83], v65 offset0:160 offset1:176
	s_waitcnt lgkmcnt(3)
	v_fmac_f64_e32 v[40:41], v[72:73], v[68:69]
	v_fmac_f64_e32 v[38:39], v[74:75], v[68:69]
	ds_read_b128 v[84:87], v60 offset:4272
	s_waitcnt lgkmcnt(3)
	v_fmac_f64_e32 v[36:37], v[72:73], v[0:1]
	v_fmac_f64_e32 v[32:33], v[74:75], v[0:1]
	ds_read2_b64 v[72:75], v65 offset0:192 offset1:208
	s_waitcnt lgkmcnt(2)
	v_fmac_f64_e32 v[36:37], v[80:81], v[2:3]
	v_fmac_f64_e32 v[32:33], v[82:83], v[2:3]
	ds_read2_b64 v[0:3], v65 offset0:224 offset1:240
	v_fmac_f64_e32 v[40:41], v[80:81], v[70:71]
	v_fmac_f64_e32 v[38:39], v[82:83], v[70:71]
	s_waitcnt lgkmcnt(1)
	v_fmac_f64_e32 v[40:41], v[72:73], v[76:77]
	v_fmac_f64_e32 v[38:39], v[74:75], v[76:77]
	;; [unrolled: 1-line block ×4, first 2 shown]
	ds_read_b128 v[68:71], v60 offset:192
	ds_read2_b64 v[72:75], v66 offset1:16
	s_waitcnt lgkmcnt(2)
	v_fmac_f64_e32 v[40:41], v[0:1], v[78:79]
	v_fmac_f64_e32 v[38:39], v[2:3], v[78:79]
	;; [unrolled: 1-line block ×4, first 2 shown]
	ds_read_b128 v[0:3], v60 offset:4288
	ds_read_b128 v[76:79], v60 offset:208
	ds_read2_b64 v[80:83], v66 offset0:32 offset1:48
	s_waitcnt lgkmcnt(3)
	v_fmac_f64_e32 v[40:41], v[72:73], v[68:69]
	v_fmac_f64_e32 v[38:39], v[74:75], v[68:69]
	ds_read_b128 v[84:87], v60 offset:4304
	s_waitcnt lgkmcnt(3)
	v_fmac_f64_e32 v[36:37], v[72:73], v[0:1]
	v_fmac_f64_e32 v[32:33], v[74:75], v[0:1]
	ds_read2_b64 v[72:75], v66 offset0:64 offset1:80
	s_waitcnt lgkmcnt(2)
	v_fmac_f64_e32 v[36:37], v[80:81], v[2:3]
	v_fmac_f64_e32 v[32:33], v[82:83], v[2:3]
	ds_read2_b64 v[0:3], v66 offset0:96 offset1:112
	v_fmac_f64_e32 v[40:41], v[80:81], v[70:71]
	v_fmac_f64_e32 v[38:39], v[82:83], v[70:71]
	s_waitcnt lgkmcnt(1)
	v_fmac_f64_e32 v[40:41], v[72:73], v[76:77]
	v_fmac_f64_e32 v[38:39], v[74:75], v[76:77]
	;; [unrolled: 1-line block ×4, first 2 shown]
	ds_read_b128 v[68:71], v60 offset:224
	ds_read2_b64 v[72:75], v66 offset0:128 offset1:144
	s_waitcnt lgkmcnt(2)
	v_fmac_f64_e32 v[40:41], v[0:1], v[78:79]
	v_fmac_f64_e32 v[38:39], v[2:3], v[78:79]
	;; [unrolled: 1-line block ×4, first 2 shown]
	ds_read_b128 v[0:3], v60 offset:4320
	ds_read_b128 v[76:79], v60 offset:240
	ds_read2_b64 v[80:83], v66 offset0:160 offset1:176
	s_waitcnt lgkmcnt(3)
	v_fmac_f64_e32 v[40:41], v[72:73], v[68:69]
	v_fmac_f64_e32 v[38:39], v[74:75], v[68:69]
	ds_read_b128 v[84:87], v60 offset:4336
	s_waitcnt lgkmcnt(3)
	v_fmac_f64_e32 v[36:37], v[72:73], v[0:1]
	v_fmac_f64_e32 v[32:33], v[74:75], v[0:1]
	ds_read2_b64 v[72:75], v66 offset0:192 offset1:208
	s_waitcnt lgkmcnt(2)
	v_fmac_f64_e32 v[36:37], v[80:81], v[2:3]
	v_fmac_f64_e32 v[32:33], v[82:83], v[2:3]
	ds_read2_b64 v[0:3], v66 offset0:224 offset1:240
	v_fmac_f64_e32 v[40:41], v[80:81], v[70:71]
	v_fmac_f64_e32 v[38:39], v[82:83], v[70:71]
	s_waitcnt lgkmcnt(1)
	v_fmac_f64_e32 v[40:41], v[72:73], v[76:77]
	v_fmac_f64_e32 v[38:39], v[74:75], v[76:77]
	;; [unrolled: 1-line block ×4, first 2 shown]
	s_addc_u32 s25, s25, 0
	s_sub_i32 s10, s24, 32
	s_waitcnt lgkmcnt(0)
	v_fmac_f64_e32 v[40:41], v[0:1], v[78:79]
	v_fmac_f64_e32 v[38:39], v[2:3], v[78:79]
	v_fmac_f64_e32 v[36:37], v[0:1], v[86:87]
	v_fmac_f64_e32 v[32:33], v[2:3], v[86:87]
	v_lshl_add_u64 v[56:57], v[56:57], 0, s[42:43]
	v_lshl_add_u64 v[54:55], v[54:55], 0, s[30:31]
	s_cmp_ge_i32 s10, s36
	v_lshl_add_u64 v[52:53], v[52:53], 0, s[30:31]
	s_barrier
	s_cbranch_scc1 .LBB52_43
.LBB52_7:                               ;   Parent Loop BB52_4 Depth=1
                                        ; =>  This Inner Loop Header: Depth=2
	v_lshl_add_u64 v[2:3], v[6:7], 0, s[24:25]
	v_cmp_eq_u64_e64 s[10:11], s[24:25], v[42:43]
	v_cmp_gt_i64_e64 s[12:13], v[2:3], v[34:35]
	s_and_b64 s[10:11], s[28:29], s[10:11]
	s_or_b64 s[16:17], s[6:7], s[12:13]
	v_cmp_le_i64_e64 s[14:15], s[38:39], v[2:3]
	s_or_b64 s[16:17], s[16:17], s[10:11]
	v_lshl_add_u64 v[0:1], v[52:53], 0, v[44:45]
	s_nor_b64 s[16:17], s[14:15], s[16:17]
                                        ; implicit-def: $vgpr58_vgpr59
	s_and_saveexec_b64 s[18:19], s[16:17]
	s_xor_b64 s[16:17], exec, s[18:19]
	s_cbranch_execz .LBB52_9
; %bb.8:                                ;   in Loop: Header=BB52_7 Depth=2
	global_load_dwordx2 v[58:59], v[0:1], off
.LBB52_9:                               ;   in Loop: Header=BB52_7 Depth=2
	s_andn2_saveexec_b64 s[16:17], s[16:17]
	s_cbranch_execz .LBB52_11
; %bb.10:                               ;   in Loop: Header=BB52_7 Depth=2
	v_cndmask_b32_e64 v9, 0, v29, s[10:11]
	s_waitcnt vmcnt(0)
	v_mov_b64_e32 v[58:59], v[8:9]
.LBB52_11:                              ;   in Loop: Header=BB52_7 Depth=2
	s_or_b64 exec, exec, s[16:17]
	s_waitcnt vmcnt(0)
	ds_write_b64 v61, v[58:59]
	v_lshl_add_u64 v[58:59], v[2:3], 0, 16
	v_cmp_eq_u64_e64 s[16:17], s[24:25], v[50:51]
	v_cmp_gt_i64_e64 s[18:19], v[58:59], v[34:35]
	s_and_b64 s[22:23], s[28:29], s[16:17]
	s_or_b64 s[18:19], s[6:7], s[18:19]
	v_cmp_le_i64_e64 s[16:17], s[38:39], v[58:59]
	s_or_b64 s[18:19], s[18:19], s[22:23]
	s_nor_b64 s[18:19], s[16:17], s[18:19]
	v_lshl_add_u64 v[58:59], v[54:55], 0, v[44:45]
	s_and_saveexec_b64 s[48:49], s[18:19]
	s_xor_b64 s[18:19], exec, s[48:49]
	s_cbranch_execz .LBB52_13
; %bb.12:                               ;   in Loop: Header=BB52_7 Depth=2
	global_load_dwordx2 v[68:69], v[58:59], off
	s_waitcnt vmcnt(0)
	ds_write_b64 v61, v[68:69] offset:128
.LBB52_13:                              ;   in Loop: Header=BB52_7 Depth=2
	s_andn2_saveexec_b64 s[18:19], s[18:19]
	s_cbranch_execz .LBB52_19
; %bb.14:                               ;   in Loop: Header=BB52_7 Depth=2
	s_xor_b64 s[22:23], s[22:23], -1
	s_and_saveexec_b64 s[48:49], s[22:23]
	s_xor_b64 s[22:23], exec, s[48:49]
; %bb.15:                               ;   in Loop: Header=BB52_7 Depth=2
	ds_write_b64 v61, v[30:31] offset:128
; %bb.16:                               ;   in Loop: Header=BB52_7 Depth=2
	s_andn2_saveexec_b64 s[22:23], s[22:23]
; %bb.17:                               ;   in Loop: Header=BB52_7 Depth=2
	ds_write_b64 v61, v[28:29] offset:128
; %bb.18:                               ;   in Loop: Header=BB52_7 Depth=2
	s_or_b64 exec, exec, s[22:23]
.LBB52_19:                              ;   in Loop: Header=BB52_7 Depth=2
	s_or_b64 exec, exec, s[18:19]
	v_cmp_eq_u64_e64 s[18:19], s[24:25], v[48:49]
	v_cmp_gt_i64_e64 s[22:23], v[2:3], v[46:47]
	s_and_b64 s[18:19], s[28:29], s[18:19]
	s_or_b64 s[22:23], s[8:9], s[22:23]
	s_or_b64 s[22:23], s[22:23], s[18:19]
	s_nor_b64 s[14:15], s[14:15], s[22:23]
                                        ; implicit-def: $vgpr2_vgpr3
	s_and_saveexec_b64 s[22:23], s[14:15]
	s_xor_b64 s[14:15], exec, s[22:23]
	s_cbranch_execz .LBB52_21
; %bb.20:                               ;   in Loop: Header=BB52_7 Depth=2
	global_load_dwordx2 v[2:3], v[0:1], off offset:128
.LBB52_21:                              ;   in Loop: Header=BB52_7 Depth=2
	s_andn2_saveexec_b64 s[14:15], s[14:15]
	s_cbranch_execz .LBB52_23
; %bb.22:                               ;   in Loop: Header=BB52_7 Depth=2
	v_cndmask_b32_e64 v9, 0, v29, s[18:19]
	s_waitcnt vmcnt(0)
	v_mov_b64_e32 v[2:3], v[8:9]
.LBB52_23:                              ;   in Loop: Header=BB52_7 Depth=2
	s_or_b64 exec, exec, s[14:15]
	s_or_b64 s[12:13], s[8:9], s[12:13]
	s_or_b64 s[12:13], s[12:13], s[10:11]
	s_nor_b64 s[12:13], s[16:17], s[12:13]
	s_waitcnt vmcnt(0)
	ds_write_b64 v61, v[2:3] offset:4096
	s_and_saveexec_b64 s[14:15], s[12:13]
	s_xor_b64 s[12:13], exec, s[14:15]
	s_cbranch_execz .LBB52_25
; %bb.24:                               ;   in Loop: Header=BB52_7 Depth=2
	global_load_dwordx2 v[0:1], v[58:59], off offset:128
	s_waitcnt vmcnt(0)
	ds_write_b64 v61, v[0:1] offset:4224
.LBB52_25:                              ;   in Loop: Header=BB52_7 Depth=2
	s_andn2_saveexec_b64 s[12:13], s[12:13]
	s_cbranch_execz .LBB52_31
; %bb.26:                               ;   in Loop: Header=BB52_7 Depth=2
	s_xor_b64 s[10:11], s[10:11], -1
	s_and_saveexec_b64 s[14:15], s[10:11]
	s_xor_b64 s[10:11], exec, s[14:15]
; %bb.27:                               ;   in Loop: Header=BB52_7 Depth=2
	ds_write_b64 v61, v[30:31] offset:4224
; %bb.28:                               ;   in Loop: Header=BB52_7 Depth=2
	s_andn2_saveexec_b64 s[10:11], s[10:11]
; %bb.29:                               ;   in Loop: Header=BB52_7 Depth=2
	ds_write_b64 v61, v[28:29] offset:4224
; %bb.30:                               ;   in Loop: Header=BB52_7 Depth=2
	s_or_b64 exec, exec, s[10:11]
.LBB52_31:                              ;   in Loop: Header=BB52_7 Depth=2
	s_or_b64 exec, exec, s[12:13]
	v_lshl_add_u64 v[0:1], v[4:5], 0, s[24:25]
	v_cmp_le_i64_e64 s[10:11], s[38:39], v[0:1]
	v_lshl_add_u64 v[2:3], v[56:57], 0, v[22:23]
	s_nor_b64 s[14:15], s[10:11], vcc
	v_mov_b64_e32 v[58:59], 0
	s_and_saveexec_b64 s[12:13], s[14:15]
	s_cbranch_execz .LBB52_33
; %bb.32:                               ;   in Loop: Header=BB52_7 Depth=2
	global_load_dwordx2 v[58:59], v[2:3], off offset:-128
.LBB52_33:                              ;   in Loop: Header=BB52_7 Depth=2
	s_or_b64 exec, exec, s[12:13]
	s_nor_b64 s[10:11], s[10:11], s[0:1]
	s_waitcnt vmcnt(0)
	ds_write_b64 v63, v[58:59]
	s_and_saveexec_b64 s[12:13], s[10:11]
	s_xor_b64 s[10:11], exec, s[12:13]
	s_cbranch_execz .LBB52_35
; %bb.34:                               ;   in Loop: Header=BB52_7 Depth=2
	global_load_dwordx2 v[2:3], v[2:3], off
	s_waitcnt vmcnt(0)
	ds_write_b64 v63, v[2:3] offset:128
.LBB52_35:                              ;   in Loop: Header=BB52_7 Depth=2
	s_andn2_saveexec_b64 s[10:11], s[10:11]
; %bb.36:                               ;   in Loop: Header=BB52_7 Depth=2
	ds_write_b64 v63, v[30:31] offset:128
; %bb.37:                               ;   in Loop: Header=BB52_7 Depth=2
	s_or_b64 exec, exec, s[10:11]
	v_cmp_le_i64_e64 s[10:11], s[44:45], v[0:1]
	v_lshl_add_u64 v[0:1], v[56:57], 0, v[26:27]
	s_nor_b64 s[14:15], s[10:11], vcc
	v_mov_b64_e32 v[2:3], 0
	s_and_saveexec_b64 s[12:13], s[14:15]
	s_cbranch_execz .LBB52_39
; %bb.38:                               ;   in Loop: Header=BB52_7 Depth=2
	global_load_dwordx2 v[2:3], v[0:1], off
.LBB52_39:                              ;   in Loop: Header=BB52_7 Depth=2
	s_or_b64 exec, exec, s[12:13]
	s_nor_b64 s[10:11], s[10:11], s[0:1]
	s_waitcnt vmcnt(0)
	ds_write_b64 v63, v[2:3] offset:4096
	s_and_saveexec_b64 s[12:13], s[10:11]
	s_xor_b64 s[10:11], exec, s[12:13]
	s_cbranch_execz .LBB52_41
; %bb.40:                               ;   in Loop: Header=BB52_7 Depth=2
	global_load_dwordx2 v[0:1], v[0:1], off offset:128
	s_waitcnt vmcnt(0)
	ds_write_b64 v63, v[0:1] offset:4224
.LBB52_41:                              ;   in Loop: Header=BB52_7 Depth=2
	s_andn2_saveexec_b64 s[10:11], s[10:11]
	s_cbranch_execz .LBB52_6
; %bb.42:                               ;   in Loop: Header=BB52_7 Depth=2
	ds_write_b64 v63, v[30:31] offset:4224
	s_branch .LBB52_6
.LBB52_43:                              ;   in Loop: Header=BB52_4 Depth=1
	v_mul_lo_u32 v2, s41, v34
	v_mul_lo_u32 v3, s40, v35
	v_mad_u64_u32 v[0:1], s[8:9], s40, v34, 0
	v_cmp_gt_i32_e64 s[6:7], s38, v34
	v_add3_u32 v1, v1, v3, v2
	v_lshl_add_u64 v[0:1], v[0:1], 3, s[26:27]
	s_and_b64 s[10:11], s[20:21], s[6:7]
	s_and_saveexec_b64 s[8:9], s[10:11]
	s_cbranch_execz .LBB52_45
; %bb.44:                               ;   in Loop: Header=BB52_4 Depth=1
	v_lshl_add_u64 v[2:3], v[10:11], 3, v[0:1]
	global_load_dwordx2 v[42:43], v[2:3], off
	s_waitcnt vmcnt(0)
	v_fmac_f64_e32 v[42:43], s[34:35], v[40:41]
	global_store_dwordx2 v[2:3], v[42:43], off
.LBB52_45:                              ;   in Loop: Header=BB52_4 Depth=1
	s_or_b64 exec, exec, s[8:9]
	s_and_b64 s[8:9], s[4:5], s[6:7]
	s_and_saveexec_b64 s[6:7], s[8:9]
	s_cbranch_execz .LBB52_47
; %bb.46:                               ;   in Loop: Header=BB52_4 Depth=1
	v_lshl_add_u64 v[0:1], v[16:17], 3, v[0:1]
	global_load_dwordx2 v[2:3], v[0:1], off
	s_waitcnt vmcnt(0)
	v_fmac_f64_e32 v[2:3], s[34:35], v[38:39]
	global_store_dwordx2 v[0:1], v[2:3], off
.LBB52_47:                              ;   in Loop: Header=BB52_4 Depth=1
	s_or_b64 exec, exec, s[6:7]
	v_add_u32_e32 v0, 16, v34
	v_ashrrev_i32_e32 v1, 31, v0
	v_cmp_gt_i32_e64 s[6:7], s38, v0
	v_mul_lo_u32 v2, s40, v1
	v_mul_lo_u32 v3, s41, v0
	v_mad_u64_u32 v[0:1], s[8:9], s40, v0, 0
	v_add3_u32 v1, v1, v2, v3
	v_lshl_add_u64 v[0:1], v[0:1], 3, s[26:27]
	s_and_b64 s[10:11], s[20:21], s[6:7]
	s_and_saveexec_b64 s[8:9], s[10:11]
	s_cbranch_execz .LBB52_49
; %bb.48:                               ;   in Loop: Header=BB52_4 Depth=1
	v_lshl_add_u64 v[2:3], v[10:11], 3, v[0:1]
	global_load_dwordx2 v[34:35], v[2:3], off
	s_waitcnt vmcnt(0)
	v_fmac_f64_e32 v[34:35], s[34:35], v[36:37]
	global_store_dwordx2 v[2:3], v[34:35], off
.LBB52_49:                              ;   in Loop: Header=BB52_4 Depth=1
	s_or_b64 exec, exec, s[8:9]
	s_and_b64 s[8:9], s[4:5], s[6:7]
	s_and_saveexec_b64 s[6:7], s[8:9]
	s_cbranch_execz .LBB52_3
; %bb.50:                               ;   in Loop: Header=BB52_4 Depth=1
	v_lshl_add_u64 v[0:1], v[16:17], 3, v[0:1]
	global_load_dwordx2 v[2:3], v[0:1], off
	s_waitcnt vmcnt(0)
	v_fmac_f64_e32 v[2:3], s[34:35], v[32:33]
	global_store_dwordx2 v[0:1], v[2:3], off
	s_branch .LBB52_3
.LBB52_51:
	s_endpgm
	.section	.rodata,"a",@progbits
	.p2align	6, 0x0
	.amdhsa_kernel _ZL30rocblas_trmm_outofplace_kernelIdLi32ELi2ELb0ELb0ELb1ELb0EPKdS0_dEv17rocblas_diagonal_iiT6_lPT7_lllS5_lllPT8_llli
		.amdhsa_group_segment_fixed_size 16384
		.amdhsa_private_segment_fixed_size 0
		.amdhsa_kernarg_size 392
		.amdhsa_user_sgpr_count 2
		.amdhsa_user_sgpr_dispatch_ptr 0
		.amdhsa_user_sgpr_queue_ptr 0
		.amdhsa_user_sgpr_kernarg_segment_ptr 1
		.amdhsa_user_sgpr_dispatch_id 0
		.amdhsa_user_sgpr_kernarg_preload_length 0
		.amdhsa_user_sgpr_kernarg_preload_offset 0
		.amdhsa_user_sgpr_private_segment_size 0
		.amdhsa_uses_dynamic_stack 0
		.amdhsa_enable_private_segment 0
		.amdhsa_system_sgpr_workgroup_id_x 1
		.amdhsa_system_sgpr_workgroup_id_y 1
		.amdhsa_system_sgpr_workgroup_id_z 1
		.amdhsa_system_sgpr_workgroup_info 0
		.amdhsa_system_vgpr_workitem_id 1
		.amdhsa_next_free_vgpr 96
		.amdhsa_next_free_sgpr 50
		.amdhsa_accum_offset 96
		.amdhsa_reserve_vcc 1
		.amdhsa_float_round_mode_32 0
		.amdhsa_float_round_mode_16_64 0
		.amdhsa_float_denorm_mode_32 3
		.amdhsa_float_denorm_mode_16_64 3
		.amdhsa_dx10_clamp 1
		.amdhsa_ieee_mode 1
		.amdhsa_fp16_overflow 0
		.amdhsa_tg_split 0
		.amdhsa_exception_fp_ieee_invalid_op 0
		.amdhsa_exception_fp_denorm_src 0
		.amdhsa_exception_fp_ieee_div_zero 0
		.amdhsa_exception_fp_ieee_overflow 0
		.amdhsa_exception_fp_ieee_underflow 0
		.amdhsa_exception_fp_ieee_inexact 0
		.amdhsa_exception_int_div_zero 0
	.end_amdhsa_kernel
	.section	.text._ZL30rocblas_trmm_outofplace_kernelIdLi32ELi2ELb0ELb0ELb1ELb0EPKdS0_dEv17rocblas_diagonal_iiT6_lPT7_lllS5_lllPT8_llli,"axG",@progbits,_ZL30rocblas_trmm_outofplace_kernelIdLi32ELi2ELb0ELb0ELb1ELb0EPKdS0_dEv17rocblas_diagonal_iiT6_lPT7_lllS5_lllPT8_llli,comdat
.Lfunc_end52:
	.size	_ZL30rocblas_trmm_outofplace_kernelIdLi32ELi2ELb0ELb0ELb1ELb0EPKdS0_dEv17rocblas_diagonal_iiT6_lPT7_lllS5_lllPT8_llli, .Lfunc_end52-_ZL30rocblas_trmm_outofplace_kernelIdLi32ELi2ELb0ELb0ELb1ELb0EPKdS0_dEv17rocblas_diagonal_iiT6_lPT7_lllS5_lllPT8_llli
                                        ; -- End function
	.set _ZL30rocblas_trmm_outofplace_kernelIdLi32ELi2ELb0ELb0ELb1ELb0EPKdS0_dEv17rocblas_diagonal_iiT6_lPT7_lllS5_lllPT8_llli.num_vgpr, 96
	.set _ZL30rocblas_trmm_outofplace_kernelIdLi32ELi2ELb0ELb0ELb1ELb0EPKdS0_dEv17rocblas_diagonal_iiT6_lPT7_lllS5_lllPT8_llli.num_agpr, 0
	.set _ZL30rocblas_trmm_outofplace_kernelIdLi32ELi2ELb0ELb0ELb1ELb0EPKdS0_dEv17rocblas_diagonal_iiT6_lPT7_lllS5_lllPT8_llli.numbered_sgpr, 50
	.set _ZL30rocblas_trmm_outofplace_kernelIdLi32ELi2ELb0ELb0ELb1ELb0EPKdS0_dEv17rocblas_diagonal_iiT6_lPT7_lllS5_lllPT8_llli.num_named_barrier, 0
	.set _ZL30rocblas_trmm_outofplace_kernelIdLi32ELi2ELb0ELb0ELb1ELb0EPKdS0_dEv17rocblas_diagonal_iiT6_lPT7_lllS5_lllPT8_llli.private_seg_size, 0
	.set _ZL30rocblas_trmm_outofplace_kernelIdLi32ELi2ELb0ELb0ELb1ELb0EPKdS0_dEv17rocblas_diagonal_iiT6_lPT7_lllS5_lllPT8_llli.uses_vcc, 1
	.set _ZL30rocblas_trmm_outofplace_kernelIdLi32ELi2ELb0ELb0ELb1ELb0EPKdS0_dEv17rocblas_diagonal_iiT6_lPT7_lllS5_lllPT8_llli.uses_flat_scratch, 0
	.set _ZL30rocblas_trmm_outofplace_kernelIdLi32ELi2ELb0ELb0ELb1ELb0EPKdS0_dEv17rocblas_diagonal_iiT6_lPT7_lllS5_lllPT8_llli.has_dyn_sized_stack, 0
	.set _ZL30rocblas_trmm_outofplace_kernelIdLi32ELi2ELb0ELb0ELb1ELb0EPKdS0_dEv17rocblas_diagonal_iiT6_lPT7_lllS5_lllPT8_llli.has_recursion, 0
	.set _ZL30rocblas_trmm_outofplace_kernelIdLi32ELi2ELb0ELb0ELb1ELb0EPKdS0_dEv17rocblas_diagonal_iiT6_lPT7_lllS5_lllPT8_llli.has_indirect_call, 0
	.section	.AMDGPU.csdata,"",@progbits
; Kernel info:
; codeLenInByte = 3016
; TotalNumSgprs: 56
; NumVgprs: 96
; NumAgprs: 0
; TotalNumVgprs: 96
; ScratchSize: 0
; MemoryBound: 0
; FloatMode: 240
; IeeeMode: 1
; LDSByteSize: 16384 bytes/workgroup (compile time only)
; SGPRBlocks: 6
; VGPRBlocks: 11
; NumSGPRsForWavesPerEU: 56
; NumVGPRsForWavesPerEU: 96
; AccumOffset: 96
; Occupancy: 5
; WaveLimiterHint : 0
; COMPUTE_PGM_RSRC2:SCRATCH_EN: 0
; COMPUTE_PGM_RSRC2:USER_SGPR: 2
; COMPUTE_PGM_RSRC2:TRAP_HANDLER: 0
; COMPUTE_PGM_RSRC2:TGID_X_EN: 1
; COMPUTE_PGM_RSRC2:TGID_Y_EN: 1
; COMPUTE_PGM_RSRC2:TGID_Z_EN: 1
; COMPUTE_PGM_RSRC2:TIDIG_COMP_CNT: 1
; COMPUTE_PGM_RSRC3_GFX90A:ACCUM_OFFSET: 23
; COMPUTE_PGM_RSRC3_GFX90A:TG_SPLIT: 0
	.section	.text._ZL30rocblas_trmm_outofplace_kernelIdLi32ELi2ELb0ELb0ELb1ELb0EdKddEv17rocblas_diagonal_iiT6_lPT7_lllS4_lllPT8_llli,"axG",@progbits,_ZL30rocblas_trmm_outofplace_kernelIdLi32ELi2ELb0ELb0ELb1ELb0EdKddEv17rocblas_diagonal_iiT6_lPT7_lllS4_lllPT8_llli,comdat
	.globl	_ZL30rocblas_trmm_outofplace_kernelIdLi32ELi2ELb0ELb0ELb1ELb0EdKddEv17rocblas_diagonal_iiT6_lPT7_lllS4_lllPT8_llli ; -- Begin function _ZL30rocblas_trmm_outofplace_kernelIdLi32ELi2ELb0ELb0ELb1ELb0EdKddEv17rocblas_diagonal_iiT6_lPT7_lllS4_lllPT8_llli
	.p2align	8
	.type	_ZL30rocblas_trmm_outofplace_kernelIdLi32ELi2ELb0ELb0ELb1ELb0EdKddEv17rocblas_diagonal_iiT6_lPT7_lllS4_lllPT8_llli,@function
_ZL30rocblas_trmm_outofplace_kernelIdLi32ELi2ELb0ELb0ELb1ELb0EdKddEv17rocblas_diagonal_iiT6_lPT7_lllS4_lllPT8_llli: ; @_ZL30rocblas_trmm_outofplace_kernelIdLi32ELi2ELb0ELb0ELb1ELb0EdKddEv17rocblas_diagonal_iiT6_lPT7_lllS4_lllPT8_llli
; %bb.0:
	s_load_dwordx2 s[34:35], s[0:1], 0x10
	s_waitcnt lgkmcnt(0)
	v_cmp_eq_f64_e64 s[6:7], s[34:35], 0
	s_and_b64 vcc, exec, s[6:7]
	s_cbranch_vccnz .LBB53_51
; %bb.1:
	s_load_dwordx4 s[28:31], s[0:1], 0x0
	s_waitcnt lgkmcnt(0)
	s_add_i32 s5, s30, -1
	s_ashr_i32 s6, s5, 31
	s_lshr_b32 s6, s6, 27
	s_add_i32 s5, s5, s6
	s_ashr_i32 s33, s5, 5
	s_cmp_gt_i32 s3, s33
	s_cbranch_scc1 .LBB53_51
; %bb.2:
	s_load_dwordx16 s[12:27], s[0:1], 0x20
	s_load_dwordx8 s[36:43], s[0:1], 0x60
	v_and_b32_e32 v6, 0x3ff, v0
	v_bfe_u32 v4, v0, 10, 10
	v_lshl_add_u32 v10, s2, 5, v6
	s_waitcnt lgkmcnt(0)
	s_mul_i32 s5, s19, s4
	s_mul_hi_u32 s7, s18, s4
	s_mul_i32 s6, s18, s4
	s_add_i32 s7, s7, s5
	s_lshl_b64 s[8:9], s[6:7], 3
	s_add_u32 s5, s12, s8
	s_addc_u32 s7, s13, s9
	s_lshl_b64 s[10:11], s[14:15], 3
	s_add_u32 s6, s5, s10
	s_mul_i32 s5, s27, s4
	s_mul_hi_u32 s14, s26, s4
	s_addc_u32 s7, s7, s11
	s_add_i32 s15, s14, s5
	s_mul_i32 s14, s26, s4
	s_lshl_b64 s[14:15], s[14:15], 3
	s_add_u32 s5, s20, s14
	s_addc_u32 s18, s21, s15
	s_lshl_b64 s[14:15], s[22:23], 3
	s_add_u32 s14, s5, s14
	s_addc_u32 s15, s18, s15
	s_mul_i32 s5, s43, s4
	s_mul_hi_u32 s18, s42, s4
	s_add_i32 s5, s18, s5
	s_mul_i32 s4, s42, s4
	s_lshl_b64 s[4:5], s[4:5], 3
	s_add_u32 s18, s36, s4
	s_addc_u32 s19, s37, s5
	s_lshl_b64 s[4:5], s[38:39], 3
	s_add_u32 s26, s18, s4
	s_addc_u32 s27, s19, s5
	v_mad_u64_u32 v[0:1], s[4:5], s16, v6, 0
	v_mov_b32_e32 v2, v1
	v_mad_u64_u32 v[2:3], s[4:5], s17, v6, v[2:3]
	s_cmpk_eq_i32 s28, 0x84
	v_mov_b32_e32 v1, v2
	s_cselect_b64 s[36:37], -1, 0
	s_ashr_i32 s2, s29, 31
	v_lshl_add_u64 v[12:13], v[0:1], 3, s[6:7]
	v_mov_b32_e32 v1, s2
	s_load_dword s2, s[0:1], 0x8c
	v_ashrrev_i32_e32 v11, 31, v10
	v_sub_co_u32_e32 v0, vcc, s29, v10
	v_sub_co_u32_e64 v18, s[6:7], 0, v6
	s_nop 0
	v_subb_co_u32_e32 v1, vcc, v1, v11, vcc
	s_ashr_i32 s31, s30, 31
	s_lshl_b64 s[38:39], s[16:17], 8
	s_lshl_b64 s[42:43], s[24:25], 8
	v_cmp_gt_i64_e32 vcc, 1, v[0:1]
	v_cmp_gt_i64_e64 s[0:1], 17, v[0:1]
	v_subb_co_u32_e64 v19, s[6:7], 0, 0, s[6:7]
	v_mad_u64_u32 v[0:1], s[6:7], s24, v4, 0
	s_add_u32 s44, s30, -16
	v_mov_b32_e32 v2, v1
	s_addc_u32 s45, s31, -1
	s_waitcnt lgkmcnt(0)
	s_lshl_b32 s28, s2, 5
	v_mad_u64_u32 v[2:3], s[6:7], s25, v4, v[2:3]
	s_add_u32 s6, s12, s10
	s_addc_u32 s7, s13, s11
	s_add_u32 s6, s6, s8
	v_lshlrev_b32_e32 v9, 3, v6
	v_mov_b32_e32 v1, v2
	v_mov_b64_e32 v[2:3], 0x80
	s_addc_u32 s7, s7, s9
	v_lshl_add_u64 v[22:23], v[0:1], 3, v[2:3]
	v_add_u32_e32 v2, 0x80, v9
	v_mov_b64_e32 v[0:1], s[6:7]
	v_mad_u64_u32 v[24:25], s[6:7], s16, v2, v[0:1]
	v_mov_b32_e32 v0, v25
	v_mad_u64_u32 v[0:1], s[6:7], s17, v2, v[0:1]
	v_mov_b32_e32 v25, v0
	v_mov_b32_e32 v0, 0x80
	v_lshl_add_u32 v1, v4, 3, v0
	v_mad_u64_u32 v[26:27], s[6:7], s24, v1, 0
	v_mov_b32_e32 v0, v27
	v_mov_b32_e32 v8, 0
	v_lshlrev_b32_e32 v60, 8, v4
	v_or_b32_e32 v62, 0x2000, v9
	v_add_u32_e32 v16, 16, v10
	v_mad_u64_u32 v[0:1], s[6:7], s25, v1, v[0:1]
	v_mov_b32_e32 v7, v8
	v_mov_b32_e32 v5, v8
	v_lshl_add_u64 v[14:15], v[10:11], 3, s[14:15]
	v_add_u32_e32 v61, v60, v9
	v_add_u32_e32 v63, v62, v60
	v_cmp_gt_i32_e64 s[20:21], s29, v10
	v_cmp_gt_i32_e64 s[4:5], s29, v16
	v_ashrrev_i32_e32 v17, 31, v16
	v_lshl_add_u32 v20, s3, 5, v4
	v_mov_b32_e32 v27, v0
	v_mov_b32_e32 v29, 0x3ff00000
	;; [unrolled: 1-line block ×5, first 2 shown]
	v_add_u32_e32 v64, 0x800, v62
	v_add_u32_e32 v65, 0x1000, v62
	;; [unrolled: 1-line block ×3, first 2 shown]
	s_branch .LBB53_4
.LBB53_3:                               ;   in Loop: Header=BB53_4 Depth=1
	s_or_b64 exec, exec, s[6:7]
	s_add_i32 s3, s2, s3
	s_cmp_le_i32 s3, s33
	v_add_u32_e32 v20, s28, v20
	s_cbranch_scc0 .LBB53_51
.LBB53_4:                               ; =>This Loop Header: Depth=1
                                        ;     Child Loop BB53_7 Depth 2
	s_lshl_b32 s29, s3, 5
	v_add_u32_e32 v34, s29, v4
	v_ashrrev_i32_e32 v35, 31, v34
	v_mov_b64_e32 v[40:41], 0
	s_cmp_lt_i32 s3, 0
	v_mov_b64_e32 v[38:39], 0
	v_mov_b64_e32 v[36:37], 0
	;; [unrolled: 1-line block ×3, first 2 shown]
	s_cbranch_scc1 .LBB53_43
; %bb.5:                                ;   in Loop: Header=BB53_4 Depth=1
	v_ashrrev_i32_e32 v21, 31, v20
	v_lshl_add_u64 v[42:43], v[18:19], 0, v[20:21]
	v_lshl_add_u64 v[46:47], v[34:35], 0, 16
	v_lshlrev_b64 v[44:45], 3, v[20:21]
	v_cmp_le_i32_e64 s[6:7], s30, v34
	v_cmp_le_i64_e64 s[8:9], s[30:31], v[46:47]
	v_lshl_add_u64 v[48:49], v[42:43], 0, 16
	v_lshl_add_u64 v[50:51], v[42:43], 0, -16
	v_mov_b64_e32 v[32:33], 0
	s_mov_b64 s[24:25], 0
	v_mov_b64_e32 v[52:53], v[12:13]
	v_mov_b64_e32 v[54:55], v[24:25]
	;; [unrolled: 1-line block ×6, first 2 shown]
	s_branch .LBB53_7
.LBB53_6:                               ;   in Loop: Header=BB53_7 Depth=2
	s_or_b64 exec, exec, s[10:11]
	s_waitcnt lgkmcnt(0)
	s_barrier
	ds_read2_b64 v[68:71], v62 offset1:16
	ds_read_b128 v[72:75], v60
	ds_read_b128 v[76:79], v60 offset:16
	ds_read_b128 v[80:83], v60 offset:32
	;; [unrolled: 1-line block ×4, first 2 shown]
	ds_read2_b64 v[88:91], v62 offset0:32 offset1:48
	s_waitcnt lgkmcnt(5)
	v_fmac_f64_e32 v[40:41], v[68:69], v[72:73]
	v_fmac_f64_e32 v[38:39], v[70:71], v[72:73]
	ds_read_b128 v[92:95], v60 offset:4112
	s_waitcnt lgkmcnt(2)
	v_fmac_f64_e32 v[36:37], v[68:69], v[84:85]
	v_fmac_f64_e32 v[32:33], v[70:71], v[84:85]
	ds_read2_b64 v[68:71], v62 offset0:64 offset1:80
	s_waitcnt lgkmcnt(2)
	v_fmac_f64_e32 v[40:41], v[88:89], v[74:75]
	v_fmac_f64_e32 v[38:39], v[90:91], v[74:75]
	ds_read2_b64 v[72:75], v62 offset0:96 offset1:112
	v_fmac_f64_e32 v[36:37], v[88:89], v[86:87]
	v_fmac_f64_e32 v[32:33], v[90:91], v[86:87]
	s_waitcnt lgkmcnt(1)
	v_fmac_f64_e32 v[40:41], v[68:69], v[76:77]
	v_fmac_f64_e32 v[38:39], v[70:71], v[76:77]
	ds_read_b128 v[84:87], v60 offset:4144
	v_fmac_f64_e32 v[36:37], v[68:69], v[92:93]
	v_fmac_f64_e32 v[32:33], v[70:71], v[92:93]
	s_waitcnt lgkmcnt(1)
	v_fmac_f64_e32 v[40:41], v[72:73], v[78:79]
	ds_read2_b64 v[68:71], v62 offset0:128 offset1:144
	v_fmac_f64_e32 v[38:39], v[74:75], v[78:79]
	v_fmac_f64_e32 v[36:37], v[72:73], v[94:95]
	;; [unrolled: 1-line block ×3, first 2 shown]
	ds_read_b128 v[72:75], v60 offset:4128
	ds_read2_b64 v[76:79], v62 offset0:160 offset1:176
	s_waitcnt lgkmcnt(2)
	v_fmac_f64_e32 v[40:41], v[68:69], v[80:81]
	v_fmac_f64_e32 v[38:39], v[70:71], v[80:81]
	s_add_u32 s24, s24, 32
	s_waitcnt lgkmcnt(1)
	v_fmac_f64_e32 v[36:37], v[68:69], v[72:73]
	v_fmac_f64_e32 v[32:33], v[70:71], v[72:73]
	ds_read2_b64 v[68:71], v62 offset0:192 offset1:208
	s_waitcnt lgkmcnt(1)
	v_fmac_f64_e32 v[36:37], v[76:77], v[74:75]
	v_fmac_f64_e32 v[32:33], v[78:79], v[74:75]
	ds_read2_b64 v[72:75], v62 offset0:224 offset1:240
	v_fmac_f64_e32 v[40:41], v[76:77], v[82:83]
	v_fmac_f64_e32 v[38:39], v[78:79], v[82:83]
	s_waitcnt lgkmcnt(1)
	v_fmac_f64_e32 v[40:41], v[68:69], v[0:1]
	v_fmac_f64_e32 v[38:39], v[70:71], v[0:1]
	;; [unrolled: 1-line block ×4, first 2 shown]
	s_waitcnt lgkmcnt(0)
	v_fmac_f64_e32 v[40:41], v[72:73], v[2:3]
	v_fmac_f64_e32 v[38:39], v[74:75], v[2:3]
	ds_read_b128 v[0:3], v60 offset:64
	ds_read2_b64 v[68:71], v64 offset1:16
	v_fmac_f64_e32 v[36:37], v[72:73], v[86:87]
	v_fmac_f64_e32 v[32:33], v[74:75], v[86:87]
	ds_read_b128 v[72:75], v60 offset:4160
	ds_read_b128 v[76:79], v60 offset:80
	ds_read2_b64 v[80:83], v64 offset0:32 offset1:48
	s_waitcnt lgkmcnt(3)
	v_fmac_f64_e32 v[40:41], v[68:69], v[0:1]
	v_fmac_f64_e32 v[38:39], v[70:71], v[0:1]
	ds_read_b128 v[84:87], v60 offset:4176
	s_waitcnt lgkmcnt(3)
	v_fmac_f64_e32 v[36:37], v[68:69], v[72:73]
	v_fmac_f64_e32 v[32:33], v[70:71], v[72:73]
	ds_read2_b64 v[68:71], v64 offset0:64 offset1:80
	s_waitcnt lgkmcnt(2)
	v_fmac_f64_e32 v[40:41], v[80:81], v[2:3]
	v_fmac_f64_e32 v[38:39], v[82:83], v[2:3]
	ds_read2_b64 v[0:3], v64 offset0:96 offset1:112
	v_fmac_f64_e32 v[36:37], v[80:81], v[74:75]
	v_fmac_f64_e32 v[32:33], v[82:83], v[74:75]
	s_waitcnt lgkmcnt(1)
	v_fmac_f64_e32 v[40:41], v[68:69], v[76:77]
	v_fmac_f64_e32 v[38:39], v[70:71], v[76:77]
	;; [unrolled: 1-line block ×4, first 2 shown]
	ds_read_b128 v[68:71], v60 offset:96
	ds_read2_b64 v[72:75], v64 offset0:128 offset1:144
	s_waitcnt lgkmcnt(2)
	v_fmac_f64_e32 v[40:41], v[0:1], v[78:79]
	v_fmac_f64_e32 v[38:39], v[2:3], v[78:79]
	;; [unrolled: 1-line block ×4, first 2 shown]
	ds_read_b128 v[0:3], v60 offset:4192
	ds_read_b128 v[76:79], v60 offset:112
	ds_read2_b64 v[80:83], v64 offset0:160 offset1:176
	s_waitcnt lgkmcnt(3)
	v_fmac_f64_e32 v[40:41], v[72:73], v[68:69]
	v_fmac_f64_e32 v[38:39], v[74:75], v[68:69]
	ds_read_b128 v[84:87], v60 offset:4208
	s_waitcnt lgkmcnt(3)
	v_fmac_f64_e32 v[36:37], v[72:73], v[0:1]
	v_fmac_f64_e32 v[32:33], v[74:75], v[0:1]
	ds_read2_b64 v[72:75], v64 offset0:192 offset1:208
	s_waitcnt lgkmcnt(2)
	v_fmac_f64_e32 v[36:37], v[80:81], v[2:3]
	v_fmac_f64_e32 v[32:33], v[82:83], v[2:3]
	ds_read2_b64 v[0:3], v64 offset0:224 offset1:240
	v_fmac_f64_e32 v[40:41], v[80:81], v[70:71]
	v_fmac_f64_e32 v[38:39], v[82:83], v[70:71]
	s_waitcnt lgkmcnt(1)
	v_fmac_f64_e32 v[40:41], v[72:73], v[76:77]
	v_fmac_f64_e32 v[38:39], v[74:75], v[76:77]
	v_fmac_f64_e32 v[36:37], v[72:73], v[84:85]
	v_fmac_f64_e32 v[32:33], v[74:75], v[84:85]
	ds_read_b128 v[68:71], v60 offset:128
	ds_read2_b64 v[72:75], v65 offset1:16
	s_waitcnt lgkmcnt(2)
	v_fmac_f64_e32 v[40:41], v[0:1], v[78:79]
	v_fmac_f64_e32 v[38:39], v[2:3], v[78:79]
	;; [unrolled: 1-line block ×4, first 2 shown]
	ds_read_b128 v[0:3], v60 offset:4224
	ds_read_b128 v[76:79], v60 offset:144
	ds_read2_b64 v[80:83], v65 offset0:32 offset1:48
	s_waitcnt lgkmcnt(3)
	v_fmac_f64_e32 v[40:41], v[72:73], v[68:69]
	v_fmac_f64_e32 v[38:39], v[74:75], v[68:69]
	ds_read_b128 v[84:87], v60 offset:4240
	s_waitcnt lgkmcnt(3)
	v_fmac_f64_e32 v[36:37], v[72:73], v[0:1]
	v_fmac_f64_e32 v[32:33], v[74:75], v[0:1]
	ds_read2_b64 v[72:75], v65 offset0:64 offset1:80
	s_waitcnt lgkmcnt(2)
	v_fmac_f64_e32 v[36:37], v[80:81], v[2:3]
	v_fmac_f64_e32 v[32:33], v[82:83], v[2:3]
	ds_read2_b64 v[0:3], v65 offset0:96 offset1:112
	v_fmac_f64_e32 v[40:41], v[80:81], v[70:71]
	v_fmac_f64_e32 v[38:39], v[82:83], v[70:71]
	s_waitcnt lgkmcnt(1)
	v_fmac_f64_e32 v[40:41], v[72:73], v[76:77]
	v_fmac_f64_e32 v[38:39], v[74:75], v[76:77]
	;; [unrolled: 1-line block ×4, first 2 shown]
	ds_read_b128 v[68:71], v60 offset:160
	ds_read2_b64 v[72:75], v65 offset0:128 offset1:144
	s_waitcnt lgkmcnt(2)
	v_fmac_f64_e32 v[40:41], v[0:1], v[78:79]
	v_fmac_f64_e32 v[38:39], v[2:3], v[78:79]
	v_fmac_f64_e32 v[36:37], v[0:1], v[86:87]
	v_fmac_f64_e32 v[32:33], v[2:3], v[86:87]
	ds_read_b128 v[0:3], v60 offset:4256
	ds_read_b128 v[76:79], v60 offset:176
	ds_read2_b64 v[80:83], v65 offset0:160 offset1:176
	s_waitcnt lgkmcnt(3)
	v_fmac_f64_e32 v[40:41], v[72:73], v[68:69]
	v_fmac_f64_e32 v[38:39], v[74:75], v[68:69]
	ds_read_b128 v[84:87], v60 offset:4272
	s_waitcnt lgkmcnt(3)
	v_fmac_f64_e32 v[36:37], v[72:73], v[0:1]
	v_fmac_f64_e32 v[32:33], v[74:75], v[0:1]
	ds_read2_b64 v[72:75], v65 offset0:192 offset1:208
	s_waitcnt lgkmcnt(2)
	v_fmac_f64_e32 v[36:37], v[80:81], v[2:3]
	v_fmac_f64_e32 v[32:33], v[82:83], v[2:3]
	ds_read2_b64 v[0:3], v65 offset0:224 offset1:240
	v_fmac_f64_e32 v[40:41], v[80:81], v[70:71]
	v_fmac_f64_e32 v[38:39], v[82:83], v[70:71]
	s_waitcnt lgkmcnt(1)
	v_fmac_f64_e32 v[40:41], v[72:73], v[76:77]
	v_fmac_f64_e32 v[38:39], v[74:75], v[76:77]
	;; [unrolled: 1-line block ×4, first 2 shown]
	ds_read_b128 v[68:71], v60 offset:192
	ds_read2_b64 v[72:75], v66 offset1:16
	s_waitcnt lgkmcnt(2)
	v_fmac_f64_e32 v[40:41], v[0:1], v[78:79]
	v_fmac_f64_e32 v[38:39], v[2:3], v[78:79]
	;; [unrolled: 1-line block ×4, first 2 shown]
	ds_read_b128 v[0:3], v60 offset:4288
	ds_read_b128 v[76:79], v60 offset:208
	ds_read2_b64 v[80:83], v66 offset0:32 offset1:48
	s_waitcnt lgkmcnt(3)
	v_fmac_f64_e32 v[40:41], v[72:73], v[68:69]
	v_fmac_f64_e32 v[38:39], v[74:75], v[68:69]
	ds_read_b128 v[84:87], v60 offset:4304
	s_waitcnt lgkmcnt(3)
	v_fmac_f64_e32 v[36:37], v[72:73], v[0:1]
	v_fmac_f64_e32 v[32:33], v[74:75], v[0:1]
	ds_read2_b64 v[72:75], v66 offset0:64 offset1:80
	s_waitcnt lgkmcnt(2)
	v_fmac_f64_e32 v[36:37], v[80:81], v[2:3]
	v_fmac_f64_e32 v[32:33], v[82:83], v[2:3]
	ds_read2_b64 v[0:3], v66 offset0:96 offset1:112
	v_fmac_f64_e32 v[40:41], v[80:81], v[70:71]
	v_fmac_f64_e32 v[38:39], v[82:83], v[70:71]
	s_waitcnt lgkmcnt(1)
	v_fmac_f64_e32 v[40:41], v[72:73], v[76:77]
	v_fmac_f64_e32 v[38:39], v[74:75], v[76:77]
	;; [unrolled: 1-line block ×4, first 2 shown]
	ds_read_b128 v[68:71], v60 offset:224
	ds_read2_b64 v[72:75], v66 offset0:128 offset1:144
	s_waitcnt lgkmcnt(2)
	v_fmac_f64_e32 v[40:41], v[0:1], v[78:79]
	v_fmac_f64_e32 v[38:39], v[2:3], v[78:79]
	;; [unrolled: 1-line block ×4, first 2 shown]
	ds_read_b128 v[0:3], v60 offset:4320
	ds_read_b128 v[76:79], v60 offset:240
	ds_read2_b64 v[80:83], v66 offset0:160 offset1:176
	s_waitcnt lgkmcnt(3)
	v_fmac_f64_e32 v[40:41], v[72:73], v[68:69]
	v_fmac_f64_e32 v[38:39], v[74:75], v[68:69]
	ds_read_b128 v[84:87], v60 offset:4336
	s_waitcnt lgkmcnt(3)
	v_fmac_f64_e32 v[36:37], v[72:73], v[0:1]
	v_fmac_f64_e32 v[32:33], v[74:75], v[0:1]
	ds_read2_b64 v[72:75], v66 offset0:192 offset1:208
	s_waitcnt lgkmcnt(2)
	v_fmac_f64_e32 v[36:37], v[80:81], v[2:3]
	v_fmac_f64_e32 v[32:33], v[82:83], v[2:3]
	ds_read2_b64 v[0:3], v66 offset0:224 offset1:240
	v_fmac_f64_e32 v[40:41], v[80:81], v[70:71]
	v_fmac_f64_e32 v[38:39], v[82:83], v[70:71]
	s_waitcnt lgkmcnt(1)
	v_fmac_f64_e32 v[40:41], v[72:73], v[76:77]
	v_fmac_f64_e32 v[38:39], v[74:75], v[76:77]
	;; [unrolled: 1-line block ×4, first 2 shown]
	s_addc_u32 s25, s25, 0
	s_sub_i32 s10, s24, 32
	s_waitcnt lgkmcnt(0)
	v_fmac_f64_e32 v[40:41], v[0:1], v[78:79]
	v_fmac_f64_e32 v[38:39], v[2:3], v[78:79]
	;; [unrolled: 1-line block ×4, first 2 shown]
	v_lshl_add_u64 v[56:57], v[56:57], 0, s[42:43]
	v_lshl_add_u64 v[54:55], v[54:55], 0, s[38:39]
	s_cmp_ge_i32 s10, s29
	v_lshl_add_u64 v[52:53], v[52:53], 0, s[38:39]
	s_barrier
	s_cbranch_scc1 .LBB53_43
.LBB53_7:                               ;   Parent Loop BB53_4 Depth=1
                                        ; =>  This Inner Loop Header: Depth=2
	v_lshl_add_u64 v[2:3], v[6:7], 0, s[24:25]
	v_cmp_eq_u64_e64 s[10:11], s[24:25], v[42:43]
	v_cmp_gt_i64_e64 s[12:13], v[2:3], v[34:35]
	s_and_b64 s[10:11], s[36:37], s[10:11]
	s_or_b64 s[16:17], s[6:7], s[12:13]
	v_cmp_le_i64_e64 s[14:15], s[30:31], v[2:3]
	s_or_b64 s[16:17], s[16:17], s[10:11]
	v_lshl_add_u64 v[0:1], v[52:53], 0, v[44:45]
	s_nor_b64 s[16:17], s[14:15], s[16:17]
                                        ; implicit-def: $vgpr58_vgpr59
	s_and_saveexec_b64 s[18:19], s[16:17]
	s_xor_b64 s[16:17], exec, s[18:19]
	s_cbranch_execz .LBB53_9
; %bb.8:                                ;   in Loop: Header=BB53_7 Depth=2
	global_load_dwordx2 v[58:59], v[0:1], off
.LBB53_9:                               ;   in Loop: Header=BB53_7 Depth=2
	s_andn2_saveexec_b64 s[16:17], s[16:17]
	s_cbranch_execz .LBB53_11
; %bb.10:                               ;   in Loop: Header=BB53_7 Depth=2
	v_cndmask_b32_e64 v9, 0, v29, s[10:11]
	s_waitcnt vmcnt(0)
	v_mov_b64_e32 v[58:59], v[8:9]
.LBB53_11:                              ;   in Loop: Header=BB53_7 Depth=2
	s_or_b64 exec, exec, s[16:17]
	s_waitcnt vmcnt(0)
	ds_write_b64 v61, v[58:59]
	v_lshl_add_u64 v[58:59], v[2:3], 0, 16
	v_cmp_eq_u64_e64 s[16:17], s[24:25], v[50:51]
	v_cmp_gt_i64_e64 s[18:19], v[58:59], v[34:35]
	s_and_b64 s[22:23], s[36:37], s[16:17]
	s_or_b64 s[18:19], s[6:7], s[18:19]
	v_cmp_le_i64_e64 s[16:17], s[30:31], v[58:59]
	s_or_b64 s[18:19], s[18:19], s[22:23]
	s_nor_b64 s[18:19], s[16:17], s[18:19]
	v_lshl_add_u64 v[58:59], v[54:55], 0, v[44:45]
	s_and_saveexec_b64 s[46:47], s[18:19]
	s_xor_b64 s[18:19], exec, s[46:47]
	s_cbranch_execz .LBB53_13
; %bb.12:                               ;   in Loop: Header=BB53_7 Depth=2
	global_load_dwordx2 v[68:69], v[58:59], off
	s_waitcnt vmcnt(0)
	ds_write_b64 v61, v[68:69] offset:128
.LBB53_13:                              ;   in Loop: Header=BB53_7 Depth=2
	s_andn2_saveexec_b64 s[18:19], s[18:19]
	s_cbranch_execz .LBB53_19
; %bb.14:                               ;   in Loop: Header=BB53_7 Depth=2
	s_xor_b64 s[22:23], s[22:23], -1
	s_and_saveexec_b64 s[46:47], s[22:23]
	s_xor_b64 s[22:23], exec, s[46:47]
; %bb.15:                               ;   in Loop: Header=BB53_7 Depth=2
	ds_write_b64 v61, v[30:31] offset:128
; %bb.16:                               ;   in Loop: Header=BB53_7 Depth=2
	s_andn2_saveexec_b64 s[22:23], s[22:23]
; %bb.17:                               ;   in Loop: Header=BB53_7 Depth=2
	ds_write_b64 v61, v[28:29] offset:128
; %bb.18:                               ;   in Loop: Header=BB53_7 Depth=2
	s_or_b64 exec, exec, s[22:23]
.LBB53_19:                              ;   in Loop: Header=BB53_7 Depth=2
	s_or_b64 exec, exec, s[18:19]
	v_cmp_eq_u64_e64 s[18:19], s[24:25], v[48:49]
	v_cmp_gt_i64_e64 s[22:23], v[2:3], v[46:47]
	s_and_b64 s[18:19], s[36:37], s[18:19]
	s_or_b64 s[22:23], s[8:9], s[22:23]
	s_or_b64 s[22:23], s[22:23], s[18:19]
	s_nor_b64 s[14:15], s[14:15], s[22:23]
                                        ; implicit-def: $vgpr2_vgpr3
	s_and_saveexec_b64 s[22:23], s[14:15]
	s_xor_b64 s[14:15], exec, s[22:23]
	s_cbranch_execz .LBB53_21
; %bb.20:                               ;   in Loop: Header=BB53_7 Depth=2
	global_load_dwordx2 v[2:3], v[0:1], off offset:128
.LBB53_21:                              ;   in Loop: Header=BB53_7 Depth=2
	s_andn2_saveexec_b64 s[14:15], s[14:15]
	s_cbranch_execz .LBB53_23
; %bb.22:                               ;   in Loop: Header=BB53_7 Depth=2
	v_cndmask_b32_e64 v9, 0, v29, s[18:19]
	s_waitcnt vmcnt(0)
	v_mov_b64_e32 v[2:3], v[8:9]
.LBB53_23:                              ;   in Loop: Header=BB53_7 Depth=2
	s_or_b64 exec, exec, s[14:15]
	s_or_b64 s[12:13], s[8:9], s[12:13]
	s_or_b64 s[12:13], s[12:13], s[10:11]
	s_nor_b64 s[12:13], s[16:17], s[12:13]
	s_waitcnt vmcnt(0)
	ds_write_b64 v61, v[2:3] offset:4096
	s_and_saveexec_b64 s[14:15], s[12:13]
	s_xor_b64 s[12:13], exec, s[14:15]
	s_cbranch_execz .LBB53_25
; %bb.24:                               ;   in Loop: Header=BB53_7 Depth=2
	global_load_dwordx2 v[0:1], v[58:59], off offset:128
	s_waitcnt vmcnt(0)
	ds_write_b64 v61, v[0:1] offset:4224
.LBB53_25:                              ;   in Loop: Header=BB53_7 Depth=2
	s_andn2_saveexec_b64 s[12:13], s[12:13]
	s_cbranch_execz .LBB53_31
; %bb.26:                               ;   in Loop: Header=BB53_7 Depth=2
	s_xor_b64 s[10:11], s[10:11], -1
	s_and_saveexec_b64 s[14:15], s[10:11]
	s_xor_b64 s[10:11], exec, s[14:15]
; %bb.27:                               ;   in Loop: Header=BB53_7 Depth=2
	ds_write_b64 v61, v[30:31] offset:4224
; %bb.28:                               ;   in Loop: Header=BB53_7 Depth=2
	s_andn2_saveexec_b64 s[10:11], s[10:11]
; %bb.29:                               ;   in Loop: Header=BB53_7 Depth=2
	ds_write_b64 v61, v[28:29] offset:4224
; %bb.30:                               ;   in Loop: Header=BB53_7 Depth=2
	s_or_b64 exec, exec, s[10:11]
.LBB53_31:                              ;   in Loop: Header=BB53_7 Depth=2
	s_or_b64 exec, exec, s[12:13]
	v_lshl_add_u64 v[0:1], v[4:5], 0, s[24:25]
	v_cmp_le_i64_e64 s[10:11], s[30:31], v[0:1]
	v_lshl_add_u64 v[2:3], v[56:57], 0, v[22:23]
	s_nor_b64 s[14:15], s[10:11], vcc
	v_mov_b64_e32 v[58:59], 0
	s_and_saveexec_b64 s[12:13], s[14:15]
	s_cbranch_execz .LBB53_33
; %bb.32:                               ;   in Loop: Header=BB53_7 Depth=2
	global_load_dwordx2 v[58:59], v[2:3], off offset:-128
.LBB53_33:                              ;   in Loop: Header=BB53_7 Depth=2
	s_or_b64 exec, exec, s[12:13]
	s_nor_b64 s[10:11], s[10:11], s[0:1]
	s_waitcnt vmcnt(0)
	ds_write_b64 v63, v[58:59]
	s_and_saveexec_b64 s[12:13], s[10:11]
	s_xor_b64 s[10:11], exec, s[12:13]
	s_cbranch_execz .LBB53_35
; %bb.34:                               ;   in Loop: Header=BB53_7 Depth=2
	global_load_dwordx2 v[2:3], v[2:3], off
	s_waitcnt vmcnt(0)
	ds_write_b64 v63, v[2:3] offset:128
.LBB53_35:                              ;   in Loop: Header=BB53_7 Depth=2
	s_andn2_saveexec_b64 s[10:11], s[10:11]
; %bb.36:                               ;   in Loop: Header=BB53_7 Depth=2
	ds_write_b64 v63, v[30:31] offset:128
; %bb.37:                               ;   in Loop: Header=BB53_7 Depth=2
	s_or_b64 exec, exec, s[10:11]
	v_cmp_le_i64_e64 s[10:11], s[44:45], v[0:1]
	v_lshl_add_u64 v[0:1], v[56:57], 0, v[26:27]
	s_nor_b64 s[14:15], s[10:11], vcc
	v_mov_b64_e32 v[2:3], 0
	s_and_saveexec_b64 s[12:13], s[14:15]
	s_cbranch_execz .LBB53_39
; %bb.38:                               ;   in Loop: Header=BB53_7 Depth=2
	global_load_dwordx2 v[2:3], v[0:1], off
.LBB53_39:                              ;   in Loop: Header=BB53_7 Depth=2
	s_or_b64 exec, exec, s[12:13]
	s_nor_b64 s[10:11], s[10:11], s[0:1]
	s_waitcnt vmcnt(0)
	ds_write_b64 v63, v[2:3] offset:4096
	s_and_saveexec_b64 s[12:13], s[10:11]
	s_xor_b64 s[10:11], exec, s[12:13]
	s_cbranch_execz .LBB53_41
; %bb.40:                               ;   in Loop: Header=BB53_7 Depth=2
	global_load_dwordx2 v[0:1], v[0:1], off offset:128
	s_waitcnt vmcnt(0)
	ds_write_b64 v63, v[0:1] offset:4224
.LBB53_41:                              ;   in Loop: Header=BB53_7 Depth=2
	s_andn2_saveexec_b64 s[10:11], s[10:11]
	s_cbranch_execz .LBB53_6
; %bb.42:                               ;   in Loop: Header=BB53_7 Depth=2
	ds_write_b64 v63, v[30:31] offset:4224
	s_branch .LBB53_6
.LBB53_43:                              ;   in Loop: Header=BB53_4 Depth=1
	v_mul_lo_u32 v2, s41, v34
	v_mul_lo_u32 v3, s40, v35
	v_mad_u64_u32 v[0:1], s[8:9], s40, v34, 0
	v_cmp_gt_i32_e64 s[6:7], s30, v34
	v_add3_u32 v1, v1, v3, v2
	v_lshl_add_u64 v[0:1], v[0:1], 3, s[26:27]
	s_and_b64 s[10:11], s[20:21], s[6:7]
	s_and_saveexec_b64 s[8:9], s[10:11]
	s_cbranch_execz .LBB53_45
; %bb.44:                               ;   in Loop: Header=BB53_4 Depth=1
	v_lshl_add_u64 v[2:3], v[10:11], 3, v[0:1]
	global_load_dwordx2 v[42:43], v[2:3], off
	s_waitcnt vmcnt(0)
	v_fmac_f64_e32 v[42:43], s[34:35], v[40:41]
	global_store_dwordx2 v[2:3], v[42:43], off
.LBB53_45:                              ;   in Loop: Header=BB53_4 Depth=1
	s_or_b64 exec, exec, s[8:9]
	s_and_b64 s[8:9], s[4:5], s[6:7]
	s_and_saveexec_b64 s[6:7], s[8:9]
	s_cbranch_execz .LBB53_47
; %bb.46:                               ;   in Loop: Header=BB53_4 Depth=1
	v_lshl_add_u64 v[0:1], v[16:17], 3, v[0:1]
	global_load_dwordx2 v[2:3], v[0:1], off
	s_waitcnt vmcnt(0)
	v_fmac_f64_e32 v[2:3], s[34:35], v[38:39]
	global_store_dwordx2 v[0:1], v[2:3], off
.LBB53_47:                              ;   in Loop: Header=BB53_4 Depth=1
	s_or_b64 exec, exec, s[6:7]
	v_add_u32_e32 v0, 16, v34
	v_ashrrev_i32_e32 v1, 31, v0
	v_cmp_gt_i32_e64 s[6:7], s30, v0
	v_mul_lo_u32 v2, s40, v1
	v_mul_lo_u32 v3, s41, v0
	v_mad_u64_u32 v[0:1], s[8:9], s40, v0, 0
	v_add3_u32 v1, v1, v2, v3
	v_lshl_add_u64 v[0:1], v[0:1], 3, s[26:27]
	s_and_b64 s[10:11], s[20:21], s[6:7]
	s_and_saveexec_b64 s[8:9], s[10:11]
	s_cbranch_execz .LBB53_49
; %bb.48:                               ;   in Loop: Header=BB53_4 Depth=1
	v_lshl_add_u64 v[2:3], v[10:11], 3, v[0:1]
	global_load_dwordx2 v[34:35], v[2:3], off
	s_waitcnt vmcnt(0)
	v_fmac_f64_e32 v[34:35], s[34:35], v[36:37]
	global_store_dwordx2 v[2:3], v[34:35], off
.LBB53_49:                              ;   in Loop: Header=BB53_4 Depth=1
	s_or_b64 exec, exec, s[8:9]
	s_and_b64 s[8:9], s[4:5], s[6:7]
	s_and_saveexec_b64 s[6:7], s[8:9]
	s_cbranch_execz .LBB53_3
; %bb.50:                               ;   in Loop: Header=BB53_4 Depth=1
	v_lshl_add_u64 v[0:1], v[16:17], 3, v[0:1]
	global_load_dwordx2 v[2:3], v[0:1], off
	s_waitcnt vmcnt(0)
	v_fmac_f64_e32 v[2:3], s[34:35], v[32:33]
	global_store_dwordx2 v[0:1], v[2:3], off
	s_branch .LBB53_3
.LBB53_51:
	s_endpgm
	.section	.rodata,"a",@progbits
	.p2align	6, 0x0
	.amdhsa_kernel _ZL30rocblas_trmm_outofplace_kernelIdLi32ELi2ELb0ELb0ELb1ELb0EdKddEv17rocblas_diagonal_iiT6_lPT7_lllS4_lllPT8_llli
		.amdhsa_group_segment_fixed_size 16384
		.amdhsa_private_segment_fixed_size 0
		.amdhsa_kernarg_size 392
		.amdhsa_user_sgpr_count 2
		.amdhsa_user_sgpr_dispatch_ptr 0
		.amdhsa_user_sgpr_queue_ptr 0
		.amdhsa_user_sgpr_kernarg_segment_ptr 1
		.amdhsa_user_sgpr_dispatch_id 0
		.amdhsa_user_sgpr_kernarg_preload_length 0
		.amdhsa_user_sgpr_kernarg_preload_offset 0
		.amdhsa_user_sgpr_private_segment_size 0
		.amdhsa_uses_dynamic_stack 0
		.amdhsa_enable_private_segment 0
		.amdhsa_system_sgpr_workgroup_id_x 1
		.amdhsa_system_sgpr_workgroup_id_y 1
		.amdhsa_system_sgpr_workgroup_id_z 1
		.amdhsa_system_sgpr_workgroup_info 0
		.amdhsa_system_vgpr_workitem_id 1
		.amdhsa_next_free_vgpr 96
		.amdhsa_next_free_sgpr 48
		.amdhsa_accum_offset 96
		.amdhsa_reserve_vcc 1
		.amdhsa_float_round_mode_32 0
		.amdhsa_float_round_mode_16_64 0
		.amdhsa_float_denorm_mode_32 3
		.amdhsa_float_denorm_mode_16_64 3
		.amdhsa_dx10_clamp 1
		.amdhsa_ieee_mode 1
		.amdhsa_fp16_overflow 0
		.amdhsa_tg_split 0
		.amdhsa_exception_fp_ieee_invalid_op 0
		.amdhsa_exception_fp_denorm_src 0
		.amdhsa_exception_fp_ieee_div_zero 0
		.amdhsa_exception_fp_ieee_overflow 0
		.amdhsa_exception_fp_ieee_underflow 0
		.amdhsa_exception_fp_ieee_inexact 0
		.amdhsa_exception_int_div_zero 0
	.end_amdhsa_kernel
	.section	.text._ZL30rocblas_trmm_outofplace_kernelIdLi32ELi2ELb0ELb0ELb1ELb0EdKddEv17rocblas_diagonal_iiT6_lPT7_lllS4_lllPT8_llli,"axG",@progbits,_ZL30rocblas_trmm_outofplace_kernelIdLi32ELi2ELb0ELb0ELb1ELb0EdKddEv17rocblas_diagonal_iiT6_lPT7_lllS4_lllPT8_llli,comdat
.Lfunc_end53:
	.size	_ZL30rocblas_trmm_outofplace_kernelIdLi32ELi2ELb0ELb0ELb1ELb0EdKddEv17rocblas_diagonal_iiT6_lPT7_lllS4_lllPT8_llli, .Lfunc_end53-_ZL30rocblas_trmm_outofplace_kernelIdLi32ELi2ELb0ELb0ELb1ELb0EdKddEv17rocblas_diagonal_iiT6_lPT7_lllS4_lllPT8_llli
                                        ; -- End function
	.set _ZL30rocblas_trmm_outofplace_kernelIdLi32ELi2ELb0ELb0ELb1ELb0EdKddEv17rocblas_diagonal_iiT6_lPT7_lllS4_lllPT8_llli.num_vgpr, 96
	.set _ZL30rocblas_trmm_outofplace_kernelIdLi32ELi2ELb0ELb0ELb1ELb0EdKddEv17rocblas_diagonal_iiT6_lPT7_lllS4_lllPT8_llli.num_agpr, 0
	.set _ZL30rocblas_trmm_outofplace_kernelIdLi32ELi2ELb0ELb0ELb1ELb0EdKddEv17rocblas_diagonal_iiT6_lPT7_lllS4_lllPT8_llli.numbered_sgpr, 48
	.set _ZL30rocblas_trmm_outofplace_kernelIdLi32ELi2ELb0ELb0ELb1ELb0EdKddEv17rocblas_diagonal_iiT6_lPT7_lllS4_lllPT8_llli.num_named_barrier, 0
	.set _ZL30rocblas_trmm_outofplace_kernelIdLi32ELi2ELb0ELb0ELb1ELb0EdKddEv17rocblas_diagonal_iiT6_lPT7_lllS4_lllPT8_llli.private_seg_size, 0
	.set _ZL30rocblas_trmm_outofplace_kernelIdLi32ELi2ELb0ELb0ELb1ELb0EdKddEv17rocblas_diagonal_iiT6_lPT7_lllS4_lllPT8_llli.uses_vcc, 1
	.set _ZL30rocblas_trmm_outofplace_kernelIdLi32ELi2ELb0ELb0ELb1ELb0EdKddEv17rocblas_diagonal_iiT6_lPT7_lllS4_lllPT8_llli.uses_flat_scratch, 0
	.set _ZL30rocblas_trmm_outofplace_kernelIdLi32ELi2ELb0ELb0ELb1ELb0EdKddEv17rocblas_diagonal_iiT6_lPT7_lllS4_lllPT8_llli.has_dyn_sized_stack, 0
	.set _ZL30rocblas_trmm_outofplace_kernelIdLi32ELi2ELb0ELb0ELb1ELb0EdKddEv17rocblas_diagonal_iiT6_lPT7_lllS4_lllPT8_llli.has_recursion, 0
	.set _ZL30rocblas_trmm_outofplace_kernelIdLi32ELi2ELb0ELb0ELb1ELb0EdKddEv17rocblas_diagonal_iiT6_lPT7_lllS4_lllPT8_llli.has_indirect_call, 0
	.section	.AMDGPU.csdata,"",@progbits
; Kernel info:
; codeLenInByte = 2976
; TotalNumSgprs: 54
; NumVgprs: 96
; NumAgprs: 0
; TotalNumVgprs: 96
; ScratchSize: 0
; MemoryBound: 0
; FloatMode: 240
; IeeeMode: 1
; LDSByteSize: 16384 bytes/workgroup (compile time only)
; SGPRBlocks: 6
; VGPRBlocks: 11
; NumSGPRsForWavesPerEU: 54
; NumVGPRsForWavesPerEU: 96
; AccumOffset: 96
; Occupancy: 5
; WaveLimiterHint : 0
; COMPUTE_PGM_RSRC2:SCRATCH_EN: 0
; COMPUTE_PGM_RSRC2:USER_SGPR: 2
; COMPUTE_PGM_RSRC2:TRAP_HANDLER: 0
; COMPUTE_PGM_RSRC2:TGID_X_EN: 1
; COMPUTE_PGM_RSRC2:TGID_Y_EN: 1
; COMPUTE_PGM_RSRC2:TGID_Z_EN: 1
; COMPUTE_PGM_RSRC2:TIDIG_COMP_CNT: 1
; COMPUTE_PGM_RSRC3_GFX90A:ACCUM_OFFSET: 23
; COMPUTE_PGM_RSRC3_GFX90A:TG_SPLIT: 0
	.section	.text._ZL30rocblas_trmm_outofplace_kernelIdLi32ELi2ELb0ELb1ELb1ELb0EPKdS0_dEv17rocblas_diagonal_iiT6_lPT7_lllS5_lllPT8_llli,"axG",@progbits,_ZL30rocblas_trmm_outofplace_kernelIdLi32ELi2ELb0ELb1ELb1ELb0EPKdS0_dEv17rocblas_diagonal_iiT6_lPT7_lllS5_lllPT8_llli,comdat
	.globl	_ZL30rocblas_trmm_outofplace_kernelIdLi32ELi2ELb0ELb1ELb1ELb0EPKdS0_dEv17rocblas_diagonal_iiT6_lPT7_lllS5_lllPT8_llli ; -- Begin function _ZL30rocblas_trmm_outofplace_kernelIdLi32ELi2ELb0ELb1ELb1ELb0EPKdS0_dEv17rocblas_diagonal_iiT6_lPT7_lllS5_lllPT8_llli
	.p2align	8
	.type	_ZL30rocblas_trmm_outofplace_kernelIdLi32ELi2ELb0ELb1ELb1ELb0EPKdS0_dEv17rocblas_diagonal_iiT6_lPT7_lllS5_lllPT8_llli,@function
_ZL30rocblas_trmm_outofplace_kernelIdLi32ELi2ELb0ELb1ELb1ELb0EPKdS0_dEv17rocblas_diagonal_iiT6_lPT7_lllS5_lllPT8_llli: ; @_ZL30rocblas_trmm_outofplace_kernelIdLi32ELi2ELb0ELb1ELb1ELb0EPKdS0_dEv17rocblas_diagonal_iiT6_lPT7_lllS5_lllPT8_llli
; %bb.0:
	s_load_dwordx16 s[36:51], s[0:1], 0x10
	s_waitcnt lgkmcnt(0)
	s_mul_i32 s5, s39, s4
	s_mul_hi_u32 s6, s38, s4
	s_add_i32 s7, s6, s5
	s_mul_i32 s6, s38, s4
	s_lshl_b64 s[6:7], s[6:7], 3
	s_add_u32 s6, s36, s6
	s_addc_u32 s7, s37, s7
	s_load_dwordx2 s[34:35], s[6:7], 0x0
	s_waitcnt lgkmcnt(0)
	v_cmp_eq_f64_e64 s[6:7], s[34:35], 0
	s_and_b64 vcc, exec, s[6:7]
	s_cbranch_vccnz .LBB54_52
; %bb.1:
	s_load_dwordx4 s[36:39], s[0:1], 0x0
	s_waitcnt lgkmcnt(0)
	s_add_i32 s5, s38, -1
	s_ashr_i32 s6, s5, 31
	s_lshr_b32 s6, s6, 27
	s_add_i32 s5, s5, s6
	s_ashr_i32 s33, s5, 5
	s_cmp_gt_i32 s3, s33
	s_cbranch_scc1 .LBB54_52
; %bb.2:
	s_load_dwordx4 s[52:55], s[0:1], 0x70
	s_load_dwordx8 s[24:31], s[0:1], 0x50
	s_load_dword s64, s[0:1], 0x8c
	v_and_b32_e32 v2, 0x3ff, v0
	v_bfe_u32 v54, v0, 10, 10
	v_lshl_add_u32 v4, s2, 5, v2
	s_waitcnt lgkmcnt(0)
	s_mul_i32 s0, s55, s4
	s_mul_hi_u32 s1, s54, s4
	s_add_i32 s1, s1, s0
	s_mul_i32 s0, s54, s4
	s_lshl_b64 s[0:1], s[0:1], 3
	s_add_u32 s5, s28, s0
	s_addc_u32 s6, s29, s1
	s_lshl_b64 s[0:1], s[30:31], 3
	s_add_u32 s28, s5, s0
	s_addc_u32 s29, s6, s1
	s_cmpk_eq_i32 s36, 0x84
	s_cselect_b64 s[30:31], -1, 0
	s_ashr_i32 s39, s38, 31
	s_ashr_i32 s0, s37, 31
	s_lshl_b64 s[54:55], s[44:45], 8
	s_lshl_b64 s[56:57], s[24:25], 8
	s_add_u32 s58, s38, -16
	s_addc_u32 s59, s39, -1
	s_lshl_b32 s5, s3, 5
	s_lshl_b32 s2, s64, 5
	v_add_u32_e32 v8, s5, v2
	v_add_u32_e32 v10, s5, v54
	s_add_u32 s60, s48, 0x80
	s_mul_i32 s5, s27, s4
	s_mul_hi_u32 s6, s26, s4
	s_addc_u32 s61, s49, 0
	s_add_i32 s7, s6, s5
	s_mul_i32 s6, s26, s4
	s_lshl_b64 s[62:63], s[24:25], 3
	s_lshl_b64 s[6:7], s[6:7], 3
	;; [unrolled: 1-line block ×3, first 2 shown]
	s_add_u32 s6, s6, s8
	v_ashrrev_i32_e32 v5, 31, v4
	s_addc_u32 s7, s7, s9
	v_lshl_add_u64 v[12:13], v[4:5], 3, s[6:7]
	s_mul_i32 s5, s47, s4
	s_mul_hi_u32 s6, s46, s4
	s_add_i32 s5, s6, s5
	s_mul_i32 s4, s46, s4
	s_lshl_b64 s[4:5], s[4:5], 3
	s_lshl_b64 s[6:7], s[42:43], 3
	s_add_u32 s4, s4, s6
	v_lshlrev_b32_e32 v3, 3, v2
	v_mov_b32_e32 v1, s0
	v_sub_co_u32_e32 v0, vcc, s37, v4
	s_addc_u32 s5, s5, s7
	v_lshlrev_b32_e32 v55, 8, v54
	v_subb_co_u32_e32 v1, vcc, v1, v5, vcc
	v_or_b32_e32 v57, 0x2000, v3
	v_add_u32_e32 v6, 16, v4
	s_add_u32 s26, s40, s4
	v_mov_b32_e32 v14, 0
	v_add_u32_e32 v56, v55, v3
	v_add_u32_e32 v58, v57, v55
	v_cmp_gt_i64_e32 vcc, 1, v[0:1]
	v_cmp_gt_i64_e64 s[0:1], 17, v[0:1]
	v_cmp_gt_i32_e64 s[20:21], s37, v4
	v_cmp_gt_i32_e64 s[22:23], s37, v6
	v_ashrrev_i32_e32 v7, 31, v6
	s_mov_b64 s[36:37], 0x80
	s_addc_u32 s27, s41, s5
	s_lshl_b64 s[40:41], s[44:45], 3
	v_mov_b64_e32 v[16:17], 0x80
	v_mov_b32_e32 v19, 0x3ff00000
	v_mov_b32_e32 v20, 0
	;; [unrolled: 1-line block ×4, first 2 shown]
	v_add_u32_e32 v59, 0x800, v57
	v_add_u32_e32 v60, 0x1000, v57
	;; [unrolled: 1-line block ×3, first 2 shown]
	s_branch .LBB54_4
.LBB54_3:                               ;   in Loop: Header=BB54_4 Depth=1
	s_or_b64 exec, exec, s[4:5]
	s_add_i32 s3, s64, s3
	v_add_u32_e32 v8, s2, v8
	s_cmp_le_i32 s3, s33
	v_add_u32_e32 v10, s2, v10
	s_cbranch_scc0 .LBB54_52
.LBB54_4:                               ; =>This Loop Header: Depth=1
                                        ;     Child Loop BB54_7 Depth 2
	s_lshl_b32 s4, s3, 5
	v_add_u32_e32 v22, s4, v54
	s_sub_i32 s46, s38, s4
	v_ashrrev_i32_e32 v9, 31, v8
	v_ashrrev_i32_e32 v11, 31, v10
	s_cmp_lt_i32 s46, 1
	v_ashrrev_i32_e32 v23, 31, v22
	s_cbranch_scc1 .LBB54_43
; %bb.5:                                ;   in Loop: Header=BB54_4 Depth=1
	v_sub_co_u32_e64 v28, s[4:5], v10, v8
	v_mov_b64_e32 v[0:1], s[60:61]
	s_nop 0
	v_subb_co_u32_e64 v29, s[4:5], v11, v9, s[4:5]
	v_mad_u64_u32 v[32:33], s[4:5], s62, v10, v[0:1]
	v_mul_lo_u32 v0, s62, v11
	v_mul_lo_u32 v1, s63, v10
	v_add3_u32 v33, v1, v33, v0
	v_lshl_add_u64 v[0:1], v[8:9], 3, v[16:17]
	v_mov_b64_e32 v[2:3], s[26:27]
	v_mul_lo_u32 v1, s44, v1
	v_mul_lo_u32 v15, s45, v0
	v_mad_u64_u32 v[38:39], s[4:5], s44, v0, v[2:3]
	v_lshlrev_b64 v[34:35], 3, v[10:11]
	v_add3_u32 v39, v15, v39, v1
	v_mad_u64_u32 v[40:41], s[4:5], s40, v8, v[2:3]
	v_mul_lo_u32 v0, s40, v9
	v_mul_lo_u32 v1, s41, v8
	v_add3_u32 v41, v1, v41, v0
	v_lshl_add_u64 v[0:1], v[34:35], 0, s[36:37]
	v_mov_b64_e32 v[2:3], s[48:49]
	v_mul_lo_u32 v1, s24, v1
	v_mul_lo_u32 v15, s25, v0
	v_mad_u64_u32 v[42:43], s[4:5], s24, v0, v[2:3]
	v_lshl_add_u64 v[44:45], v[22:23], 0, 16
	v_add3_u32 v43, v15, v43, v1
	v_cmp_le_i32_e64 s[6:7], s38, v22
	v_cmp_le_i64_e64 s[8:9], s[38:39], v[44:45]
	v_lshl_add_u64 v[46:47], v[28:29], 0, 16
	v_lshl_add_u64 v[48:49], v[28:29], 0, -16
	v_mov_b64_e32 v[24:25], 0
	s_mov_b64 s[42:43], 0
	v_mov_b64_e32 v[50:51], v[12:13]
	v_mov_b64_e32 v[26:27], 0
	;; [unrolled: 1-line block ×4, first 2 shown]
	s_branch .LBB54_7
.LBB54_6:                               ;   in Loop: Header=BB54_7 Depth=2
	s_or_b64 exec, exec, s[4:5]
	s_waitcnt lgkmcnt(0)
	s_barrier
	ds_read_b128 v[62:65], v55
	ds_read_b128 v[66:69], v55 offset:16
	ds_read_b128 v[70:73], v55 offset:32
	;; [unrolled: 1-line block ×3, first 2 shown]
	ds_read2_b64 v[74:77], v57 offset1:16
	ds_read_b128 v[78:81], v55 offset:4096
	s_add_u32 s42, s42, 32
	s_addc_u32 s43, s43, 0
	v_lshl_add_u64 v[50:51], v[50:51], 0, s[56:57]
	s_waitcnt lgkmcnt(1)
	v_fmac_f64_e32 v[36:37], v[74:75], v[62:63]
	v_fmac_f64_e32 v[30:31], v[76:77], v[62:63]
	s_waitcnt lgkmcnt(0)
	v_fmac_f64_e32 v[26:27], v[74:75], v[78:79]
	v_fmac_f64_e32 v[24:25], v[76:77], v[78:79]
	ds_read2_b64 v[74:77], v57 offset0:32 offset1:48
	v_lshl_add_u64 v[38:39], v[38:39], 0, s[54:55]
	v_lshl_add_u64 v[40:41], v[40:41], 0, s[54:55]
	s_cmp_ge_i32 s42, s46
	s_waitcnt lgkmcnt(0)
	v_fmac_f64_e32 v[36:37], v[74:75], v[64:65]
	v_fmac_f64_e32 v[30:31], v[76:77], v[64:65]
	v_fmac_f64_e32 v[26:27], v[74:75], v[80:81]
	v_fmac_f64_e32 v[24:25], v[76:77], v[80:81]
	ds_read2_b64 v[62:65], v57 offset0:64 offset1:80
	ds_read_b128 v[74:77], v55 offset:4112
	s_waitcnt lgkmcnt(1)
	v_fmac_f64_e32 v[36:37], v[62:63], v[66:67]
	v_fmac_f64_e32 v[30:31], v[64:65], v[66:67]
	s_waitcnt lgkmcnt(0)
	v_fmac_f64_e32 v[26:27], v[62:63], v[74:75]
	v_fmac_f64_e32 v[24:25], v[64:65], v[74:75]
	ds_read2_b64 v[62:65], v57 offset0:96 offset1:112
	s_waitcnt lgkmcnt(0)
	v_fmac_f64_e32 v[36:37], v[62:63], v[68:69]
	v_fmac_f64_e32 v[30:31], v[64:65], v[68:69]
	v_fmac_f64_e32 v[26:27], v[62:63], v[76:77]
	v_fmac_f64_e32 v[24:25], v[64:65], v[76:77]
	ds_read2_b64 v[62:65], v57 offset0:128 offset1:144
	ds_read_b128 v[66:69], v55 offset:4128
	s_waitcnt lgkmcnt(1)
	v_fmac_f64_e32 v[36:37], v[62:63], v[70:71]
	v_fmac_f64_e32 v[30:31], v[64:65], v[70:71]
	s_waitcnt lgkmcnt(0)
	v_fmac_f64_e32 v[26:27], v[62:63], v[66:67]
	v_fmac_f64_e32 v[24:25], v[64:65], v[66:67]
	ds_read2_b64 v[62:65], v57 offset0:160 offset1:176
	;; [unrolled: 14-line block ×3, first 2 shown]
	s_waitcnt lgkmcnt(0)
	v_fmac_f64_e32 v[36:37], v[62:63], v[2:3]
	v_fmac_f64_e32 v[30:31], v[64:65], v[2:3]
	v_fmac_f64_e32 v[26:27], v[62:63], v[68:69]
	v_fmac_f64_e32 v[24:25], v[64:65], v[68:69]
	ds_read_b128 v[0:3], v55 offset:64
	ds_read2_b64 v[62:65], v59 offset1:16
	ds_read_b128 v[66:69], v55 offset:4160
	s_waitcnt lgkmcnt(1)
	v_fmac_f64_e32 v[36:37], v[62:63], v[0:1]
	v_fmac_f64_e32 v[30:31], v[64:65], v[0:1]
	s_waitcnt lgkmcnt(0)
	v_fmac_f64_e32 v[26:27], v[62:63], v[66:67]
	v_fmac_f64_e32 v[24:25], v[64:65], v[66:67]
	ds_read2_b64 v[62:65], v59 offset0:32 offset1:48
	s_waitcnt lgkmcnt(0)
	v_fmac_f64_e32 v[36:37], v[62:63], v[2:3]
	v_fmac_f64_e32 v[30:31], v[64:65], v[2:3]
	v_fmac_f64_e32 v[26:27], v[62:63], v[68:69]
	v_fmac_f64_e32 v[24:25], v[64:65], v[68:69]
	ds_read_b128 v[0:3], v55 offset:80
	ds_read2_b64 v[62:65], v59 offset0:64 offset1:80
	ds_read_b128 v[66:69], v55 offset:4176
	s_waitcnt lgkmcnt(1)
	v_fmac_f64_e32 v[36:37], v[62:63], v[0:1]
	v_fmac_f64_e32 v[30:31], v[64:65], v[0:1]
	s_waitcnt lgkmcnt(0)
	v_fmac_f64_e32 v[26:27], v[62:63], v[66:67]
	v_fmac_f64_e32 v[24:25], v[64:65], v[66:67]
	ds_read2_b64 v[62:65], v59 offset0:96 offset1:112
	s_waitcnt lgkmcnt(0)
	v_fmac_f64_e32 v[36:37], v[62:63], v[2:3]
	v_fmac_f64_e32 v[30:31], v[64:65], v[2:3]
	v_fmac_f64_e32 v[26:27], v[62:63], v[68:69]
	v_fmac_f64_e32 v[24:25], v[64:65], v[68:69]
	ds_read_b128 v[0:3], v55 offset:96
	ds_read2_b64 v[62:65], v59 offset0:128 offset1:144
	ds_read_b128 v[66:69], v55 offset:4192
	s_waitcnt lgkmcnt(1)
	v_fmac_f64_e32 v[36:37], v[62:63], v[0:1]
	v_fmac_f64_e32 v[30:31], v[64:65], v[0:1]
	s_waitcnt lgkmcnt(0)
	v_fmac_f64_e32 v[26:27], v[62:63], v[66:67]
	v_fmac_f64_e32 v[24:25], v[64:65], v[66:67]
	ds_read2_b64 v[62:65], v59 offset0:160 offset1:176
	s_waitcnt lgkmcnt(0)
	v_fmac_f64_e32 v[36:37], v[62:63], v[2:3]
	v_fmac_f64_e32 v[30:31], v[64:65], v[2:3]
	v_fmac_f64_e32 v[26:27], v[62:63], v[68:69]
	v_fmac_f64_e32 v[24:25], v[64:65], v[68:69]
	ds_read_b128 v[0:3], v55 offset:112
	ds_read2_b64 v[62:65], v59 offset0:192 offset1:208
	ds_read_b128 v[66:69], v55 offset:4208
	s_waitcnt lgkmcnt(1)
	v_fmac_f64_e32 v[36:37], v[62:63], v[0:1]
	v_fmac_f64_e32 v[30:31], v[64:65], v[0:1]
	s_waitcnt lgkmcnt(0)
	v_fmac_f64_e32 v[26:27], v[62:63], v[66:67]
	v_fmac_f64_e32 v[24:25], v[64:65], v[66:67]
	ds_read2_b64 v[62:65], v59 offset0:224 offset1:240
	s_waitcnt lgkmcnt(0)
	v_fmac_f64_e32 v[36:37], v[62:63], v[2:3]
	v_fmac_f64_e32 v[30:31], v[64:65], v[2:3]
	v_fmac_f64_e32 v[26:27], v[62:63], v[68:69]
	v_fmac_f64_e32 v[24:25], v[64:65], v[68:69]
	ds_read_b128 v[0:3], v55 offset:128
	ds_read2_b64 v[62:65], v60 offset1:16
	ds_read_b128 v[66:69], v55 offset:4224
	s_waitcnt lgkmcnt(1)
	v_fmac_f64_e32 v[36:37], v[62:63], v[0:1]
	v_fmac_f64_e32 v[30:31], v[64:65], v[0:1]
	s_waitcnt lgkmcnt(0)
	v_fmac_f64_e32 v[26:27], v[62:63], v[66:67]
	v_fmac_f64_e32 v[24:25], v[64:65], v[66:67]
	ds_read2_b64 v[62:65], v60 offset0:32 offset1:48
	s_waitcnt lgkmcnt(0)
	v_fmac_f64_e32 v[36:37], v[62:63], v[2:3]
	v_fmac_f64_e32 v[30:31], v[64:65], v[2:3]
	v_fmac_f64_e32 v[26:27], v[62:63], v[68:69]
	v_fmac_f64_e32 v[24:25], v[64:65], v[68:69]
	ds_read_b128 v[0:3], v55 offset:144
	ds_read2_b64 v[62:65], v60 offset0:64 offset1:80
	ds_read_b128 v[66:69], v55 offset:4240
	s_waitcnt lgkmcnt(1)
	v_fmac_f64_e32 v[36:37], v[62:63], v[0:1]
	v_fmac_f64_e32 v[30:31], v[64:65], v[0:1]
	s_waitcnt lgkmcnt(0)
	v_fmac_f64_e32 v[26:27], v[62:63], v[66:67]
	v_fmac_f64_e32 v[24:25], v[64:65], v[66:67]
	ds_read2_b64 v[62:65], v60 offset0:96 offset1:112
	s_waitcnt lgkmcnt(0)
	v_fmac_f64_e32 v[36:37], v[62:63], v[2:3]
	v_fmac_f64_e32 v[30:31], v[64:65], v[2:3]
	v_fmac_f64_e32 v[26:27], v[62:63], v[68:69]
	v_fmac_f64_e32 v[24:25], v[64:65], v[68:69]
	ds_read_b128 v[0:3], v55 offset:160
	ds_read2_b64 v[62:65], v60 offset0:128 offset1:144
	ds_read_b128 v[66:69], v55 offset:4256
	s_waitcnt lgkmcnt(1)
	v_fmac_f64_e32 v[36:37], v[62:63], v[0:1]
	v_fmac_f64_e32 v[30:31], v[64:65], v[0:1]
	s_waitcnt lgkmcnt(0)
	v_fmac_f64_e32 v[26:27], v[62:63], v[66:67]
	v_fmac_f64_e32 v[24:25], v[64:65], v[66:67]
	ds_read2_b64 v[62:65], v60 offset0:160 offset1:176
	s_waitcnt lgkmcnt(0)
	v_fmac_f64_e32 v[36:37], v[62:63], v[2:3]
	v_fmac_f64_e32 v[30:31], v[64:65], v[2:3]
	v_fmac_f64_e32 v[26:27], v[62:63], v[68:69]
	v_fmac_f64_e32 v[24:25], v[64:65], v[68:69]
	ds_read_b128 v[0:3], v55 offset:176
	ds_read2_b64 v[62:65], v60 offset0:192 offset1:208
	ds_read_b128 v[66:69], v55 offset:4272
	s_waitcnt lgkmcnt(1)
	v_fmac_f64_e32 v[36:37], v[62:63], v[0:1]
	v_fmac_f64_e32 v[30:31], v[64:65], v[0:1]
	s_waitcnt lgkmcnt(0)
	v_fmac_f64_e32 v[26:27], v[62:63], v[66:67]
	v_fmac_f64_e32 v[24:25], v[64:65], v[66:67]
	ds_read2_b64 v[62:65], v60 offset0:224 offset1:240
	;; [unrolled: 60-line block ×3, first 2 shown]
	s_waitcnt lgkmcnt(0)
	s_barrier
	v_fmac_f64_e32 v[36:37], v[62:63], v[2:3]
	v_fmac_f64_e32 v[30:31], v[64:65], v[2:3]
	;; [unrolled: 1-line block ×4, first 2 shown]
	s_cbranch_scc1 .LBB54_44
.LBB54_7:                               ;   Parent Loop BB54_4 Depth=1
                                        ; =>  This Inner Loop Header: Depth=2
	v_lshl_add_u64 v[2:3], v[8:9], 0, s[42:43]
	v_cmp_eq_u64_e64 s[4:5], s[42:43], v[28:29]
	v_cmp_lt_i64_e64 s[12:13], v[2:3], v[22:23]
	s_and_b64 s[10:11], s[30:31], s[4:5]
	v_cmp_le_i64_e64 s[14:15], s[38:39], v[2:3]
	s_or_b64 s[4:5], s[6:7], s[12:13]
	s_or_b64 s[4:5], s[14:15], s[4:5]
	v_lshl_add_u64 v[0:1], v[40:41], 0, v[34:35]
	s_nor_b64 s[4:5], s[4:5], s[10:11]
                                        ; implicit-def: $vgpr52_vgpr53
	s_and_saveexec_b64 s[16:17], s[4:5]
	s_xor_b64 s[4:5], exec, s[16:17]
	s_cbranch_execz .LBB54_9
; %bb.8:                                ;   in Loop: Header=BB54_7 Depth=2
	global_load_dwordx2 v[52:53], v[0:1], off
.LBB54_9:                               ;   in Loop: Header=BB54_7 Depth=2
	s_andn2_saveexec_b64 s[4:5], s[4:5]
	s_cbranch_execz .LBB54_11
; %bb.10:                               ;   in Loop: Header=BB54_7 Depth=2
	v_cndmask_b32_e64 v15, 0, v19, s[10:11]
	s_waitcnt vmcnt(0)
	v_mov_b64_e32 v[52:53], v[14:15]
.LBB54_11:                              ;   in Loop: Header=BB54_7 Depth=2
	s_or_b64 exec, exec, s[4:5]
	s_waitcnt vmcnt(0)
	ds_write_b64 v56, v[52:53]
	v_lshl_add_u64 v[52:53], v[2:3], 0, 16
	v_cmp_eq_u64_e64 s[4:5], s[42:43], v[48:49]
	s_and_b64 s[18:19], s[30:31], s[4:5]
	v_cmp_lt_i64_e64 s[4:5], v[52:53], v[22:23]
	v_cmp_le_i64_e64 s[16:17], s[38:39], v[52:53]
	s_or_b64 s[4:5], s[6:7], s[4:5]
	s_or_b64 s[4:5], s[16:17], s[4:5]
	s_nor_b64 s[4:5], s[4:5], s[18:19]
	v_lshl_add_u64 v[52:53], v[38:39], 0, v[34:35]
	s_and_saveexec_b64 s[50:51], s[4:5]
	s_xor_b64 s[4:5], exec, s[50:51]
	s_cbranch_execz .LBB54_13
; %bb.12:                               ;   in Loop: Header=BB54_7 Depth=2
	global_load_dwordx2 v[62:63], v[52:53], off
	s_waitcnt vmcnt(0)
	ds_write_b64 v56, v[62:63] offset:128
.LBB54_13:                              ;   in Loop: Header=BB54_7 Depth=2
	s_andn2_saveexec_b64 s[4:5], s[4:5]
	s_cbranch_execz .LBB54_19
; %bb.14:                               ;   in Loop: Header=BB54_7 Depth=2
	s_xor_b64 s[18:19], s[18:19], -1
	s_and_saveexec_b64 s[50:51], s[18:19]
	s_xor_b64 s[18:19], exec, s[50:51]
; %bb.15:                               ;   in Loop: Header=BB54_7 Depth=2
	ds_write_b64 v56, v[20:21] offset:128
; %bb.16:                               ;   in Loop: Header=BB54_7 Depth=2
	s_andn2_saveexec_b64 s[18:19], s[18:19]
; %bb.17:                               ;   in Loop: Header=BB54_7 Depth=2
	ds_write_b64 v56, v[18:19] offset:128
; %bb.18:                               ;   in Loop: Header=BB54_7 Depth=2
	s_or_b64 exec, exec, s[18:19]
.LBB54_19:                              ;   in Loop: Header=BB54_7 Depth=2
	s_or_b64 exec, exec, s[4:5]
	v_cmp_eq_u64_e64 s[4:5], s[42:43], v[46:47]
	s_and_b64 s[18:19], s[30:31], s[4:5]
	v_cmp_lt_i64_e64 s[4:5], v[2:3], v[44:45]
	s_or_b64 s[4:5], s[8:9], s[4:5]
	s_or_b64 s[4:5], s[4:5], s[18:19]
	s_nor_b64 s[4:5], s[14:15], s[4:5]
                                        ; implicit-def: $vgpr2_vgpr3
	s_and_saveexec_b64 s[14:15], s[4:5]
	s_xor_b64 s[4:5], exec, s[14:15]
	s_cbranch_execz .LBB54_21
; %bb.20:                               ;   in Loop: Header=BB54_7 Depth=2
	global_load_dwordx2 v[2:3], v[0:1], off offset:128
.LBB54_21:                              ;   in Loop: Header=BB54_7 Depth=2
	s_andn2_saveexec_b64 s[4:5], s[4:5]
	s_cbranch_execz .LBB54_23
; %bb.22:                               ;   in Loop: Header=BB54_7 Depth=2
	v_cndmask_b32_e64 v15, 0, v19, s[18:19]
	s_waitcnt vmcnt(0)
	v_mov_b64_e32 v[2:3], v[14:15]
.LBB54_23:                              ;   in Loop: Header=BB54_7 Depth=2
	s_or_b64 exec, exec, s[4:5]
	s_or_b64 s[4:5], s[8:9], s[12:13]
	s_or_b64 s[4:5], s[16:17], s[4:5]
	s_nor_b64 s[4:5], s[4:5], s[10:11]
	s_waitcnt vmcnt(0)
	ds_write_b64 v56, v[2:3] offset:4096
	s_and_saveexec_b64 s[12:13], s[4:5]
	s_xor_b64 s[4:5], exec, s[12:13]
	s_cbranch_execz .LBB54_25
; %bb.24:                               ;   in Loop: Header=BB54_7 Depth=2
	global_load_dwordx2 v[0:1], v[52:53], off offset:128
	s_waitcnt vmcnt(0)
	ds_write_b64 v56, v[0:1] offset:4224
.LBB54_25:                              ;   in Loop: Header=BB54_7 Depth=2
	s_andn2_saveexec_b64 s[4:5], s[4:5]
	s_cbranch_execz .LBB54_31
; %bb.26:                               ;   in Loop: Header=BB54_7 Depth=2
	s_xor_b64 s[10:11], s[10:11], -1
	s_and_saveexec_b64 s[12:13], s[10:11]
	s_xor_b64 s[10:11], exec, s[12:13]
; %bb.27:                               ;   in Loop: Header=BB54_7 Depth=2
	ds_write_b64 v56, v[20:21] offset:4224
; %bb.28:                               ;   in Loop: Header=BB54_7 Depth=2
	s_andn2_saveexec_b64 s[10:11], s[10:11]
; %bb.29:                               ;   in Loop: Header=BB54_7 Depth=2
	ds_write_b64 v56, v[18:19] offset:4224
; %bb.30:                               ;   in Loop: Header=BB54_7 Depth=2
	s_or_b64 exec, exec, s[10:11]
.LBB54_31:                              ;   in Loop: Header=BB54_7 Depth=2
	s_or_b64 exec, exec, s[4:5]
	v_lshl_add_u64 v[0:1], v[10:11], 0, s[42:43]
	v_cmp_le_i64_e64 s[10:11], s[38:39], v[0:1]
	v_lshl_add_u64 v[2:3], v[32:33], 0, v[50:51]
	s_nor_b64 s[12:13], s[10:11], vcc
	v_mov_b64_e32 v[52:53], 0
	s_and_saveexec_b64 s[4:5], s[12:13]
	s_cbranch_execz .LBB54_33
; %bb.32:                               ;   in Loop: Header=BB54_7 Depth=2
	global_load_dwordx2 v[52:53], v[2:3], off offset:-128
.LBB54_33:                              ;   in Loop: Header=BB54_7 Depth=2
	s_or_b64 exec, exec, s[4:5]
	s_nor_b64 s[4:5], s[10:11], s[0:1]
	s_waitcnt vmcnt(0)
	ds_write_b64 v58, v[52:53]
	s_and_saveexec_b64 s[10:11], s[4:5]
	s_xor_b64 s[4:5], exec, s[10:11]
	s_cbranch_execz .LBB54_35
; %bb.34:                               ;   in Loop: Header=BB54_7 Depth=2
	global_load_dwordx2 v[2:3], v[2:3], off
	s_waitcnt vmcnt(0)
	ds_write_b64 v58, v[2:3] offset:128
.LBB54_35:                              ;   in Loop: Header=BB54_7 Depth=2
	s_andn2_saveexec_b64 s[4:5], s[4:5]
; %bb.36:                               ;   in Loop: Header=BB54_7 Depth=2
	ds_write_b64 v58, v[20:21] offset:128
; %bb.37:                               ;   in Loop: Header=BB54_7 Depth=2
	s_or_b64 exec, exec, s[4:5]
	v_cmp_le_i64_e64 s[10:11], s[58:59], v[0:1]
	v_lshl_add_u64 v[0:1], v[42:43], 0, v[50:51]
	s_nor_b64 s[12:13], s[10:11], vcc
	v_mov_b64_e32 v[2:3], 0
	s_and_saveexec_b64 s[4:5], s[12:13]
	s_cbranch_execz .LBB54_39
; %bb.38:                               ;   in Loop: Header=BB54_7 Depth=2
	global_load_dwordx2 v[2:3], v[0:1], off
.LBB54_39:                              ;   in Loop: Header=BB54_7 Depth=2
	s_or_b64 exec, exec, s[4:5]
	s_nor_b64 s[4:5], s[10:11], s[0:1]
	s_waitcnt vmcnt(0)
	ds_write_b64 v58, v[2:3] offset:4096
	s_and_saveexec_b64 s[10:11], s[4:5]
	s_xor_b64 s[4:5], exec, s[10:11]
	s_cbranch_execz .LBB54_41
; %bb.40:                               ;   in Loop: Header=BB54_7 Depth=2
	global_load_dwordx2 v[0:1], v[0:1], off offset:128
	s_waitcnt vmcnt(0)
	ds_write_b64 v58, v[0:1] offset:4224
.LBB54_41:                              ;   in Loop: Header=BB54_7 Depth=2
	s_andn2_saveexec_b64 s[4:5], s[4:5]
	s_cbranch_execz .LBB54_6
; %bb.42:                               ;   in Loop: Header=BB54_7 Depth=2
	ds_write_b64 v58, v[20:21] offset:4224
	s_branch .LBB54_6
.LBB54_43:                              ;   in Loop: Header=BB54_4 Depth=1
	v_mov_b64_e32 v[36:37], 0
	v_mov_b64_e32 v[30:31], 0
	;; [unrolled: 1-line block ×4, first 2 shown]
.LBB54_44:                              ;   in Loop: Header=BB54_4 Depth=1
	v_mul_lo_u32 v2, s53, v22
	v_mul_lo_u32 v3, s52, v23
	v_mad_u64_u32 v[0:1], s[4:5], s52, v22, 0
	v_cmp_gt_i32_e64 s[6:7], s38, v22
	v_add3_u32 v1, v1, v3, v2
	v_lshl_add_u64 v[0:1], v[0:1], 3, s[28:29]
	s_and_b64 s[8:9], s[20:21], s[6:7]
	s_and_saveexec_b64 s[4:5], s[8:9]
	s_cbranch_execz .LBB54_46
; %bb.45:                               ;   in Loop: Header=BB54_4 Depth=1
	v_lshl_add_u64 v[2:3], v[4:5], 3, v[0:1]
	global_load_dwordx2 v[28:29], v[2:3], off
	s_waitcnt vmcnt(0)
	v_fmac_f64_e32 v[28:29], s[34:35], v[36:37]
	global_store_dwordx2 v[2:3], v[28:29], off
.LBB54_46:                              ;   in Loop: Header=BB54_4 Depth=1
	s_or_b64 exec, exec, s[4:5]
	s_and_b64 s[6:7], s[22:23], s[6:7]
	s_and_saveexec_b64 s[4:5], s[6:7]
	s_cbranch_execz .LBB54_48
; %bb.47:                               ;   in Loop: Header=BB54_4 Depth=1
	v_lshl_add_u64 v[0:1], v[6:7], 3, v[0:1]
	global_load_dwordx2 v[2:3], v[0:1], off
	s_waitcnt vmcnt(0)
	v_fmac_f64_e32 v[2:3], s[34:35], v[30:31]
	global_store_dwordx2 v[0:1], v[2:3], off
.LBB54_48:                              ;   in Loop: Header=BB54_4 Depth=1
	s_or_b64 exec, exec, s[4:5]
	v_add_u32_e32 v0, 16, v22
	v_ashrrev_i32_e32 v1, 31, v0
	v_cmp_gt_i32_e64 s[6:7], s38, v0
	v_mul_lo_u32 v2, s52, v1
	v_mul_lo_u32 v3, s53, v0
	v_mad_u64_u32 v[0:1], s[4:5], s52, v0, 0
	v_add3_u32 v1, v1, v2, v3
	v_lshl_add_u64 v[0:1], v[0:1], 3, s[28:29]
	s_and_b64 s[8:9], s[20:21], s[6:7]
	s_and_saveexec_b64 s[4:5], s[8:9]
	s_cbranch_execz .LBB54_50
; %bb.49:                               ;   in Loop: Header=BB54_4 Depth=1
	v_lshl_add_u64 v[2:3], v[4:5], 3, v[0:1]
	global_load_dwordx2 v[22:23], v[2:3], off
	s_waitcnt vmcnt(0)
	v_fmac_f64_e32 v[22:23], s[34:35], v[26:27]
	global_store_dwordx2 v[2:3], v[22:23], off
.LBB54_50:                              ;   in Loop: Header=BB54_4 Depth=1
	s_or_b64 exec, exec, s[4:5]
	s_and_b64 s[6:7], s[22:23], s[6:7]
	s_and_saveexec_b64 s[4:5], s[6:7]
	s_cbranch_execz .LBB54_3
; %bb.51:                               ;   in Loop: Header=BB54_4 Depth=1
	v_lshl_add_u64 v[0:1], v[6:7], 3, v[0:1]
	global_load_dwordx2 v[2:3], v[0:1], off
	s_waitcnt vmcnt(0)
	v_fmac_f64_e32 v[2:3], s[34:35], v[24:25]
	global_store_dwordx2 v[0:1], v[2:3], off
	s_branch .LBB54_3
.LBB54_52:
	s_endpgm
	.section	.rodata,"a",@progbits
	.p2align	6, 0x0
	.amdhsa_kernel _ZL30rocblas_trmm_outofplace_kernelIdLi32ELi2ELb0ELb1ELb1ELb0EPKdS0_dEv17rocblas_diagonal_iiT6_lPT7_lllS5_lllPT8_llli
		.amdhsa_group_segment_fixed_size 16384
		.amdhsa_private_segment_fixed_size 0
		.amdhsa_kernarg_size 392
		.amdhsa_user_sgpr_count 2
		.amdhsa_user_sgpr_dispatch_ptr 0
		.amdhsa_user_sgpr_queue_ptr 0
		.amdhsa_user_sgpr_kernarg_segment_ptr 1
		.amdhsa_user_sgpr_dispatch_id 0
		.amdhsa_user_sgpr_kernarg_preload_length 0
		.amdhsa_user_sgpr_kernarg_preload_offset 0
		.amdhsa_user_sgpr_private_segment_size 0
		.amdhsa_uses_dynamic_stack 0
		.amdhsa_enable_private_segment 0
		.amdhsa_system_sgpr_workgroup_id_x 1
		.amdhsa_system_sgpr_workgroup_id_y 1
		.amdhsa_system_sgpr_workgroup_id_z 1
		.amdhsa_system_sgpr_workgroup_info 0
		.amdhsa_system_vgpr_workitem_id 1
		.amdhsa_next_free_vgpr 82
		.amdhsa_next_free_sgpr 65
		.amdhsa_accum_offset 84
		.amdhsa_reserve_vcc 1
		.amdhsa_float_round_mode_32 0
		.amdhsa_float_round_mode_16_64 0
		.amdhsa_float_denorm_mode_32 3
		.amdhsa_float_denorm_mode_16_64 3
		.amdhsa_dx10_clamp 1
		.amdhsa_ieee_mode 1
		.amdhsa_fp16_overflow 0
		.amdhsa_tg_split 0
		.amdhsa_exception_fp_ieee_invalid_op 0
		.amdhsa_exception_fp_denorm_src 0
		.amdhsa_exception_fp_ieee_div_zero 0
		.amdhsa_exception_fp_ieee_overflow 0
		.amdhsa_exception_fp_ieee_underflow 0
		.amdhsa_exception_fp_ieee_inexact 0
		.amdhsa_exception_int_div_zero 0
	.end_amdhsa_kernel
	.section	.text._ZL30rocblas_trmm_outofplace_kernelIdLi32ELi2ELb0ELb1ELb1ELb0EPKdS0_dEv17rocblas_diagonal_iiT6_lPT7_lllS5_lllPT8_llli,"axG",@progbits,_ZL30rocblas_trmm_outofplace_kernelIdLi32ELi2ELb0ELb1ELb1ELb0EPKdS0_dEv17rocblas_diagonal_iiT6_lPT7_lllS5_lllPT8_llli,comdat
.Lfunc_end54:
	.size	_ZL30rocblas_trmm_outofplace_kernelIdLi32ELi2ELb0ELb1ELb1ELb0EPKdS0_dEv17rocblas_diagonal_iiT6_lPT7_lllS5_lllPT8_llli, .Lfunc_end54-_ZL30rocblas_trmm_outofplace_kernelIdLi32ELi2ELb0ELb1ELb1ELb0EPKdS0_dEv17rocblas_diagonal_iiT6_lPT7_lllS5_lllPT8_llli
                                        ; -- End function
	.set _ZL30rocblas_trmm_outofplace_kernelIdLi32ELi2ELb0ELb1ELb1ELb0EPKdS0_dEv17rocblas_diagonal_iiT6_lPT7_lllS5_lllPT8_llli.num_vgpr, 82
	.set _ZL30rocblas_trmm_outofplace_kernelIdLi32ELi2ELb0ELb1ELb1ELb0EPKdS0_dEv17rocblas_diagonal_iiT6_lPT7_lllS5_lllPT8_llli.num_agpr, 0
	.set _ZL30rocblas_trmm_outofplace_kernelIdLi32ELi2ELb0ELb1ELb1ELb0EPKdS0_dEv17rocblas_diagonal_iiT6_lPT7_lllS5_lllPT8_llli.numbered_sgpr, 65
	.set _ZL30rocblas_trmm_outofplace_kernelIdLi32ELi2ELb0ELb1ELb1ELb0EPKdS0_dEv17rocblas_diagonal_iiT6_lPT7_lllS5_lllPT8_llli.num_named_barrier, 0
	.set _ZL30rocblas_trmm_outofplace_kernelIdLi32ELi2ELb0ELb1ELb1ELb0EPKdS0_dEv17rocblas_diagonal_iiT6_lPT7_lllS5_lllPT8_llli.private_seg_size, 0
	.set _ZL30rocblas_trmm_outofplace_kernelIdLi32ELi2ELb0ELb1ELb1ELb0EPKdS0_dEv17rocblas_diagonal_iiT6_lPT7_lllS5_lllPT8_llli.uses_vcc, 1
	.set _ZL30rocblas_trmm_outofplace_kernelIdLi32ELi2ELb0ELb1ELb1ELb0EPKdS0_dEv17rocblas_diagonal_iiT6_lPT7_lllS5_lllPT8_llli.uses_flat_scratch, 0
	.set _ZL30rocblas_trmm_outofplace_kernelIdLi32ELi2ELb0ELb1ELb1ELb0EPKdS0_dEv17rocblas_diagonal_iiT6_lPT7_lllS5_lllPT8_llli.has_dyn_sized_stack, 0
	.set _ZL30rocblas_trmm_outofplace_kernelIdLi32ELi2ELb0ELb1ELb1ELb0EPKdS0_dEv17rocblas_diagonal_iiT6_lPT7_lllS5_lllPT8_llli.has_recursion, 0
	.set _ZL30rocblas_trmm_outofplace_kernelIdLi32ELi2ELb0ELb1ELb1ELb0EPKdS0_dEv17rocblas_diagonal_iiT6_lPT7_lllS5_lllPT8_llli.has_indirect_call, 0
	.section	.AMDGPU.csdata,"",@progbits
; Kernel info:
; codeLenInByte = 3052
; TotalNumSgprs: 71
; NumVgprs: 82
; NumAgprs: 0
; TotalNumVgprs: 82
; ScratchSize: 0
; MemoryBound: 0
; FloatMode: 240
; IeeeMode: 1
; LDSByteSize: 16384 bytes/workgroup (compile time only)
; SGPRBlocks: 8
; VGPRBlocks: 10
; NumSGPRsForWavesPerEU: 71
; NumVGPRsForWavesPerEU: 82
; AccumOffset: 84
; Occupancy: 5
; WaveLimiterHint : 0
; COMPUTE_PGM_RSRC2:SCRATCH_EN: 0
; COMPUTE_PGM_RSRC2:USER_SGPR: 2
; COMPUTE_PGM_RSRC2:TRAP_HANDLER: 0
; COMPUTE_PGM_RSRC2:TGID_X_EN: 1
; COMPUTE_PGM_RSRC2:TGID_Y_EN: 1
; COMPUTE_PGM_RSRC2:TGID_Z_EN: 1
; COMPUTE_PGM_RSRC2:TIDIG_COMP_CNT: 1
; COMPUTE_PGM_RSRC3_GFX90A:ACCUM_OFFSET: 20
; COMPUTE_PGM_RSRC3_GFX90A:TG_SPLIT: 0
	.section	.text._ZL30rocblas_trmm_outofplace_kernelIdLi32ELi2ELb0ELb1ELb1ELb0EdKddEv17rocblas_diagonal_iiT6_lPT7_lllS4_lllPT8_llli,"axG",@progbits,_ZL30rocblas_trmm_outofplace_kernelIdLi32ELi2ELb0ELb1ELb1ELb0EdKddEv17rocblas_diagonal_iiT6_lPT7_lllS4_lllPT8_llli,comdat
	.globl	_ZL30rocblas_trmm_outofplace_kernelIdLi32ELi2ELb0ELb1ELb1ELb0EdKddEv17rocblas_diagonal_iiT6_lPT7_lllS4_lllPT8_llli ; -- Begin function _ZL30rocblas_trmm_outofplace_kernelIdLi32ELi2ELb0ELb1ELb1ELb0EdKddEv17rocblas_diagonal_iiT6_lPT7_lllS4_lllPT8_llli
	.p2align	8
	.type	_ZL30rocblas_trmm_outofplace_kernelIdLi32ELi2ELb0ELb1ELb1ELb0EdKddEv17rocblas_diagonal_iiT6_lPT7_lllS4_lllPT8_llli,@function
_ZL30rocblas_trmm_outofplace_kernelIdLi32ELi2ELb0ELb1ELb1ELb0EdKddEv17rocblas_diagonal_iiT6_lPT7_lllS4_lllPT8_llli: ; @_ZL30rocblas_trmm_outofplace_kernelIdLi32ELi2ELb0ELb1ELb1ELb0EdKddEv17rocblas_diagonal_iiT6_lPT7_lllS4_lllPT8_llli
; %bb.0:
	s_load_dwordx2 s[34:35], s[0:1], 0x10
	s_waitcnt lgkmcnt(0)
	v_cmp_eq_f64_e64 s[6:7], s[34:35], 0
	s_and_b64 vcc, exec, s[6:7]
	s_cbranch_vccnz .LBB55_52
; %bb.1:
	s_load_dwordx4 s[28:31], s[0:1], 0x0
	s_waitcnt lgkmcnt(0)
	s_add_i32 s5, s30, -1
	s_ashr_i32 s6, s5, 31
	s_lshr_b32 s6, s6, 27
	s_add_i32 s5, s5, s6
	s_ashr_i32 s33, s5, 5
	s_cmp_gt_i32 s3, s33
	s_cbranch_scc1 .LBB55_52
; %bb.2:
	s_load_dwordx8 s[20:27], s[0:1], 0x60
	s_load_dwordx16 s[36:51], s[0:1], 0x20
	v_and_b32_e32 v2, 0x3ff, v0
	v_lshl_add_u32 v4, s2, 5, v2
	v_bfe_u32 v54, v0, 10, 10
	s_waitcnt lgkmcnt(0)
	s_mul_i32 s5, s27, s4
	s_mul_hi_u32 s7, s26, s4
	s_mul_i32 s6, s26, s4
	s_add_i32 s7, s7, s5
	s_lshl_b64 s[6:7], s[6:7], 3
	s_add_u32 s5, s20, s6
	s_addc_u32 s8, s21, s7
	s_lshl_b64 s[6:7], s[22:23], 3
	s_add_u32 s26, s5, s6
	s_addc_u32 s27, s8, s7
	s_cmpk_eq_i32 s28, 0x84
	s_cselect_b64 s[52:53], -1, 0
	s_ashr_i32 s2, s29, 31
	v_mov_b32_e32 v1, s2
	s_load_dword s2, s[0:1], 0x8c
	s_ashr_i32 s31, s30, 31
	s_lshl_b64 s[54:55], s[40:41], 8
	s_lshl_b64 s[56:57], s[48:49], 8
	s_add_u32 s58, s30, -16
	s_addc_u32 s59, s31, -1
	s_lshl_b32 s5, s3, 5
	s_waitcnt lgkmcnt(0)
	s_lshl_b32 s64, s2, 5
	v_add_u32_e32 v8, s5, v2
	v_add_u32_e32 v10, s5, v54
	s_add_u32 s60, s44, 0x80
	s_mul_i32 s5, s51, s4
	s_mul_hi_u32 s6, s50, s4
	s_addc_u32 s61, s45, 0
	s_add_i32 s7, s6, s5
	s_mul_i32 s6, s50, s4
	s_lshl_b64 s[62:63], s[48:49], 3
	s_lshl_b64 s[6:7], s[6:7], 3
	;; [unrolled: 1-line block ×3, first 2 shown]
	s_add_u32 s6, s6, s8
	v_ashrrev_i32_e32 v5, 31, v4
	s_addc_u32 s7, s7, s9
	v_lshl_add_u64 v[12:13], v[4:5], 3, s[6:7]
	s_mul_i32 s5, s43, s4
	s_mul_hi_u32 s6, s42, s4
	s_add_i32 s5, s6, s5
	s_mul_i32 s4, s42, s4
	s_lshl_b64 s[4:5], s[4:5], 3
	s_lshl_b64 s[6:7], s[38:39], 3
	s_add_u32 s4, s4, s6
	v_lshlrev_b32_e32 v3, 3, v2
	v_sub_co_u32_e32 v0, vcc, s29, v4
	s_addc_u32 s5, s5, s7
	v_lshlrev_b32_e32 v55, 8, v54
	v_subb_co_u32_e32 v1, vcc, v1, v5, vcc
	v_or_b32_e32 v57, 0x2000, v3
	v_add_u32_e32 v6, 16, v4
	s_add_u32 s36, s36, s4
	v_mov_b32_e32 v14, 0
	v_add_u32_e32 v56, v55, v3
	v_add_u32_e32 v58, v57, v55
	v_cmp_gt_i64_e32 vcc, 1, v[0:1]
	v_cmp_gt_i64_e64 s[0:1], 17, v[0:1]
	v_cmp_gt_i32_e64 s[20:21], s29, v4
	v_cmp_gt_i32_e64 s[22:23], s29, v6
	v_ashrrev_i32_e32 v7, 31, v6
	s_mov_b64 s[28:29], 0x80
	s_addc_u32 s37, s37, s5
	s_lshl_b64 s[38:39], s[40:41], 3
	v_mov_b64_e32 v[16:17], 0x80
	v_mov_b32_e32 v19, 0x3ff00000
	v_mov_b32_e32 v20, 0
	;; [unrolled: 1-line block ×4, first 2 shown]
	v_add_u32_e32 v59, 0x800, v57
	v_add_u32_e32 v60, 0x1000, v57
	;; [unrolled: 1-line block ×3, first 2 shown]
	s_branch .LBB55_4
.LBB55_3:                               ;   in Loop: Header=BB55_4 Depth=1
	s_or_b64 exec, exec, s[4:5]
	s_add_i32 s3, s2, s3
	v_add_u32_e32 v8, s64, v8
	s_cmp_le_i32 s3, s33
	v_add_u32_e32 v10, s64, v10
	s_cbranch_scc0 .LBB55_52
.LBB55_4:                               ; =>This Loop Header: Depth=1
                                        ;     Child Loop BB55_7 Depth 2
	s_lshl_b32 s4, s3, 5
	v_add_u32_e32 v22, s4, v54
	s_sub_i32 s46, s30, s4
	v_ashrrev_i32_e32 v9, 31, v8
	v_ashrrev_i32_e32 v11, 31, v10
	s_cmp_lt_i32 s46, 1
	v_ashrrev_i32_e32 v23, 31, v22
	s_cbranch_scc1 .LBB55_43
; %bb.5:                                ;   in Loop: Header=BB55_4 Depth=1
	v_sub_co_u32_e64 v28, s[4:5], v10, v8
	v_mov_b64_e32 v[0:1], s[60:61]
	s_nop 0
	v_subb_co_u32_e64 v29, s[4:5], v11, v9, s[4:5]
	v_mad_u64_u32 v[32:33], s[4:5], s62, v10, v[0:1]
	v_mul_lo_u32 v0, s62, v11
	v_mul_lo_u32 v1, s63, v10
	v_add3_u32 v33, v1, v33, v0
	v_lshl_add_u64 v[0:1], v[8:9], 3, v[16:17]
	v_mov_b64_e32 v[2:3], s[36:37]
	v_mul_lo_u32 v1, s40, v1
	v_mul_lo_u32 v15, s41, v0
	v_mad_u64_u32 v[38:39], s[4:5], s40, v0, v[2:3]
	v_lshlrev_b64 v[34:35], 3, v[10:11]
	v_add3_u32 v39, v15, v39, v1
	v_mad_u64_u32 v[40:41], s[4:5], s38, v8, v[2:3]
	v_mul_lo_u32 v0, s38, v9
	v_mul_lo_u32 v1, s39, v8
	v_add3_u32 v41, v1, v41, v0
	v_lshl_add_u64 v[0:1], v[34:35], 0, s[28:29]
	v_mov_b64_e32 v[2:3], s[44:45]
	v_mul_lo_u32 v1, s48, v1
	v_mul_lo_u32 v15, s49, v0
	v_mad_u64_u32 v[42:43], s[4:5], s48, v0, v[2:3]
	v_lshl_add_u64 v[44:45], v[22:23], 0, 16
	v_add3_u32 v43, v15, v43, v1
	v_cmp_le_i32_e64 s[6:7], s30, v22
	v_cmp_le_i64_e64 s[8:9], s[30:31], v[44:45]
	v_lshl_add_u64 v[46:47], v[28:29], 0, 16
	v_lshl_add_u64 v[48:49], v[28:29], 0, -16
	v_mov_b64_e32 v[24:25], 0
	s_mov_b64 s[42:43], 0
	v_mov_b64_e32 v[50:51], v[12:13]
	v_mov_b64_e32 v[26:27], 0
	;; [unrolled: 1-line block ×4, first 2 shown]
	s_branch .LBB55_7
.LBB55_6:                               ;   in Loop: Header=BB55_7 Depth=2
	s_or_b64 exec, exec, s[4:5]
	s_waitcnt lgkmcnt(0)
	s_barrier
	ds_read_b128 v[62:65], v55
	ds_read_b128 v[66:69], v55 offset:16
	ds_read_b128 v[70:73], v55 offset:32
	;; [unrolled: 1-line block ×3, first 2 shown]
	ds_read2_b64 v[74:77], v57 offset1:16
	ds_read_b128 v[78:81], v55 offset:4096
	s_add_u32 s42, s42, 32
	s_addc_u32 s43, s43, 0
	v_lshl_add_u64 v[50:51], v[50:51], 0, s[56:57]
	s_waitcnt lgkmcnt(1)
	v_fmac_f64_e32 v[36:37], v[74:75], v[62:63]
	v_fmac_f64_e32 v[30:31], v[76:77], v[62:63]
	s_waitcnt lgkmcnt(0)
	v_fmac_f64_e32 v[26:27], v[74:75], v[78:79]
	v_fmac_f64_e32 v[24:25], v[76:77], v[78:79]
	ds_read2_b64 v[74:77], v57 offset0:32 offset1:48
	v_lshl_add_u64 v[38:39], v[38:39], 0, s[54:55]
	v_lshl_add_u64 v[40:41], v[40:41], 0, s[54:55]
	s_cmp_ge_i32 s42, s46
	s_waitcnt lgkmcnt(0)
	v_fmac_f64_e32 v[36:37], v[74:75], v[64:65]
	v_fmac_f64_e32 v[30:31], v[76:77], v[64:65]
	v_fmac_f64_e32 v[26:27], v[74:75], v[80:81]
	v_fmac_f64_e32 v[24:25], v[76:77], v[80:81]
	ds_read2_b64 v[62:65], v57 offset0:64 offset1:80
	ds_read_b128 v[74:77], v55 offset:4112
	s_waitcnt lgkmcnt(1)
	v_fmac_f64_e32 v[36:37], v[62:63], v[66:67]
	v_fmac_f64_e32 v[30:31], v[64:65], v[66:67]
	s_waitcnt lgkmcnt(0)
	v_fmac_f64_e32 v[26:27], v[62:63], v[74:75]
	v_fmac_f64_e32 v[24:25], v[64:65], v[74:75]
	ds_read2_b64 v[62:65], v57 offset0:96 offset1:112
	s_waitcnt lgkmcnt(0)
	v_fmac_f64_e32 v[36:37], v[62:63], v[68:69]
	v_fmac_f64_e32 v[30:31], v[64:65], v[68:69]
	v_fmac_f64_e32 v[26:27], v[62:63], v[76:77]
	v_fmac_f64_e32 v[24:25], v[64:65], v[76:77]
	ds_read2_b64 v[62:65], v57 offset0:128 offset1:144
	ds_read_b128 v[66:69], v55 offset:4128
	s_waitcnt lgkmcnt(1)
	v_fmac_f64_e32 v[36:37], v[62:63], v[70:71]
	v_fmac_f64_e32 v[30:31], v[64:65], v[70:71]
	s_waitcnt lgkmcnt(0)
	v_fmac_f64_e32 v[26:27], v[62:63], v[66:67]
	v_fmac_f64_e32 v[24:25], v[64:65], v[66:67]
	ds_read2_b64 v[62:65], v57 offset0:160 offset1:176
	;; [unrolled: 14-line block ×3, first 2 shown]
	s_waitcnt lgkmcnt(0)
	v_fmac_f64_e32 v[36:37], v[62:63], v[2:3]
	v_fmac_f64_e32 v[30:31], v[64:65], v[2:3]
	v_fmac_f64_e32 v[26:27], v[62:63], v[68:69]
	v_fmac_f64_e32 v[24:25], v[64:65], v[68:69]
	ds_read_b128 v[0:3], v55 offset:64
	ds_read2_b64 v[62:65], v59 offset1:16
	ds_read_b128 v[66:69], v55 offset:4160
	s_waitcnt lgkmcnt(1)
	v_fmac_f64_e32 v[36:37], v[62:63], v[0:1]
	v_fmac_f64_e32 v[30:31], v[64:65], v[0:1]
	s_waitcnt lgkmcnt(0)
	v_fmac_f64_e32 v[26:27], v[62:63], v[66:67]
	v_fmac_f64_e32 v[24:25], v[64:65], v[66:67]
	ds_read2_b64 v[62:65], v59 offset0:32 offset1:48
	s_waitcnt lgkmcnt(0)
	v_fmac_f64_e32 v[36:37], v[62:63], v[2:3]
	v_fmac_f64_e32 v[30:31], v[64:65], v[2:3]
	v_fmac_f64_e32 v[26:27], v[62:63], v[68:69]
	v_fmac_f64_e32 v[24:25], v[64:65], v[68:69]
	ds_read_b128 v[0:3], v55 offset:80
	ds_read2_b64 v[62:65], v59 offset0:64 offset1:80
	ds_read_b128 v[66:69], v55 offset:4176
	s_waitcnt lgkmcnt(1)
	v_fmac_f64_e32 v[36:37], v[62:63], v[0:1]
	v_fmac_f64_e32 v[30:31], v[64:65], v[0:1]
	s_waitcnt lgkmcnt(0)
	v_fmac_f64_e32 v[26:27], v[62:63], v[66:67]
	v_fmac_f64_e32 v[24:25], v[64:65], v[66:67]
	ds_read2_b64 v[62:65], v59 offset0:96 offset1:112
	s_waitcnt lgkmcnt(0)
	v_fmac_f64_e32 v[36:37], v[62:63], v[2:3]
	v_fmac_f64_e32 v[30:31], v[64:65], v[2:3]
	v_fmac_f64_e32 v[26:27], v[62:63], v[68:69]
	v_fmac_f64_e32 v[24:25], v[64:65], v[68:69]
	ds_read_b128 v[0:3], v55 offset:96
	ds_read2_b64 v[62:65], v59 offset0:128 offset1:144
	ds_read_b128 v[66:69], v55 offset:4192
	s_waitcnt lgkmcnt(1)
	v_fmac_f64_e32 v[36:37], v[62:63], v[0:1]
	v_fmac_f64_e32 v[30:31], v[64:65], v[0:1]
	s_waitcnt lgkmcnt(0)
	v_fmac_f64_e32 v[26:27], v[62:63], v[66:67]
	v_fmac_f64_e32 v[24:25], v[64:65], v[66:67]
	ds_read2_b64 v[62:65], v59 offset0:160 offset1:176
	s_waitcnt lgkmcnt(0)
	v_fmac_f64_e32 v[36:37], v[62:63], v[2:3]
	v_fmac_f64_e32 v[30:31], v[64:65], v[2:3]
	v_fmac_f64_e32 v[26:27], v[62:63], v[68:69]
	v_fmac_f64_e32 v[24:25], v[64:65], v[68:69]
	ds_read_b128 v[0:3], v55 offset:112
	ds_read2_b64 v[62:65], v59 offset0:192 offset1:208
	ds_read_b128 v[66:69], v55 offset:4208
	s_waitcnt lgkmcnt(1)
	v_fmac_f64_e32 v[36:37], v[62:63], v[0:1]
	v_fmac_f64_e32 v[30:31], v[64:65], v[0:1]
	s_waitcnt lgkmcnt(0)
	v_fmac_f64_e32 v[26:27], v[62:63], v[66:67]
	v_fmac_f64_e32 v[24:25], v[64:65], v[66:67]
	ds_read2_b64 v[62:65], v59 offset0:224 offset1:240
	s_waitcnt lgkmcnt(0)
	v_fmac_f64_e32 v[36:37], v[62:63], v[2:3]
	v_fmac_f64_e32 v[30:31], v[64:65], v[2:3]
	v_fmac_f64_e32 v[26:27], v[62:63], v[68:69]
	v_fmac_f64_e32 v[24:25], v[64:65], v[68:69]
	ds_read_b128 v[0:3], v55 offset:128
	ds_read2_b64 v[62:65], v60 offset1:16
	ds_read_b128 v[66:69], v55 offset:4224
	s_waitcnt lgkmcnt(1)
	v_fmac_f64_e32 v[36:37], v[62:63], v[0:1]
	v_fmac_f64_e32 v[30:31], v[64:65], v[0:1]
	s_waitcnt lgkmcnt(0)
	v_fmac_f64_e32 v[26:27], v[62:63], v[66:67]
	v_fmac_f64_e32 v[24:25], v[64:65], v[66:67]
	ds_read2_b64 v[62:65], v60 offset0:32 offset1:48
	s_waitcnt lgkmcnt(0)
	v_fmac_f64_e32 v[36:37], v[62:63], v[2:3]
	v_fmac_f64_e32 v[30:31], v[64:65], v[2:3]
	v_fmac_f64_e32 v[26:27], v[62:63], v[68:69]
	v_fmac_f64_e32 v[24:25], v[64:65], v[68:69]
	ds_read_b128 v[0:3], v55 offset:144
	ds_read2_b64 v[62:65], v60 offset0:64 offset1:80
	ds_read_b128 v[66:69], v55 offset:4240
	s_waitcnt lgkmcnt(1)
	v_fmac_f64_e32 v[36:37], v[62:63], v[0:1]
	v_fmac_f64_e32 v[30:31], v[64:65], v[0:1]
	s_waitcnt lgkmcnt(0)
	v_fmac_f64_e32 v[26:27], v[62:63], v[66:67]
	v_fmac_f64_e32 v[24:25], v[64:65], v[66:67]
	ds_read2_b64 v[62:65], v60 offset0:96 offset1:112
	s_waitcnt lgkmcnt(0)
	v_fmac_f64_e32 v[36:37], v[62:63], v[2:3]
	v_fmac_f64_e32 v[30:31], v[64:65], v[2:3]
	v_fmac_f64_e32 v[26:27], v[62:63], v[68:69]
	v_fmac_f64_e32 v[24:25], v[64:65], v[68:69]
	ds_read_b128 v[0:3], v55 offset:160
	ds_read2_b64 v[62:65], v60 offset0:128 offset1:144
	ds_read_b128 v[66:69], v55 offset:4256
	s_waitcnt lgkmcnt(1)
	v_fmac_f64_e32 v[36:37], v[62:63], v[0:1]
	v_fmac_f64_e32 v[30:31], v[64:65], v[0:1]
	s_waitcnt lgkmcnt(0)
	v_fmac_f64_e32 v[26:27], v[62:63], v[66:67]
	v_fmac_f64_e32 v[24:25], v[64:65], v[66:67]
	ds_read2_b64 v[62:65], v60 offset0:160 offset1:176
	s_waitcnt lgkmcnt(0)
	v_fmac_f64_e32 v[36:37], v[62:63], v[2:3]
	v_fmac_f64_e32 v[30:31], v[64:65], v[2:3]
	v_fmac_f64_e32 v[26:27], v[62:63], v[68:69]
	v_fmac_f64_e32 v[24:25], v[64:65], v[68:69]
	ds_read_b128 v[0:3], v55 offset:176
	ds_read2_b64 v[62:65], v60 offset0:192 offset1:208
	ds_read_b128 v[66:69], v55 offset:4272
	s_waitcnt lgkmcnt(1)
	v_fmac_f64_e32 v[36:37], v[62:63], v[0:1]
	v_fmac_f64_e32 v[30:31], v[64:65], v[0:1]
	s_waitcnt lgkmcnt(0)
	v_fmac_f64_e32 v[26:27], v[62:63], v[66:67]
	v_fmac_f64_e32 v[24:25], v[64:65], v[66:67]
	ds_read2_b64 v[62:65], v60 offset0:224 offset1:240
	;; [unrolled: 60-line block ×3, first 2 shown]
	s_waitcnt lgkmcnt(0)
	s_barrier
	v_fmac_f64_e32 v[36:37], v[62:63], v[2:3]
	v_fmac_f64_e32 v[30:31], v[64:65], v[2:3]
	;; [unrolled: 1-line block ×4, first 2 shown]
	s_cbranch_scc1 .LBB55_44
.LBB55_7:                               ;   Parent Loop BB55_4 Depth=1
                                        ; =>  This Inner Loop Header: Depth=2
	v_lshl_add_u64 v[2:3], v[8:9], 0, s[42:43]
	v_cmp_eq_u64_e64 s[4:5], s[42:43], v[28:29]
	v_cmp_lt_i64_e64 s[12:13], v[2:3], v[22:23]
	s_and_b64 s[10:11], s[52:53], s[4:5]
	v_cmp_le_i64_e64 s[14:15], s[30:31], v[2:3]
	s_or_b64 s[4:5], s[6:7], s[12:13]
	s_or_b64 s[4:5], s[14:15], s[4:5]
	v_lshl_add_u64 v[0:1], v[40:41], 0, v[34:35]
	s_nor_b64 s[4:5], s[4:5], s[10:11]
                                        ; implicit-def: $vgpr52_vgpr53
	s_and_saveexec_b64 s[16:17], s[4:5]
	s_xor_b64 s[4:5], exec, s[16:17]
	s_cbranch_execz .LBB55_9
; %bb.8:                                ;   in Loop: Header=BB55_7 Depth=2
	global_load_dwordx2 v[52:53], v[0:1], off
.LBB55_9:                               ;   in Loop: Header=BB55_7 Depth=2
	s_andn2_saveexec_b64 s[4:5], s[4:5]
	s_cbranch_execz .LBB55_11
; %bb.10:                               ;   in Loop: Header=BB55_7 Depth=2
	v_cndmask_b32_e64 v15, 0, v19, s[10:11]
	s_waitcnt vmcnt(0)
	v_mov_b64_e32 v[52:53], v[14:15]
.LBB55_11:                              ;   in Loop: Header=BB55_7 Depth=2
	s_or_b64 exec, exec, s[4:5]
	s_waitcnt vmcnt(0)
	ds_write_b64 v56, v[52:53]
	v_lshl_add_u64 v[52:53], v[2:3], 0, 16
	v_cmp_eq_u64_e64 s[4:5], s[42:43], v[48:49]
	s_and_b64 s[18:19], s[52:53], s[4:5]
	v_cmp_lt_i64_e64 s[4:5], v[52:53], v[22:23]
	v_cmp_le_i64_e64 s[16:17], s[30:31], v[52:53]
	s_or_b64 s[4:5], s[6:7], s[4:5]
	s_or_b64 s[4:5], s[16:17], s[4:5]
	s_nor_b64 s[4:5], s[4:5], s[18:19]
	v_lshl_add_u64 v[52:53], v[38:39], 0, v[34:35]
	s_and_saveexec_b64 s[50:51], s[4:5]
	s_xor_b64 s[4:5], exec, s[50:51]
	s_cbranch_execz .LBB55_13
; %bb.12:                               ;   in Loop: Header=BB55_7 Depth=2
	global_load_dwordx2 v[62:63], v[52:53], off
	s_waitcnt vmcnt(0)
	ds_write_b64 v56, v[62:63] offset:128
.LBB55_13:                              ;   in Loop: Header=BB55_7 Depth=2
	s_andn2_saveexec_b64 s[4:5], s[4:5]
	s_cbranch_execz .LBB55_19
; %bb.14:                               ;   in Loop: Header=BB55_7 Depth=2
	s_xor_b64 s[18:19], s[18:19], -1
	s_and_saveexec_b64 s[50:51], s[18:19]
	s_xor_b64 s[18:19], exec, s[50:51]
; %bb.15:                               ;   in Loop: Header=BB55_7 Depth=2
	ds_write_b64 v56, v[20:21] offset:128
; %bb.16:                               ;   in Loop: Header=BB55_7 Depth=2
	s_andn2_saveexec_b64 s[18:19], s[18:19]
; %bb.17:                               ;   in Loop: Header=BB55_7 Depth=2
	ds_write_b64 v56, v[18:19] offset:128
; %bb.18:                               ;   in Loop: Header=BB55_7 Depth=2
	s_or_b64 exec, exec, s[18:19]
.LBB55_19:                              ;   in Loop: Header=BB55_7 Depth=2
	s_or_b64 exec, exec, s[4:5]
	v_cmp_eq_u64_e64 s[4:5], s[42:43], v[46:47]
	s_and_b64 s[18:19], s[52:53], s[4:5]
	v_cmp_lt_i64_e64 s[4:5], v[2:3], v[44:45]
	s_or_b64 s[4:5], s[8:9], s[4:5]
	s_or_b64 s[4:5], s[4:5], s[18:19]
	s_nor_b64 s[4:5], s[14:15], s[4:5]
                                        ; implicit-def: $vgpr2_vgpr3
	s_and_saveexec_b64 s[14:15], s[4:5]
	s_xor_b64 s[4:5], exec, s[14:15]
	s_cbranch_execz .LBB55_21
; %bb.20:                               ;   in Loop: Header=BB55_7 Depth=2
	global_load_dwordx2 v[2:3], v[0:1], off offset:128
.LBB55_21:                              ;   in Loop: Header=BB55_7 Depth=2
	s_andn2_saveexec_b64 s[4:5], s[4:5]
	s_cbranch_execz .LBB55_23
; %bb.22:                               ;   in Loop: Header=BB55_7 Depth=2
	v_cndmask_b32_e64 v15, 0, v19, s[18:19]
	s_waitcnt vmcnt(0)
	v_mov_b64_e32 v[2:3], v[14:15]
.LBB55_23:                              ;   in Loop: Header=BB55_7 Depth=2
	s_or_b64 exec, exec, s[4:5]
	s_or_b64 s[4:5], s[8:9], s[12:13]
	s_or_b64 s[4:5], s[16:17], s[4:5]
	s_nor_b64 s[4:5], s[4:5], s[10:11]
	s_waitcnt vmcnt(0)
	ds_write_b64 v56, v[2:3] offset:4096
	s_and_saveexec_b64 s[12:13], s[4:5]
	s_xor_b64 s[4:5], exec, s[12:13]
	s_cbranch_execz .LBB55_25
; %bb.24:                               ;   in Loop: Header=BB55_7 Depth=2
	global_load_dwordx2 v[0:1], v[52:53], off offset:128
	s_waitcnt vmcnt(0)
	ds_write_b64 v56, v[0:1] offset:4224
.LBB55_25:                              ;   in Loop: Header=BB55_7 Depth=2
	s_andn2_saveexec_b64 s[4:5], s[4:5]
	s_cbranch_execz .LBB55_31
; %bb.26:                               ;   in Loop: Header=BB55_7 Depth=2
	s_xor_b64 s[10:11], s[10:11], -1
	s_and_saveexec_b64 s[12:13], s[10:11]
	s_xor_b64 s[10:11], exec, s[12:13]
; %bb.27:                               ;   in Loop: Header=BB55_7 Depth=2
	ds_write_b64 v56, v[20:21] offset:4224
; %bb.28:                               ;   in Loop: Header=BB55_7 Depth=2
	s_andn2_saveexec_b64 s[10:11], s[10:11]
; %bb.29:                               ;   in Loop: Header=BB55_7 Depth=2
	ds_write_b64 v56, v[18:19] offset:4224
; %bb.30:                               ;   in Loop: Header=BB55_7 Depth=2
	s_or_b64 exec, exec, s[10:11]
.LBB55_31:                              ;   in Loop: Header=BB55_7 Depth=2
	s_or_b64 exec, exec, s[4:5]
	v_lshl_add_u64 v[0:1], v[10:11], 0, s[42:43]
	v_cmp_le_i64_e64 s[10:11], s[30:31], v[0:1]
	v_lshl_add_u64 v[2:3], v[32:33], 0, v[50:51]
	s_nor_b64 s[12:13], s[10:11], vcc
	v_mov_b64_e32 v[52:53], 0
	s_and_saveexec_b64 s[4:5], s[12:13]
	s_cbranch_execz .LBB55_33
; %bb.32:                               ;   in Loop: Header=BB55_7 Depth=2
	global_load_dwordx2 v[52:53], v[2:3], off offset:-128
.LBB55_33:                              ;   in Loop: Header=BB55_7 Depth=2
	s_or_b64 exec, exec, s[4:5]
	s_nor_b64 s[4:5], s[10:11], s[0:1]
	s_waitcnt vmcnt(0)
	ds_write_b64 v58, v[52:53]
	s_and_saveexec_b64 s[10:11], s[4:5]
	s_xor_b64 s[4:5], exec, s[10:11]
	s_cbranch_execz .LBB55_35
; %bb.34:                               ;   in Loop: Header=BB55_7 Depth=2
	global_load_dwordx2 v[2:3], v[2:3], off
	s_waitcnt vmcnt(0)
	ds_write_b64 v58, v[2:3] offset:128
.LBB55_35:                              ;   in Loop: Header=BB55_7 Depth=2
	s_andn2_saveexec_b64 s[4:5], s[4:5]
; %bb.36:                               ;   in Loop: Header=BB55_7 Depth=2
	ds_write_b64 v58, v[20:21] offset:128
; %bb.37:                               ;   in Loop: Header=BB55_7 Depth=2
	s_or_b64 exec, exec, s[4:5]
	v_cmp_le_i64_e64 s[10:11], s[58:59], v[0:1]
	v_lshl_add_u64 v[0:1], v[42:43], 0, v[50:51]
	s_nor_b64 s[12:13], s[10:11], vcc
	v_mov_b64_e32 v[2:3], 0
	s_and_saveexec_b64 s[4:5], s[12:13]
	s_cbranch_execz .LBB55_39
; %bb.38:                               ;   in Loop: Header=BB55_7 Depth=2
	global_load_dwordx2 v[2:3], v[0:1], off
.LBB55_39:                              ;   in Loop: Header=BB55_7 Depth=2
	s_or_b64 exec, exec, s[4:5]
	s_nor_b64 s[4:5], s[10:11], s[0:1]
	s_waitcnt vmcnt(0)
	ds_write_b64 v58, v[2:3] offset:4096
	s_and_saveexec_b64 s[10:11], s[4:5]
	s_xor_b64 s[4:5], exec, s[10:11]
	s_cbranch_execz .LBB55_41
; %bb.40:                               ;   in Loop: Header=BB55_7 Depth=2
	global_load_dwordx2 v[0:1], v[0:1], off offset:128
	s_waitcnt vmcnt(0)
	ds_write_b64 v58, v[0:1] offset:4224
.LBB55_41:                              ;   in Loop: Header=BB55_7 Depth=2
	s_andn2_saveexec_b64 s[4:5], s[4:5]
	s_cbranch_execz .LBB55_6
; %bb.42:                               ;   in Loop: Header=BB55_7 Depth=2
	ds_write_b64 v58, v[20:21] offset:4224
	s_branch .LBB55_6
.LBB55_43:                              ;   in Loop: Header=BB55_4 Depth=1
	v_mov_b64_e32 v[36:37], 0
	v_mov_b64_e32 v[30:31], 0
	;; [unrolled: 1-line block ×4, first 2 shown]
.LBB55_44:                              ;   in Loop: Header=BB55_4 Depth=1
	v_mul_lo_u32 v2, s25, v22
	v_mul_lo_u32 v3, s24, v23
	v_mad_u64_u32 v[0:1], s[4:5], s24, v22, 0
	v_cmp_gt_i32_e64 s[6:7], s30, v22
	v_add3_u32 v1, v1, v3, v2
	v_lshl_add_u64 v[0:1], v[0:1], 3, s[26:27]
	s_and_b64 s[8:9], s[20:21], s[6:7]
	s_and_saveexec_b64 s[4:5], s[8:9]
	s_cbranch_execz .LBB55_46
; %bb.45:                               ;   in Loop: Header=BB55_4 Depth=1
	v_lshl_add_u64 v[2:3], v[4:5], 3, v[0:1]
	global_load_dwordx2 v[28:29], v[2:3], off
	s_waitcnt vmcnt(0)
	v_fmac_f64_e32 v[28:29], s[34:35], v[36:37]
	global_store_dwordx2 v[2:3], v[28:29], off
.LBB55_46:                              ;   in Loop: Header=BB55_4 Depth=1
	s_or_b64 exec, exec, s[4:5]
	s_and_b64 s[6:7], s[22:23], s[6:7]
	s_and_saveexec_b64 s[4:5], s[6:7]
	s_cbranch_execz .LBB55_48
; %bb.47:                               ;   in Loop: Header=BB55_4 Depth=1
	v_lshl_add_u64 v[0:1], v[6:7], 3, v[0:1]
	global_load_dwordx2 v[2:3], v[0:1], off
	s_waitcnt vmcnt(0)
	v_fmac_f64_e32 v[2:3], s[34:35], v[30:31]
	global_store_dwordx2 v[0:1], v[2:3], off
.LBB55_48:                              ;   in Loop: Header=BB55_4 Depth=1
	s_or_b64 exec, exec, s[4:5]
	v_add_u32_e32 v0, 16, v22
	v_ashrrev_i32_e32 v1, 31, v0
	v_cmp_gt_i32_e64 s[6:7], s30, v0
	v_mul_lo_u32 v2, s24, v1
	v_mul_lo_u32 v3, s25, v0
	v_mad_u64_u32 v[0:1], s[4:5], s24, v0, 0
	v_add3_u32 v1, v1, v2, v3
	v_lshl_add_u64 v[0:1], v[0:1], 3, s[26:27]
	s_and_b64 s[8:9], s[20:21], s[6:7]
	s_and_saveexec_b64 s[4:5], s[8:9]
	s_cbranch_execz .LBB55_50
; %bb.49:                               ;   in Loop: Header=BB55_4 Depth=1
	v_lshl_add_u64 v[2:3], v[4:5], 3, v[0:1]
	global_load_dwordx2 v[22:23], v[2:3], off
	s_waitcnt vmcnt(0)
	v_fmac_f64_e32 v[22:23], s[34:35], v[26:27]
	global_store_dwordx2 v[2:3], v[22:23], off
.LBB55_50:                              ;   in Loop: Header=BB55_4 Depth=1
	s_or_b64 exec, exec, s[4:5]
	s_and_b64 s[6:7], s[22:23], s[6:7]
	s_and_saveexec_b64 s[4:5], s[6:7]
	s_cbranch_execz .LBB55_3
; %bb.51:                               ;   in Loop: Header=BB55_4 Depth=1
	v_lshl_add_u64 v[0:1], v[6:7], 3, v[0:1]
	global_load_dwordx2 v[2:3], v[0:1], off
	s_waitcnt vmcnt(0)
	v_fmac_f64_e32 v[2:3], s[34:35], v[24:25]
	global_store_dwordx2 v[0:1], v[2:3], off
	s_branch .LBB55_3
.LBB55_52:
	s_endpgm
	.section	.rodata,"a",@progbits
	.p2align	6, 0x0
	.amdhsa_kernel _ZL30rocblas_trmm_outofplace_kernelIdLi32ELi2ELb0ELb1ELb1ELb0EdKddEv17rocblas_diagonal_iiT6_lPT7_lllS4_lllPT8_llli
		.amdhsa_group_segment_fixed_size 16384
		.amdhsa_private_segment_fixed_size 0
		.amdhsa_kernarg_size 392
		.amdhsa_user_sgpr_count 2
		.amdhsa_user_sgpr_dispatch_ptr 0
		.amdhsa_user_sgpr_queue_ptr 0
		.amdhsa_user_sgpr_kernarg_segment_ptr 1
		.amdhsa_user_sgpr_dispatch_id 0
		.amdhsa_user_sgpr_kernarg_preload_length 0
		.amdhsa_user_sgpr_kernarg_preload_offset 0
		.amdhsa_user_sgpr_private_segment_size 0
		.amdhsa_uses_dynamic_stack 0
		.amdhsa_enable_private_segment 0
		.amdhsa_system_sgpr_workgroup_id_x 1
		.amdhsa_system_sgpr_workgroup_id_y 1
		.amdhsa_system_sgpr_workgroup_id_z 1
		.amdhsa_system_sgpr_workgroup_info 0
		.amdhsa_system_vgpr_workitem_id 1
		.amdhsa_next_free_vgpr 82
		.amdhsa_next_free_sgpr 65
		.amdhsa_accum_offset 84
		.amdhsa_reserve_vcc 1
		.amdhsa_float_round_mode_32 0
		.amdhsa_float_round_mode_16_64 0
		.amdhsa_float_denorm_mode_32 3
		.amdhsa_float_denorm_mode_16_64 3
		.amdhsa_dx10_clamp 1
		.amdhsa_ieee_mode 1
		.amdhsa_fp16_overflow 0
		.amdhsa_tg_split 0
		.amdhsa_exception_fp_ieee_invalid_op 0
		.amdhsa_exception_fp_denorm_src 0
		.amdhsa_exception_fp_ieee_div_zero 0
		.amdhsa_exception_fp_ieee_overflow 0
		.amdhsa_exception_fp_ieee_underflow 0
		.amdhsa_exception_fp_ieee_inexact 0
		.amdhsa_exception_int_div_zero 0
	.end_amdhsa_kernel
	.section	.text._ZL30rocblas_trmm_outofplace_kernelIdLi32ELi2ELb0ELb1ELb1ELb0EdKddEv17rocblas_diagonal_iiT6_lPT7_lllS4_lllPT8_llli,"axG",@progbits,_ZL30rocblas_trmm_outofplace_kernelIdLi32ELi2ELb0ELb1ELb1ELb0EdKddEv17rocblas_diagonal_iiT6_lPT7_lllS4_lllPT8_llli,comdat
.Lfunc_end55:
	.size	_ZL30rocblas_trmm_outofplace_kernelIdLi32ELi2ELb0ELb1ELb1ELb0EdKddEv17rocblas_diagonal_iiT6_lPT7_lllS4_lllPT8_llli, .Lfunc_end55-_ZL30rocblas_trmm_outofplace_kernelIdLi32ELi2ELb0ELb1ELb1ELb0EdKddEv17rocblas_diagonal_iiT6_lPT7_lllS4_lllPT8_llli
                                        ; -- End function
	.set _ZL30rocblas_trmm_outofplace_kernelIdLi32ELi2ELb0ELb1ELb1ELb0EdKddEv17rocblas_diagonal_iiT6_lPT7_lllS4_lllPT8_llli.num_vgpr, 82
	.set _ZL30rocblas_trmm_outofplace_kernelIdLi32ELi2ELb0ELb1ELb1ELb0EdKddEv17rocblas_diagonal_iiT6_lPT7_lllS4_lllPT8_llli.num_agpr, 0
	.set _ZL30rocblas_trmm_outofplace_kernelIdLi32ELi2ELb0ELb1ELb1ELb0EdKddEv17rocblas_diagonal_iiT6_lPT7_lllS4_lllPT8_llli.numbered_sgpr, 65
	.set _ZL30rocblas_trmm_outofplace_kernelIdLi32ELi2ELb0ELb1ELb1ELb0EdKddEv17rocblas_diagonal_iiT6_lPT7_lllS4_lllPT8_llli.num_named_barrier, 0
	.set _ZL30rocblas_trmm_outofplace_kernelIdLi32ELi2ELb0ELb1ELb1ELb0EdKddEv17rocblas_diagonal_iiT6_lPT7_lllS4_lllPT8_llli.private_seg_size, 0
	.set _ZL30rocblas_trmm_outofplace_kernelIdLi32ELi2ELb0ELb1ELb1ELb0EdKddEv17rocblas_diagonal_iiT6_lPT7_lllS4_lllPT8_llli.uses_vcc, 1
	.set _ZL30rocblas_trmm_outofplace_kernelIdLi32ELi2ELb0ELb1ELb1ELb0EdKddEv17rocblas_diagonal_iiT6_lPT7_lllS4_lllPT8_llli.uses_flat_scratch, 0
	.set _ZL30rocblas_trmm_outofplace_kernelIdLi32ELi2ELb0ELb1ELb1ELb0EdKddEv17rocblas_diagonal_iiT6_lPT7_lllS4_lllPT8_llli.has_dyn_sized_stack, 0
	.set _ZL30rocblas_trmm_outofplace_kernelIdLi32ELi2ELb0ELb1ELb1ELb0EdKddEv17rocblas_diagonal_iiT6_lPT7_lllS4_lllPT8_llli.has_recursion, 0
	.set _ZL30rocblas_trmm_outofplace_kernelIdLi32ELi2ELb0ELb1ELb1ELb0EdKddEv17rocblas_diagonal_iiT6_lPT7_lllS4_lllPT8_llli.has_indirect_call, 0
	.section	.AMDGPU.csdata,"",@progbits
; Kernel info:
; codeLenInByte = 3016
; TotalNumSgprs: 71
; NumVgprs: 82
; NumAgprs: 0
; TotalNumVgprs: 82
; ScratchSize: 0
; MemoryBound: 0
; FloatMode: 240
; IeeeMode: 1
; LDSByteSize: 16384 bytes/workgroup (compile time only)
; SGPRBlocks: 8
; VGPRBlocks: 10
; NumSGPRsForWavesPerEU: 71
; NumVGPRsForWavesPerEU: 82
; AccumOffset: 84
; Occupancy: 5
; WaveLimiterHint : 0
; COMPUTE_PGM_RSRC2:SCRATCH_EN: 0
; COMPUTE_PGM_RSRC2:USER_SGPR: 2
; COMPUTE_PGM_RSRC2:TRAP_HANDLER: 0
; COMPUTE_PGM_RSRC2:TGID_X_EN: 1
; COMPUTE_PGM_RSRC2:TGID_Y_EN: 1
; COMPUTE_PGM_RSRC2:TGID_Z_EN: 1
; COMPUTE_PGM_RSRC2:TIDIG_COMP_CNT: 1
; COMPUTE_PGM_RSRC3_GFX90A:ACCUM_OFFSET: 20
; COMPUTE_PGM_RSRC3_GFX90A:TG_SPLIT: 0
	.section	.text._ZL30rocblas_trmm_outofplace_kernelIdLi32ELi2ELb0ELb0ELb1ELb1EPKdS0_dEv17rocblas_diagonal_iiT6_lPT7_lllS5_lllPT8_llli,"axG",@progbits,_ZL30rocblas_trmm_outofplace_kernelIdLi32ELi2ELb0ELb0ELb1ELb1EPKdS0_dEv17rocblas_diagonal_iiT6_lPT7_lllS5_lllPT8_llli,comdat
	.globl	_ZL30rocblas_trmm_outofplace_kernelIdLi32ELi2ELb0ELb0ELb1ELb1EPKdS0_dEv17rocblas_diagonal_iiT6_lPT7_lllS5_lllPT8_llli ; -- Begin function _ZL30rocblas_trmm_outofplace_kernelIdLi32ELi2ELb0ELb0ELb1ELb1EPKdS0_dEv17rocblas_diagonal_iiT6_lPT7_lllS5_lllPT8_llli
	.p2align	8
	.type	_ZL30rocblas_trmm_outofplace_kernelIdLi32ELi2ELb0ELb0ELb1ELb1EPKdS0_dEv17rocblas_diagonal_iiT6_lPT7_lllS5_lllPT8_llli,@function
_ZL30rocblas_trmm_outofplace_kernelIdLi32ELi2ELb0ELb0ELb1ELb1EPKdS0_dEv17rocblas_diagonal_iiT6_lPT7_lllS5_lllPT8_llli: ; @_ZL30rocblas_trmm_outofplace_kernelIdLi32ELi2ELb0ELb0ELb1ELb1EPKdS0_dEv17rocblas_diagonal_iiT6_lPT7_lllS5_lllPT8_llli
; %bb.0:
	s_load_dwordx16 s[8:23], s[0:1], 0x10
	s_waitcnt lgkmcnt(0)
	s_mul_i32 s5, s11, s4
	s_mul_hi_u32 s6, s10, s4
	s_add_i32 s7, s6, s5
	s_mul_i32 s6, s10, s4
	s_lshl_b64 s[6:7], s[6:7], 3
	s_add_u32 s6, s8, s6
	s_addc_u32 s7, s9, s7
	s_load_dwordx2 s[34:35], s[6:7], 0x0
	s_waitcnt lgkmcnt(0)
	v_cmp_eq_f64_e64 s[6:7], s[34:35], 0
	s_and_b64 vcc, exec, s[6:7]
	s_cbranch_vccnz .LBB56_51
; %bb.1:
	s_load_dwordx4 s[36:39], s[0:1], 0x0
	s_waitcnt lgkmcnt(0)
	s_add_i32 s5, s38, -1
	s_ashr_i32 s6, s5, 31
	s_lshr_b32 s6, s6, 27
	s_add_i32 s5, s5, s6
	s_ashr_i32 s33, s5, 5
	s_cmp_gt_i32 s3, s33
	s_cbranch_scc1 .LBB56_51
; %bb.2:
	s_mul_i32 s5, s19, s4
	s_mul_hi_u32 s6, s18, s4
	s_load_dwordx8 s[24:31], s[0:1], 0x50
	s_load_dwordx4 s[40:43], s[0:1], 0x70
	s_add_i32 s7, s6, s5
	s_mul_i32 s6, s18, s4
	s_lshl_b64 s[8:9], s[6:7], 3
	s_add_u32 s5, s12, s8
	s_addc_u32 s7, s13, s9
	s_lshl_b64 s[10:11], s[14:15], 3
	s_add_u32 s6, s5, s10
	s_waitcnt lgkmcnt(0)
	s_mul_i32 s5, s27, s4
	s_mul_hi_u32 s14, s26, s4
	s_addc_u32 s7, s7, s11
	s_add_i32 s15, s14, s5
	s_mul_i32 s14, s26, s4
	s_lshl_b64 s[14:15], s[14:15], 3
	s_add_u32 s5, s20, s14
	s_addc_u32 s18, s21, s15
	s_lshl_b64 s[14:15], s[22:23], 3
	s_add_u32 s14, s5, s14
	s_load_dword s46, s[0:1], 0x8c
	s_mul_i32 s0, s43, s4
	s_mul_hi_u32 s1, s42, s4
	s_addc_u32 s15, s18, s15
	s_add_i32 s1, s1, s0
	s_mul_i32 s0, s42, s4
	s_lshl_b64 s[0:1], s[0:1], 3
	s_add_u32 s4, s28, s0
	s_addc_u32 s5, s29, s1
	s_lshl_b64 s[0:1], s[30:31], 3
	s_add_u32 s26, s4, s0
	v_and_b32_e32 v6, 0x3ff, v0
	v_bfe_u32 v4, v0, 10, 10
	s_addc_u32 s27, s5, s1
	v_mad_u64_u32 v[0:1], s[0:1], s16, v6, 0
	v_mov_b32_e32 v2, v1
	v_mad_u64_u32 v[2:3], s[0:1], s17, v6, v[2:3]
	s_cmpk_eq_i32 s36, 0x84
	v_lshl_add_u32 v10, s2, 5, v6
	v_mov_b32_e32 v1, v2
	s_cselect_b64 s[28:29], -1, 0
	s_ashr_i32 s0, s37, 31
	v_ashrrev_i32_e32 v11, 31, v10
	v_lshl_add_u64 v[12:13], v[0:1], 3, s[6:7]
	v_mov_b32_e32 v1, s0
	v_sub_co_u32_e32 v0, vcc, s37, v10
	v_sub_co_u32_e64 v18, s[6:7], 0, v6
	s_nop 0
	v_subb_co_u32_e32 v1, vcc, v1, v11, vcc
	s_ashr_i32 s39, s38, 31
	s_lshl_b64 s[30:31], s[16:17], 8
	s_lshl_b64 s[42:43], s[24:25], 8
	v_cmp_gt_i64_e32 vcc, 1, v[0:1]
	v_cmp_gt_i64_e64 s[0:1], 17, v[0:1]
	v_subb_co_u32_e64 v19, s[6:7], 0, 0, s[6:7]
	v_mad_u64_u32 v[0:1], s[6:7], s24, v4, 0
	s_add_u32 s44, s38, -16
	v_mov_b32_e32 v2, v1
	s_addc_u32 s45, s39, -1
	s_waitcnt lgkmcnt(0)
	s_lshl_b32 s2, s46, 5
	v_mad_u64_u32 v[2:3], s[6:7], s25, v4, v[2:3]
	s_add_u32 s6, s12, s10
	s_addc_u32 s7, s13, s11
	s_add_u32 s6, s6, s8
	v_lshlrev_b32_e32 v9, 3, v6
	v_mov_b32_e32 v1, v2
	v_mov_b64_e32 v[2:3], 0x80
	s_addc_u32 s7, s7, s9
	v_lshl_add_u64 v[22:23], v[0:1], 3, v[2:3]
	v_add_u32_e32 v2, 0x80, v9
	v_mov_b64_e32 v[0:1], s[6:7]
	v_mad_u64_u32 v[24:25], s[6:7], s16, v2, v[0:1]
	v_mov_b32_e32 v0, v25
	v_mad_u64_u32 v[0:1], s[6:7], s17, v2, v[0:1]
	v_mov_b32_e32 v25, v0
	v_mov_b32_e32 v0, 0x80
	v_lshl_add_u32 v1, v4, 3, v0
	v_mad_u64_u32 v[26:27], s[6:7], s24, v1, 0
	v_mov_b32_e32 v0, v27
	v_mov_b32_e32 v8, 0
	v_lshlrev_b32_e32 v60, 8, v4
	v_or_b32_e32 v62, 0x2000, v9
	v_add_u32_e32 v16, 16, v10
	v_mad_u64_u32 v[0:1], s[6:7], s25, v1, v[0:1]
	v_mov_b32_e32 v7, v8
	v_mov_b32_e32 v5, v8
	v_lshl_add_u64 v[14:15], v[10:11], 3, s[14:15]
	v_add_u32_e32 v61, v60, v9
	v_add_u32_e32 v63, v62, v60
	v_cmp_gt_i32_e64 s[20:21], s37, v10
	v_cmp_gt_i32_e64 s[4:5], s37, v16
	v_ashrrev_i32_e32 v17, 31, v16
	v_lshl_add_u32 v20, s3, 5, v4
	v_mov_b32_e32 v27, v0
	v_mov_b32_e32 v29, 0x3ff00000
	;; [unrolled: 1-line block ×5, first 2 shown]
	v_add_u32_e32 v64, 0x800, v62
	v_add_u32_e32 v65, 0x1000, v62
	;; [unrolled: 1-line block ×3, first 2 shown]
	s_branch .LBB56_4
.LBB56_3:                               ;   in Loop: Header=BB56_4 Depth=1
	s_or_b64 exec, exec, s[6:7]
	s_add_i32 s3, s46, s3
	s_cmp_le_i32 s3, s33
	v_add_u32_e32 v20, s2, v20
	s_cbranch_scc0 .LBB56_51
.LBB56_4:                               ; =>This Loop Header: Depth=1
                                        ;     Child Loop BB56_7 Depth 2
	s_lshl_b32 s36, s3, 5
	v_add_u32_e32 v34, s36, v4
	v_ashrrev_i32_e32 v35, 31, v34
	v_mov_b64_e32 v[40:41], 0
	s_cmp_lt_i32 s3, 0
	v_mov_b64_e32 v[38:39], 0
	v_mov_b64_e32 v[36:37], 0
	;; [unrolled: 1-line block ×3, first 2 shown]
	s_cbranch_scc1 .LBB56_43
; %bb.5:                                ;   in Loop: Header=BB56_4 Depth=1
	v_ashrrev_i32_e32 v21, 31, v20
	v_lshl_add_u64 v[42:43], v[18:19], 0, v[20:21]
	v_lshl_add_u64 v[46:47], v[34:35], 0, 16
	v_lshlrev_b64 v[44:45], 3, v[20:21]
	v_cmp_le_i32_e64 s[6:7], s38, v34
	v_cmp_le_i64_e64 s[8:9], s[38:39], v[46:47]
	v_lshl_add_u64 v[48:49], v[42:43], 0, 16
	v_lshl_add_u64 v[50:51], v[42:43], 0, -16
	v_mov_b64_e32 v[32:33], 0
	s_mov_b64 s[24:25], 0
	v_mov_b64_e32 v[52:53], v[12:13]
	v_mov_b64_e32 v[54:55], v[24:25]
	;; [unrolled: 1-line block ×6, first 2 shown]
	s_branch .LBB56_7
.LBB56_6:                               ;   in Loop: Header=BB56_7 Depth=2
	s_or_b64 exec, exec, s[10:11]
	s_waitcnt lgkmcnt(0)
	s_barrier
	ds_read2_b64 v[68:71], v62 offset1:16
	ds_read_b128 v[72:75], v60
	ds_read_b128 v[76:79], v60 offset:16
	ds_read_b128 v[80:83], v60 offset:32
	;; [unrolled: 1-line block ×4, first 2 shown]
	ds_read2_b64 v[88:91], v62 offset0:32 offset1:48
	s_waitcnt lgkmcnt(5)
	v_fmac_f64_e32 v[40:41], v[68:69], v[72:73]
	v_fmac_f64_e32 v[38:39], v[70:71], v[72:73]
	ds_read_b128 v[92:95], v60 offset:4112
	s_waitcnt lgkmcnt(2)
	v_fmac_f64_e32 v[36:37], v[68:69], v[84:85]
	v_fmac_f64_e32 v[32:33], v[70:71], v[84:85]
	ds_read2_b64 v[68:71], v62 offset0:64 offset1:80
	s_waitcnt lgkmcnt(2)
	v_fmac_f64_e32 v[40:41], v[88:89], v[74:75]
	v_fmac_f64_e32 v[38:39], v[90:91], v[74:75]
	ds_read2_b64 v[72:75], v62 offset0:96 offset1:112
	v_fmac_f64_e32 v[36:37], v[88:89], v[86:87]
	v_fmac_f64_e32 v[32:33], v[90:91], v[86:87]
	s_waitcnt lgkmcnt(1)
	v_fmac_f64_e32 v[40:41], v[68:69], v[76:77]
	v_fmac_f64_e32 v[38:39], v[70:71], v[76:77]
	ds_read_b128 v[84:87], v60 offset:4144
	v_fmac_f64_e32 v[36:37], v[68:69], v[92:93]
	v_fmac_f64_e32 v[32:33], v[70:71], v[92:93]
	s_waitcnt lgkmcnt(1)
	v_fmac_f64_e32 v[40:41], v[72:73], v[78:79]
	ds_read2_b64 v[68:71], v62 offset0:128 offset1:144
	v_fmac_f64_e32 v[38:39], v[74:75], v[78:79]
	v_fmac_f64_e32 v[36:37], v[72:73], v[94:95]
	;; [unrolled: 1-line block ×3, first 2 shown]
	ds_read_b128 v[72:75], v60 offset:4128
	ds_read2_b64 v[76:79], v62 offset0:160 offset1:176
	s_waitcnt lgkmcnt(2)
	v_fmac_f64_e32 v[40:41], v[68:69], v[80:81]
	v_fmac_f64_e32 v[38:39], v[70:71], v[80:81]
	s_add_u32 s24, s24, 32
	s_waitcnt lgkmcnt(1)
	v_fmac_f64_e32 v[36:37], v[68:69], v[72:73]
	v_fmac_f64_e32 v[32:33], v[70:71], v[72:73]
	ds_read2_b64 v[68:71], v62 offset0:192 offset1:208
	s_waitcnt lgkmcnt(1)
	v_fmac_f64_e32 v[36:37], v[76:77], v[74:75]
	v_fmac_f64_e32 v[32:33], v[78:79], v[74:75]
	ds_read2_b64 v[72:75], v62 offset0:224 offset1:240
	v_fmac_f64_e32 v[40:41], v[76:77], v[82:83]
	v_fmac_f64_e32 v[38:39], v[78:79], v[82:83]
	s_waitcnt lgkmcnt(1)
	v_fmac_f64_e32 v[40:41], v[68:69], v[0:1]
	v_fmac_f64_e32 v[38:39], v[70:71], v[0:1]
	;; [unrolled: 1-line block ×4, first 2 shown]
	s_waitcnt lgkmcnt(0)
	v_fmac_f64_e32 v[40:41], v[72:73], v[2:3]
	v_fmac_f64_e32 v[38:39], v[74:75], v[2:3]
	ds_read_b128 v[0:3], v60 offset:64
	ds_read2_b64 v[68:71], v64 offset1:16
	v_fmac_f64_e32 v[36:37], v[72:73], v[86:87]
	v_fmac_f64_e32 v[32:33], v[74:75], v[86:87]
	ds_read_b128 v[72:75], v60 offset:4160
	ds_read_b128 v[76:79], v60 offset:80
	ds_read2_b64 v[80:83], v64 offset0:32 offset1:48
	s_waitcnt lgkmcnt(3)
	v_fmac_f64_e32 v[40:41], v[68:69], v[0:1]
	v_fmac_f64_e32 v[38:39], v[70:71], v[0:1]
	ds_read_b128 v[84:87], v60 offset:4176
	s_waitcnt lgkmcnt(3)
	v_fmac_f64_e32 v[36:37], v[68:69], v[72:73]
	v_fmac_f64_e32 v[32:33], v[70:71], v[72:73]
	ds_read2_b64 v[68:71], v64 offset0:64 offset1:80
	s_waitcnt lgkmcnt(2)
	v_fmac_f64_e32 v[40:41], v[80:81], v[2:3]
	v_fmac_f64_e32 v[38:39], v[82:83], v[2:3]
	ds_read2_b64 v[0:3], v64 offset0:96 offset1:112
	v_fmac_f64_e32 v[36:37], v[80:81], v[74:75]
	v_fmac_f64_e32 v[32:33], v[82:83], v[74:75]
	s_waitcnt lgkmcnt(1)
	v_fmac_f64_e32 v[40:41], v[68:69], v[76:77]
	v_fmac_f64_e32 v[38:39], v[70:71], v[76:77]
	;; [unrolled: 1-line block ×4, first 2 shown]
	ds_read_b128 v[68:71], v60 offset:96
	ds_read2_b64 v[72:75], v64 offset0:128 offset1:144
	s_waitcnt lgkmcnt(2)
	v_fmac_f64_e32 v[40:41], v[0:1], v[78:79]
	v_fmac_f64_e32 v[38:39], v[2:3], v[78:79]
	;; [unrolled: 1-line block ×4, first 2 shown]
	ds_read_b128 v[0:3], v60 offset:4192
	ds_read_b128 v[76:79], v60 offset:112
	ds_read2_b64 v[80:83], v64 offset0:160 offset1:176
	s_waitcnt lgkmcnt(3)
	v_fmac_f64_e32 v[40:41], v[72:73], v[68:69]
	v_fmac_f64_e32 v[38:39], v[74:75], v[68:69]
	ds_read_b128 v[84:87], v60 offset:4208
	s_waitcnt lgkmcnt(3)
	v_fmac_f64_e32 v[36:37], v[72:73], v[0:1]
	v_fmac_f64_e32 v[32:33], v[74:75], v[0:1]
	ds_read2_b64 v[72:75], v64 offset0:192 offset1:208
	s_waitcnt lgkmcnt(2)
	v_fmac_f64_e32 v[36:37], v[80:81], v[2:3]
	v_fmac_f64_e32 v[32:33], v[82:83], v[2:3]
	ds_read2_b64 v[0:3], v64 offset0:224 offset1:240
	v_fmac_f64_e32 v[40:41], v[80:81], v[70:71]
	v_fmac_f64_e32 v[38:39], v[82:83], v[70:71]
	s_waitcnt lgkmcnt(1)
	v_fmac_f64_e32 v[40:41], v[72:73], v[76:77]
	v_fmac_f64_e32 v[38:39], v[74:75], v[76:77]
	;; [unrolled: 1-line block ×4, first 2 shown]
	ds_read_b128 v[68:71], v60 offset:128
	ds_read2_b64 v[72:75], v65 offset1:16
	s_waitcnt lgkmcnt(2)
	v_fmac_f64_e32 v[40:41], v[0:1], v[78:79]
	v_fmac_f64_e32 v[38:39], v[2:3], v[78:79]
	;; [unrolled: 1-line block ×4, first 2 shown]
	ds_read_b128 v[0:3], v60 offset:4224
	ds_read_b128 v[76:79], v60 offset:144
	ds_read2_b64 v[80:83], v65 offset0:32 offset1:48
	s_waitcnt lgkmcnt(3)
	v_fmac_f64_e32 v[40:41], v[72:73], v[68:69]
	v_fmac_f64_e32 v[38:39], v[74:75], v[68:69]
	ds_read_b128 v[84:87], v60 offset:4240
	s_waitcnt lgkmcnt(3)
	v_fmac_f64_e32 v[36:37], v[72:73], v[0:1]
	v_fmac_f64_e32 v[32:33], v[74:75], v[0:1]
	ds_read2_b64 v[72:75], v65 offset0:64 offset1:80
	s_waitcnt lgkmcnt(2)
	v_fmac_f64_e32 v[36:37], v[80:81], v[2:3]
	v_fmac_f64_e32 v[32:33], v[82:83], v[2:3]
	ds_read2_b64 v[0:3], v65 offset0:96 offset1:112
	v_fmac_f64_e32 v[40:41], v[80:81], v[70:71]
	v_fmac_f64_e32 v[38:39], v[82:83], v[70:71]
	s_waitcnt lgkmcnt(1)
	v_fmac_f64_e32 v[40:41], v[72:73], v[76:77]
	v_fmac_f64_e32 v[38:39], v[74:75], v[76:77]
	;; [unrolled: 1-line block ×4, first 2 shown]
	ds_read_b128 v[68:71], v60 offset:160
	ds_read2_b64 v[72:75], v65 offset0:128 offset1:144
	s_waitcnt lgkmcnt(2)
	v_fmac_f64_e32 v[40:41], v[0:1], v[78:79]
	v_fmac_f64_e32 v[38:39], v[2:3], v[78:79]
	;; [unrolled: 1-line block ×4, first 2 shown]
	ds_read_b128 v[0:3], v60 offset:4256
	ds_read_b128 v[76:79], v60 offset:176
	ds_read2_b64 v[80:83], v65 offset0:160 offset1:176
	s_waitcnt lgkmcnt(3)
	v_fmac_f64_e32 v[40:41], v[72:73], v[68:69]
	v_fmac_f64_e32 v[38:39], v[74:75], v[68:69]
	ds_read_b128 v[84:87], v60 offset:4272
	s_waitcnt lgkmcnt(3)
	v_fmac_f64_e32 v[36:37], v[72:73], v[0:1]
	v_fmac_f64_e32 v[32:33], v[74:75], v[0:1]
	ds_read2_b64 v[72:75], v65 offset0:192 offset1:208
	s_waitcnt lgkmcnt(2)
	v_fmac_f64_e32 v[36:37], v[80:81], v[2:3]
	v_fmac_f64_e32 v[32:33], v[82:83], v[2:3]
	ds_read2_b64 v[0:3], v65 offset0:224 offset1:240
	v_fmac_f64_e32 v[40:41], v[80:81], v[70:71]
	v_fmac_f64_e32 v[38:39], v[82:83], v[70:71]
	s_waitcnt lgkmcnt(1)
	v_fmac_f64_e32 v[40:41], v[72:73], v[76:77]
	v_fmac_f64_e32 v[38:39], v[74:75], v[76:77]
	;; [unrolled: 1-line block ×4, first 2 shown]
	ds_read_b128 v[68:71], v60 offset:192
	ds_read2_b64 v[72:75], v66 offset1:16
	s_waitcnt lgkmcnt(2)
	v_fmac_f64_e32 v[40:41], v[0:1], v[78:79]
	v_fmac_f64_e32 v[38:39], v[2:3], v[78:79]
	;; [unrolled: 1-line block ×4, first 2 shown]
	ds_read_b128 v[0:3], v60 offset:4288
	ds_read_b128 v[76:79], v60 offset:208
	ds_read2_b64 v[80:83], v66 offset0:32 offset1:48
	s_waitcnt lgkmcnt(3)
	v_fmac_f64_e32 v[40:41], v[72:73], v[68:69]
	v_fmac_f64_e32 v[38:39], v[74:75], v[68:69]
	ds_read_b128 v[84:87], v60 offset:4304
	s_waitcnt lgkmcnt(3)
	v_fmac_f64_e32 v[36:37], v[72:73], v[0:1]
	v_fmac_f64_e32 v[32:33], v[74:75], v[0:1]
	ds_read2_b64 v[72:75], v66 offset0:64 offset1:80
	s_waitcnt lgkmcnt(2)
	v_fmac_f64_e32 v[36:37], v[80:81], v[2:3]
	v_fmac_f64_e32 v[32:33], v[82:83], v[2:3]
	ds_read2_b64 v[0:3], v66 offset0:96 offset1:112
	v_fmac_f64_e32 v[40:41], v[80:81], v[70:71]
	v_fmac_f64_e32 v[38:39], v[82:83], v[70:71]
	s_waitcnt lgkmcnt(1)
	v_fmac_f64_e32 v[40:41], v[72:73], v[76:77]
	v_fmac_f64_e32 v[38:39], v[74:75], v[76:77]
	;; [unrolled: 1-line block ×4, first 2 shown]
	ds_read_b128 v[68:71], v60 offset:224
	ds_read2_b64 v[72:75], v66 offset0:128 offset1:144
	s_waitcnt lgkmcnt(2)
	v_fmac_f64_e32 v[40:41], v[0:1], v[78:79]
	v_fmac_f64_e32 v[38:39], v[2:3], v[78:79]
	;; [unrolled: 1-line block ×4, first 2 shown]
	ds_read_b128 v[0:3], v60 offset:4320
	ds_read_b128 v[76:79], v60 offset:240
	ds_read2_b64 v[80:83], v66 offset0:160 offset1:176
	s_waitcnt lgkmcnt(3)
	v_fmac_f64_e32 v[40:41], v[72:73], v[68:69]
	v_fmac_f64_e32 v[38:39], v[74:75], v[68:69]
	ds_read_b128 v[84:87], v60 offset:4336
	s_waitcnt lgkmcnt(3)
	v_fmac_f64_e32 v[36:37], v[72:73], v[0:1]
	v_fmac_f64_e32 v[32:33], v[74:75], v[0:1]
	ds_read2_b64 v[72:75], v66 offset0:192 offset1:208
	s_waitcnt lgkmcnt(2)
	v_fmac_f64_e32 v[36:37], v[80:81], v[2:3]
	v_fmac_f64_e32 v[32:33], v[82:83], v[2:3]
	ds_read2_b64 v[0:3], v66 offset0:224 offset1:240
	v_fmac_f64_e32 v[40:41], v[80:81], v[70:71]
	v_fmac_f64_e32 v[38:39], v[82:83], v[70:71]
	s_waitcnt lgkmcnt(1)
	v_fmac_f64_e32 v[40:41], v[72:73], v[76:77]
	v_fmac_f64_e32 v[38:39], v[74:75], v[76:77]
	v_fmac_f64_e32 v[36:37], v[72:73], v[84:85]
	v_fmac_f64_e32 v[32:33], v[74:75], v[84:85]
	s_addc_u32 s25, s25, 0
	s_sub_i32 s10, s24, 32
	s_waitcnt lgkmcnt(0)
	v_fmac_f64_e32 v[40:41], v[0:1], v[78:79]
	v_fmac_f64_e32 v[38:39], v[2:3], v[78:79]
	;; [unrolled: 1-line block ×4, first 2 shown]
	v_lshl_add_u64 v[56:57], v[56:57], 0, s[42:43]
	v_lshl_add_u64 v[54:55], v[54:55], 0, s[30:31]
	s_cmp_ge_i32 s10, s36
	v_lshl_add_u64 v[52:53], v[52:53], 0, s[30:31]
	s_barrier
	s_cbranch_scc1 .LBB56_43
.LBB56_7:                               ;   Parent Loop BB56_4 Depth=1
                                        ; =>  This Inner Loop Header: Depth=2
	v_lshl_add_u64 v[2:3], v[6:7], 0, s[24:25]
	v_cmp_eq_u64_e64 s[10:11], s[24:25], v[42:43]
	v_cmp_gt_i64_e64 s[12:13], v[2:3], v[34:35]
	s_and_b64 s[10:11], s[28:29], s[10:11]
	s_or_b64 s[16:17], s[6:7], s[12:13]
	v_cmp_le_i64_e64 s[14:15], s[38:39], v[2:3]
	s_or_b64 s[16:17], s[16:17], s[10:11]
	v_lshl_add_u64 v[0:1], v[52:53], 0, v[44:45]
	s_nor_b64 s[16:17], s[14:15], s[16:17]
                                        ; implicit-def: $vgpr58_vgpr59
	s_and_saveexec_b64 s[18:19], s[16:17]
	s_xor_b64 s[16:17], exec, s[18:19]
	s_cbranch_execz .LBB56_9
; %bb.8:                                ;   in Loop: Header=BB56_7 Depth=2
	global_load_dwordx2 v[58:59], v[0:1], off
.LBB56_9:                               ;   in Loop: Header=BB56_7 Depth=2
	s_andn2_saveexec_b64 s[16:17], s[16:17]
	s_cbranch_execz .LBB56_11
; %bb.10:                               ;   in Loop: Header=BB56_7 Depth=2
	v_cndmask_b32_e64 v9, 0, v29, s[10:11]
	s_waitcnt vmcnt(0)
	v_mov_b64_e32 v[58:59], v[8:9]
.LBB56_11:                              ;   in Loop: Header=BB56_7 Depth=2
	s_or_b64 exec, exec, s[16:17]
	s_waitcnt vmcnt(0)
	ds_write_b64 v61, v[58:59]
	v_lshl_add_u64 v[58:59], v[2:3], 0, 16
	v_cmp_eq_u64_e64 s[16:17], s[24:25], v[50:51]
	v_cmp_gt_i64_e64 s[18:19], v[58:59], v[34:35]
	s_and_b64 s[22:23], s[28:29], s[16:17]
	s_or_b64 s[18:19], s[6:7], s[18:19]
	v_cmp_le_i64_e64 s[16:17], s[38:39], v[58:59]
	s_or_b64 s[18:19], s[18:19], s[22:23]
	s_nor_b64 s[18:19], s[16:17], s[18:19]
	v_lshl_add_u64 v[58:59], v[54:55], 0, v[44:45]
	s_and_saveexec_b64 s[48:49], s[18:19]
	s_xor_b64 s[18:19], exec, s[48:49]
	s_cbranch_execz .LBB56_13
; %bb.12:                               ;   in Loop: Header=BB56_7 Depth=2
	global_load_dwordx2 v[68:69], v[58:59], off
	s_waitcnt vmcnt(0)
	ds_write_b64 v61, v[68:69] offset:128
.LBB56_13:                              ;   in Loop: Header=BB56_7 Depth=2
	s_andn2_saveexec_b64 s[18:19], s[18:19]
	s_cbranch_execz .LBB56_19
; %bb.14:                               ;   in Loop: Header=BB56_7 Depth=2
	s_xor_b64 s[22:23], s[22:23], -1
	s_and_saveexec_b64 s[48:49], s[22:23]
	s_xor_b64 s[22:23], exec, s[48:49]
; %bb.15:                               ;   in Loop: Header=BB56_7 Depth=2
	ds_write_b64 v61, v[30:31] offset:128
; %bb.16:                               ;   in Loop: Header=BB56_7 Depth=2
	s_andn2_saveexec_b64 s[22:23], s[22:23]
; %bb.17:                               ;   in Loop: Header=BB56_7 Depth=2
	ds_write_b64 v61, v[28:29] offset:128
; %bb.18:                               ;   in Loop: Header=BB56_7 Depth=2
	s_or_b64 exec, exec, s[22:23]
.LBB56_19:                              ;   in Loop: Header=BB56_7 Depth=2
	s_or_b64 exec, exec, s[18:19]
	v_cmp_eq_u64_e64 s[18:19], s[24:25], v[48:49]
	v_cmp_gt_i64_e64 s[22:23], v[2:3], v[46:47]
	s_and_b64 s[18:19], s[28:29], s[18:19]
	s_or_b64 s[22:23], s[8:9], s[22:23]
	s_or_b64 s[22:23], s[22:23], s[18:19]
	s_nor_b64 s[14:15], s[14:15], s[22:23]
                                        ; implicit-def: $vgpr2_vgpr3
	s_and_saveexec_b64 s[22:23], s[14:15]
	s_xor_b64 s[14:15], exec, s[22:23]
	s_cbranch_execz .LBB56_21
; %bb.20:                               ;   in Loop: Header=BB56_7 Depth=2
	global_load_dwordx2 v[2:3], v[0:1], off offset:128
.LBB56_21:                              ;   in Loop: Header=BB56_7 Depth=2
	s_andn2_saveexec_b64 s[14:15], s[14:15]
	s_cbranch_execz .LBB56_23
; %bb.22:                               ;   in Loop: Header=BB56_7 Depth=2
	v_cndmask_b32_e64 v9, 0, v29, s[18:19]
	s_waitcnt vmcnt(0)
	v_mov_b64_e32 v[2:3], v[8:9]
.LBB56_23:                              ;   in Loop: Header=BB56_7 Depth=2
	s_or_b64 exec, exec, s[14:15]
	s_or_b64 s[12:13], s[8:9], s[12:13]
	s_or_b64 s[12:13], s[12:13], s[10:11]
	s_nor_b64 s[12:13], s[16:17], s[12:13]
	s_waitcnt vmcnt(0)
	ds_write_b64 v61, v[2:3] offset:4096
	s_and_saveexec_b64 s[14:15], s[12:13]
	s_xor_b64 s[12:13], exec, s[14:15]
	s_cbranch_execz .LBB56_25
; %bb.24:                               ;   in Loop: Header=BB56_7 Depth=2
	global_load_dwordx2 v[0:1], v[58:59], off offset:128
	s_waitcnt vmcnt(0)
	ds_write_b64 v61, v[0:1] offset:4224
.LBB56_25:                              ;   in Loop: Header=BB56_7 Depth=2
	s_andn2_saveexec_b64 s[12:13], s[12:13]
	s_cbranch_execz .LBB56_31
; %bb.26:                               ;   in Loop: Header=BB56_7 Depth=2
	s_xor_b64 s[10:11], s[10:11], -1
	s_and_saveexec_b64 s[14:15], s[10:11]
	s_xor_b64 s[10:11], exec, s[14:15]
; %bb.27:                               ;   in Loop: Header=BB56_7 Depth=2
	ds_write_b64 v61, v[30:31] offset:4224
; %bb.28:                               ;   in Loop: Header=BB56_7 Depth=2
	s_andn2_saveexec_b64 s[10:11], s[10:11]
; %bb.29:                               ;   in Loop: Header=BB56_7 Depth=2
	ds_write_b64 v61, v[28:29] offset:4224
; %bb.30:                               ;   in Loop: Header=BB56_7 Depth=2
	s_or_b64 exec, exec, s[10:11]
.LBB56_31:                              ;   in Loop: Header=BB56_7 Depth=2
	s_or_b64 exec, exec, s[12:13]
	v_lshl_add_u64 v[0:1], v[4:5], 0, s[24:25]
	v_cmp_le_i64_e64 s[10:11], s[38:39], v[0:1]
	v_lshl_add_u64 v[2:3], v[56:57], 0, v[22:23]
	s_nor_b64 s[14:15], s[10:11], vcc
	v_mov_b64_e32 v[58:59], 0
	s_and_saveexec_b64 s[12:13], s[14:15]
	s_cbranch_execz .LBB56_33
; %bb.32:                               ;   in Loop: Header=BB56_7 Depth=2
	global_load_dwordx2 v[58:59], v[2:3], off offset:-128
.LBB56_33:                              ;   in Loop: Header=BB56_7 Depth=2
	s_or_b64 exec, exec, s[12:13]
	s_nor_b64 s[10:11], s[10:11], s[0:1]
	s_waitcnt vmcnt(0)
	ds_write_b64 v63, v[58:59]
	s_and_saveexec_b64 s[12:13], s[10:11]
	s_xor_b64 s[10:11], exec, s[12:13]
	s_cbranch_execz .LBB56_35
; %bb.34:                               ;   in Loop: Header=BB56_7 Depth=2
	global_load_dwordx2 v[2:3], v[2:3], off
	s_waitcnt vmcnt(0)
	ds_write_b64 v63, v[2:3] offset:128
.LBB56_35:                              ;   in Loop: Header=BB56_7 Depth=2
	s_andn2_saveexec_b64 s[10:11], s[10:11]
; %bb.36:                               ;   in Loop: Header=BB56_7 Depth=2
	ds_write_b64 v63, v[30:31] offset:128
; %bb.37:                               ;   in Loop: Header=BB56_7 Depth=2
	s_or_b64 exec, exec, s[10:11]
	v_cmp_le_i64_e64 s[10:11], s[44:45], v[0:1]
	v_lshl_add_u64 v[0:1], v[56:57], 0, v[26:27]
	s_nor_b64 s[14:15], s[10:11], vcc
	v_mov_b64_e32 v[2:3], 0
	s_and_saveexec_b64 s[12:13], s[14:15]
	s_cbranch_execz .LBB56_39
; %bb.38:                               ;   in Loop: Header=BB56_7 Depth=2
	global_load_dwordx2 v[2:3], v[0:1], off
.LBB56_39:                              ;   in Loop: Header=BB56_7 Depth=2
	s_or_b64 exec, exec, s[12:13]
	s_nor_b64 s[10:11], s[10:11], s[0:1]
	s_waitcnt vmcnt(0)
	ds_write_b64 v63, v[2:3] offset:4096
	s_and_saveexec_b64 s[12:13], s[10:11]
	s_xor_b64 s[10:11], exec, s[12:13]
	s_cbranch_execz .LBB56_41
; %bb.40:                               ;   in Loop: Header=BB56_7 Depth=2
	global_load_dwordx2 v[0:1], v[0:1], off offset:128
	s_waitcnt vmcnt(0)
	ds_write_b64 v63, v[0:1] offset:4224
.LBB56_41:                              ;   in Loop: Header=BB56_7 Depth=2
	s_andn2_saveexec_b64 s[10:11], s[10:11]
	s_cbranch_execz .LBB56_6
; %bb.42:                               ;   in Loop: Header=BB56_7 Depth=2
	ds_write_b64 v63, v[30:31] offset:4224
	s_branch .LBB56_6
.LBB56_43:                              ;   in Loop: Header=BB56_4 Depth=1
	v_mul_lo_u32 v2, s41, v34
	v_mul_lo_u32 v3, s40, v35
	v_mad_u64_u32 v[0:1], s[8:9], s40, v34, 0
	v_cmp_gt_i32_e64 s[6:7], s38, v34
	v_add3_u32 v1, v1, v3, v2
	v_lshl_add_u64 v[0:1], v[0:1], 3, s[26:27]
	s_and_b64 s[10:11], s[20:21], s[6:7]
	s_and_saveexec_b64 s[8:9], s[10:11]
	s_cbranch_execz .LBB56_45
; %bb.44:                               ;   in Loop: Header=BB56_4 Depth=1
	v_lshl_add_u64 v[2:3], v[10:11], 3, v[0:1]
	global_load_dwordx2 v[42:43], v[2:3], off
	s_waitcnt vmcnt(0)
	v_fmac_f64_e32 v[42:43], s[34:35], v[40:41]
	global_store_dwordx2 v[2:3], v[42:43], off
.LBB56_45:                              ;   in Loop: Header=BB56_4 Depth=1
	s_or_b64 exec, exec, s[8:9]
	s_and_b64 s[8:9], s[4:5], s[6:7]
	s_and_saveexec_b64 s[6:7], s[8:9]
	s_cbranch_execz .LBB56_47
; %bb.46:                               ;   in Loop: Header=BB56_4 Depth=1
	v_lshl_add_u64 v[0:1], v[16:17], 3, v[0:1]
	global_load_dwordx2 v[2:3], v[0:1], off
	s_waitcnt vmcnt(0)
	v_fmac_f64_e32 v[2:3], s[34:35], v[38:39]
	global_store_dwordx2 v[0:1], v[2:3], off
.LBB56_47:                              ;   in Loop: Header=BB56_4 Depth=1
	s_or_b64 exec, exec, s[6:7]
	v_add_u32_e32 v0, 16, v34
	v_ashrrev_i32_e32 v1, 31, v0
	v_cmp_gt_i32_e64 s[6:7], s38, v0
	v_mul_lo_u32 v2, s40, v1
	v_mul_lo_u32 v3, s41, v0
	v_mad_u64_u32 v[0:1], s[8:9], s40, v0, 0
	v_add3_u32 v1, v1, v2, v3
	v_lshl_add_u64 v[0:1], v[0:1], 3, s[26:27]
	s_and_b64 s[10:11], s[20:21], s[6:7]
	s_and_saveexec_b64 s[8:9], s[10:11]
	s_cbranch_execz .LBB56_49
; %bb.48:                               ;   in Loop: Header=BB56_4 Depth=1
	v_lshl_add_u64 v[2:3], v[10:11], 3, v[0:1]
	global_load_dwordx2 v[34:35], v[2:3], off
	s_waitcnt vmcnt(0)
	v_fmac_f64_e32 v[34:35], s[34:35], v[36:37]
	global_store_dwordx2 v[2:3], v[34:35], off
.LBB56_49:                              ;   in Loop: Header=BB56_4 Depth=1
	s_or_b64 exec, exec, s[8:9]
	s_and_b64 s[8:9], s[4:5], s[6:7]
	s_and_saveexec_b64 s[6:7], s[8:9]
	s_cbranch_execz .LBB56_3
; %bb.50:                               ;   in Loop: Header=BB56_4 Depth=1
	v_lshl_add_u64 v[0:1], v[16:17], 3, v[0:1]
	global_load_dwordx2 v[2:3], v[0:1], off
	s_waitcnt vmcnt(0)
	v_fmac_f64_e32 v[2:3], s[34:35], v[32:33]
	global_store_dwordx2 v[0:1], v[2:3], off
	s_branch .LBB56_3
.LBB56_51:
	s_endpgm
	.section	.rodata,"a",@progbits
	.p2align	6, 0x0
	.amdhsa_kernel _ZL30rocblas_trmm_outofplace_kernelIdLi32ELi2ELb0ELb0ELb1ELb1EPKdS0_dEv17rocblas_diagonal_iiT6_lPT7_lllS5_lllPT8_llli
		.amdhsa_group_segment_fixed_size 16384
		.amdhsa_private_segment_fixed_size 0
		.amdhsa_kernarg_size 392
		.amdhsa_user_sgpr_count 2
		.amdhsa_user_sgpr_dispatch_ptr 0
		.amdhsa_user_sgpr_queue_ptr 0
		.amdhsa_user_sgpr_kernarg_segment_ptr 1
		.amdhsa_user_sgpr_dispatch_id 0
		.amdhsa_user_sgpr_kernarg_preload_length 0
		.amdhsa_user_sgpr_kernarg_preload_offset 0
		.amdhsa_user_sgpr_private_segment_size 0
		.amdhsa_uses_dynamic_stack 0
		.amdhsa_enable_private_segment 0
		.amdhsa_system_sgpr_workgroup_id_x 1
		.amdhsa_system_sgpr_workgroup_id_y 1
		.amdhsa_system_sgpr_workgroup_id_z 1
		.amdhsa_system_sgpr_workgroup_info 0
		.amdhsa_system_vgpr_workitem_id 1
		.amdhsa_next_free_vgpr 96
		.amdhsa_next_free_sgpr 50
		.amdhsa_accum_offset 96
		.amdhsa_reserve_vcc 1
		.amdhsa_float_round_mode_32 0
		.amdhsa_float_round_mode_16_64 0
		.amdhsa_float_denorm_mode_32 3
		.amdhsa_float_denorm_mode_16_64 3
		.amdhsa_dx10_clamp 1
		.amdhsa_ieee_mode 1
		.amdhsa_fp16_overflow 0
		.amdhsa_tg_split 0
		.amdhsa_exception_fp_ieee_invalid_op 0
		.amdhsa_exception_fp_denorm_src 0
		.amdhsa_exception_fp_ieee_div_zero 0
		.amdhsa_exception_fp_ieee_overflow 0
		.amdhsa_exception_fp_ieee_underflow 0
		.amdhsa_exception_fp_ieee_inexact 0
		.amdhsa_exception_int_div_zero 0
	.end_amdhsa_kernel
	.section	.text._ZL30rocblas_trmm_outofplace_kernelIdLi32ELi2ELb0ELb0ELb1ELb1EPKdS0_dEv17rocblas_diagonal_iiT6_lPT7_lllS5_lllPT8_llli,"axG",@progbits,_ZL30rocblas_trmm_outofplace_kernelIdLi32ELi2ELb0ELb0ELb1ELb1EPKdS0_dEv17rocblas_diagonal_iiT6_lPT7_lllS5_lllPT8_llli,comdat
.Lfunc_end56:
	.size	_ZL30rocblas_trmm_outofplace_kernelIdLi32ELi2ELb0ELb0ELb1ELb1EPKdS0_dEv17rocblas_diagonal_iiT6_lPT7_lllS5_lllPT8_llli, .Lfunc_end56-_ZL30rocblas_trmm_outofplace_kernelIdLi32ELi2ELb0ELb0ELb1ELb1EPKdS0_dEv17rocblas_diagonal_iiT6_lPT7_lllS5_lllPT8_llli
                                        ; -- End function
	.set _ZL30rocblas_trmm_outofplace_kernelIdLi32ELi2ELb0ELb0ELb1ELb1EPKdS0_dEv17rocblas_diagonal_iiT6_lPT7_lllS5_lllPT8_llli.num_vgpr, 96
	.set _ZL30rocblas_trmm_outofplace_kernelIdLi32ELi2ELb0ELb0ELb1ELb1EPKdS0_dEv17rocblas_diagonal_iiT6_lPT7_lllS5_lllPT8_llli.num_agpr, 0
	.set _ZL30rocblas_trmm_outofplace_kernelIdLi32ELi2ELb0ELb0ELb1ELb1EPKdS0_dEv17rocblas_diagonal_iiT6_lPT7_lllS5_lllPT8_llli.numbered_sgpr, 50
	.set _ZL30rocblas_trmm_outofplace_kernelIdLi32ELi2ELb0ELb0ELb1ELb1EPKdS0_dEv17rocblas_diagonal_iiT6_lPT7_lllS5_lllPT8_llli.num_named_barrier, 0
	.set _ZL30rocblas_trmm_outofplace_kernelIdLi32ELi2ELb0ELb0ELb1ELb1EPKdS0_dEv17rocblas_diagonal_iiT6_lPT7_lllS5_lllPT8_llli.private_seg_size, 0
	.set _ZL30rocblas_trmm_outofplace_kernelIdLi32ELi2ELb0ELb0ELb1ELb1EPKdS0_dEv17rocblas_diagonal_iiT6_lPT7_lllS5_lllPT8_llli.uses_vcc, 1
	.set _ZL30rocblas_trmm_outofplace_kernelIdLi32ELi2ELb0ELb0ELb1ELb1EPKdS0_dEv17rocblas_diagonal_iiT6_lPT7_lllS5_lllPT8_llli.uses_flat_scratch, 0
	.set _ZL30rocblas_trmm_outofplace_kernelIdLi32ELi2ELb0ELb0ELb1ELb1EPKdS0_dEv17rocblas_diagonal_iiT6_lPT7_lllS5_lllPT8_llli.has_dyn_sized_stack, 0
	.set _ZL30rocblas_trmm_outofplace_kernelIdLi32ELi2ELb0ELb0ELb1ELb1EPKdS0_dEv17rocblas_diagonal_iiT6_lPT7_lllS5_lllPT8_llli.has_recursion, 0
	.set _ZL30rocblas_trmm_outofplace_kernelIdLi32ELi2ELb0ELb0ELb1ELb1EPKdS0_dEv17rocblas_diagonal_iiT6_lPT7_lllS5_lllPT8_llli.has_indirect_call, 0
	.section	.AMDGPU.csdata,"",@progbits
; Kernel info:
; codeLenInByte = 3016
; TotalNumSgprs: 56
; NumVgprs: 96
; NumAgprs: 0
; TotalNumVgprs: 96
; ScratchSize: 0
; MemoryBound: 0
; FloatMode: 240
; IeeeMode: 1
; LDSByteSize: 16384 bytes/workgroup (compile time only)
; SGPRBlocks: 6
; VGPRBlocks: 11
; NumSGPRsForWavesPerEU: 56
; NumVGPRsForWavesPerEU: 96
; AccumOffset: 96
; Occupancy: 5
; WaveLimiterHint : 0
; COMPUTE_PGM_RSRC2:SCRATCH_EN: 0
; COMPUTE_PGM_RSRC2:USER_SGPR: 2
; COMPUTE_PGM_RSRC2:TRAP_HANDLER: 0
; COMPUTE_PGM_RSRC2:TGID_X_EN: 1
; COMPUTE_PGM_RSRC2:TGID_Y_EN: 1
; COMPUTE_PGM_RSRC2:TGID_Z_EN: 1
; COMPUTE_PGM_RSRC2:TIDIG_COMP_CNT: 1
; COMPUTE_PGM_RSRC3_GFX90A:ACCUM_OFFSET: 23
; COMPUTE_PGM_RSRC3_GFX90A:TG_SPLIT: 0
	.section	.text._ZL30rocblas_trmm_outofplace_kernelIdLi32ELi2ELb0ELb0ELb1ELb1EdKddEv17rocblas_diagonal_iiT6_lPT7_lllS4_lllPT8_llli,"axG",@progbits,_ZL30rocblas_trmm_outofplace_kernelIdLi32ELi2ELb0ELb0ELb1ELb1EdKddEv17rocblas_diagonal_iiT6_lPT7_lllS4_lllPT8_llli,comdat
	.globl	_ZL30rocblas_trmm_outofplace_kernelIdLi32ELi2ELb0ELb0ELb1ELb1EdKddEv17rocblas_diagonal_iiT6_lPT7_lllS4_lllPT8_llli ; -- Begin function _ZL30rocblas_trmm_outofplace_kernelIdLi32ELi2ELb0ELb0ELb1ELb1EdKddEv17rocblas_diagonal_iiT6_lPT7_lllS4_lllPT8_llli
	.p2align	8
	.type	_ZL30rocblas_trmm_outofplace_kernelIdLi32ELi2ELb0ELb0ELb1ELb1EdKddEv17rocblas_diagonal_iiT6_lPT7_lllS4_lllPT8_llli,@function
_ZL30rocblas_trmm_outofplace_kernelIdLi32ELi2ELb0ELb0ELb1ELb1EdKddEv17rocblas_diagonal_iiT6_lPT7_lllS4_lllPT8_llli: ; @_ZL30rocblas_trmm_outofplace_kernelIdLi32ELi2ELb0ELb0ELb1ELb1EdKddEv17rocblas_diagonal_iiT6_lPT7_lllS4_lllPT8_llli
; %bb.0:
	s_load_dwordx2 s[34:35], s[0:1], 0x10
	s_waitcnt lgkmcnt(0)
	v_cmp_eq_f64_e64 s[6:7], s[34:35], 0
	s_and_b64 vcc, exec, s[6:7]
	s_cbranch_vccnz .LBB57_51
; %bb.1:
	s_load_dwordx4 s[28:31], s[0:1], 0x0
	s_waitcnt lgkmcnt(0)
	s_add_i32 s5, s30, -1
	s_ashr_i32 s6, s5, 31
	s_lshr_b32 s6, s6, 27
	s_add_i32 s5, s5, s6
	s_ashr_i32 s33, s5, 5
	s_cmp_gt_i32 s3, s33
	s_cbranch_scc1 .LBB57_51
; %bb.2:
	s_load_dwordx16 s[12:27], s[0:1], 0x20
	s_load_dwordx8 s[36:43], s[0:1], 0x60
	v_and_b32_e32 v6, 0x3ff, v0
	v_bfe_u32 v4, v0, 10, 10
	v_lshl_add_u32 v10, s2, 5, v6
	s_waitcnt lgkmcnt(0)
	s_mul_i32 s5, s19, s4
	s_mul_hi_u32 s7, s18, s4
	s_mul_i32 s6, s18, s4
	s_add_i32 s7, s7, s5
	s_lshl_b64 s[8:9], s[6:7], 3
	s_add_u32 s5, s12, s8
	s_addc_u32 s7, s13, s9
	s_lshl_b64 s[10:11], s[14:15], 3
	s_add_u32 s6, s5, s10
	s_mul_i32 s5, s27, s4
	s_mul_hi_u32 s14, s26, s4
	s_addc_u32 s7, s7, s11
	s_add_i32 s15, s14, s5
	s_mul_i32 s14, s26, s4
	s_lshl_b64 s[14:15], s[14:15], 3
	s_add_u32 s5, s20, s14
	s_addc_u32 s18, s21, s15
	s_lshl_b64 s[14:15], s[22:23], 3
	s_add_u32 s14, s5, s14
	s_addc_u32 s15, s18, s15
	s_mul_i32 s5, s43, s4
	s_mul_hi_u32 s18, s42, s4
	s_add_i32 s5, s18, s5
	s_mul_i32 s4, s42, s4
	s_lshl_b64 s[4:5], s[4:5], 3
	s_add_u32 s18, s36, s4
	s_addc_u32 s19, s37, s5
	s_lshl_b64 s[4:5], s[38:39], 3
	s_add_u32 s26, s18, s4
	s_addc_u32 s27, s19, s5
	v_mad_u64_u32 v[0:1], s[4:5], s16, v6, 0
	v_mov_b32_e32 v2, v1
	v_mad_u64_u32 v[2:3], s[4:5], s17, v6, v[2:3]
	s_cmpk_eq_i32 s28, 0x84
	v_mov_b32_e32 v1, v2
	s_cselect_b64 s[36:37], -1, 0
	s_ashr_i32 s2, s29, 31
	v_lshl_add_u64 v[12:13], v[0:1], 3, s[6:7]
	v_mov_b32_e32 v1, s2
	s_load_dword s2, s[0:1], 0x8c
	v_ashrrev_i32_e32 v11, 31, v10
	v_sub_co_u32_e32 v0, vcc, s29, v10
	v_sub_co_u32_e64 v18, s[6:7], 0, v6
	s_nop 0
	v_subb_co_u32_e32 v1, vcc, v1, v11, vcc
	s_ashr_i32 s31, s30, 31
	s_lshl_b64 s[38:39], s[16:17], 8
	s_lshl_b64 s[42:43], s[24:25], 8
	v_cmp_gt_i64_e32 vcc, 1, v[0:1]
	v_cmp_gt_i64_e64 s[0:1], 17, v[0:1]
	v_subb_co_u32_e64 v19, s[6:7], 0, 0, s[6:7]
	v_mad_u64_u32 v[0:1], s[6:7], s24, v4, 0
	s_add_u32 s44, s30, -16
	v_mov_b32_e32 v2, v1
	s_addc_u32 s45, s31, -1
	s_waitcnt lgkmcnt(0)
	s_lshl_b32 s28, s2, 5
	v_mad_u64_u32 v[2:3], s[6:7], s25, v4, v[2:3]
	s_add_u32 s6, s12, s10
	s_addc_u32 s7, s13, s11
	s_add_u32 s6, s6, s8
	v_lshlrev_b32_e32 v9, 3, v6
	v_mov_b32_e32 v1, v2
	v_mov_b64_e32 v[2:3], 0x80
	s_addc_u32 s7, s7, s9
	v_lshl_add_u64 v[22:23], v[0:1], 3, v[2:3]
	v_add_u32_e32 v2, 0x80, v9
	v_mov_b64_e32 v[0:1], s[6:7]
	v_mad_u64_u32 v[24:25], s[6:7], s16, v2, v[0:1]
	v_mov_b32_e32 v0, v25
	v_mad_u64_u32 v[0:1], s[6:7], s17, v2, v[0:1]
	v_mov_b32_e32 v25, v0
	v_mov_b32_e32 v0, 0x80
	v_lshl_add_u32 v1, v4, 3, v0
	v_mad_u64_u32 v[26:27], s[6:7], s24, v1, 0
	v_mov_b32_e32 v0, v27
	v_mov_b32_e32 v8, 0
	v_lshlrev_b32_e32 v60, 8, v4
	v_or_b32_e32 v62, 0x2000, v9
	v_add_u32_e32 v16, 16, v10
	v_mad_u64_u32 v[0:1], s[6:7], s25, v1, v[0:1]
	v_mov_b32_e32 v7, v8
	v_mov_b32_e32 v5, v8
	v_lshl_add_u64 v[14:15], v[10:11], 3, s[14:15]
	v_add_u32_e32 v61, v60, v9
	v_add_u32_e32 v63, v62, v60
	v_cmp_gt_i32_e64 s[20:21], s29, v10
	v_cmp_gt_i32_e64 s[4:5], s29, v16
	v_ashrrev_i32_e32 v17, 31, v16
	v_lshl_add_u32 v20, s3, 5, v4
	v_mov_b32_e32 v27, v0
	v_mov_b32_e32 v29, 0x3ff00000
	;; [unrolled: 1-line block ×5, first 2 shown]
	v_add_u32_e32 v64, 0x800, v62
	v_add_u32_e32 v65, 0x1000, v62
	;; [unrolled: 1-line block ×3, first 2 shown]
	s_branch .LBB57_4
.LBB57_3:                               ;   in Loop: Header=BB57_4 Depth=1
	s_or_b64 exec, exec, s[6:7]
	s_add_i32 s3, s2, s3
	s_cmp_le_i32 s3, s33
	v_add_u32_e32 v20, s28, v20
	s_cbranch_scc0 .LBB57_51
.LBB57_4:                               ; =>This Loop Header: Depth=1
                                        ;     Child Loop BB57_7 Depth 2
	s_lshl_b32 s29, s3, 5
	v_add_u32_e32 v34, s29, v4
	v_ashrrev_i32_e32 v35, 31, v34
	v_mov_b64_e32 v[40:41], 0
	s_cmp_lt_i32 s3, 0
	v_mov_b64_e32 v[38:39], 0
	v_mov_b64_e32 v[36:37], 0
	;; [unrolled: 1-line block ×3, first 2 shown]
	s_cbranch_scc1 .LBB57_43
; %bb.5:                                ;   in Loop: Header=BB57_4 Depth=1
	v_ashrrev_i32_e32 v21, 31, v20
	v_lshl_add_u64 v[42:43], v[18:19], 0, v[20:21]
	v_lshl_add_u64 v[46:47], v[34:35], 0, 16
	v_lshlrev_b64 v[44:45], 3, v[20:21]
	v_cmp_le_i32_e64 s[6:7], s30, v34
	v_cmp_le_i64_e64 s[8:9], s[30:31], v[46:47]
	v_lshl_add_u64 v[48:49], v[42:43], 0, 16
	v_lshl_add_u64 v[50:51], v[42:43], 0, -16
	v_mov_b64_e32 v[32:33], 0
	s_mov_b64 s[24:25], 0
	v_mov_b64_e32 v[52:53], v[12:13]
	v_mov_b64_e32 v[54:55], v[24:25]
	v_mov_b64_e32 v[56:57], v[14:15]
	v_mov_b64_e32 v[36:37], 0
	v_mov_b64_e32 v[38:39], 0
	v_mov_b64_e32 v[40:41], 0
	s_branch .LBB57_7
.LBB57_6:                               ;   in Loop: Header=BB57_7 Depth=2
	s_or_b64 exec, exec, s[10:11]
	s_waitcnt lgkmcnt(0)
	s_barrier
	ds_read2_b64 v[68:71], v62 offset1:16
	ds_read_b128 v[72:75], v60
	ds_read_b128 v[76:79], v60 offset:16
	ds_read_b128 v[80:83], v60 offset:32
	;; [unrolled: 1-line block ×4, first 2 shown]
	ds_read2_b64 v[88:91], v62 offset0:32 offset1:48
	s_waitcnt lgkmcnt(5)
	v_fmac_f64_e32 v[40:41], v[68:69], v[72:73]
	v_fmac_f64_e32 v[38:39], v[70:71], v[72:73]
	ds_read_b128 v[92:95], v60 offset:4112
	s_waitcnt lgkmcnt(2)
	v_fmac_f64_e32 v[36:37], v[68:69], v[84:85]
	v_fmac_f64_e32 v[32:33], v[70:71], v[84:85]
	ds_read2_b64 v[68:71], v62 offset0:64 offset1:80
	s_waitcnt lgkmcnt(2)
	v_fmac_f64_e32 v[40:41], v[88:89], v[74:75]
	v_fmac_f64_e32 v[38:39], v[90:91], v[74:75]
	ds_read2_b64 v[72:75], v62 offset0:96 offset1:112
	v_fmac_f64_e32 v[36:37], v[88:89], v[86:87]
	v_fmac_f64_e32 v[32:33], v[90:91], v[86:87]
	s_waitcnt lgkmcnt(1)
	v_fmac_f64_e32 v[40:41], v[68:69], v[76:77]
	v_fmac_f64_e32 v[38:39], v[70:71], v[76:77]
	ds_read_b128 v[84:87], v60 offset:4144
	v_fmac_f64_e32 v[36:37], v[68:69], v[92:93]
	v_fmac_f64_e32 v[32:33], v[70:71], v[92:93]
	s_waitcnt lgkmcnt(1)
	v_fmac_f64_e32 v[40:41], v[72:73], v[78:79]
	ds_read2_b64 v[68:71], v62 offset0:128 offset1:144
	v_fmac_f64_e32 v[38:39], v[74:75], v[78:79]
	v_fmac_f64_e32 v[36:37], v[72:73], v[94:95]
	;; [unrolled: 1-line block ×3, first 2 shown]
	ds_read_b128 v[72:75], v60 offset:4128
	ds_read2_b64 v[76:79], v62 offset0:160 offset1:176
	s_waitcnt lgkmcnt(2)
	v_fmac_f64_e32 v[40:41], v[68:69], v[80:81]
	v_fmac_f64_e32 v[38:39], v[70:71], v[80:81]
	s_add_u32 s24, s24, 32
	s_waitcnt lgkmcnt(1)
	v_fmac_f64_e32 v[36:37], v[68:69], v[72:73]
	v_fmac_f64_e32 v[32:33], v[70:71], v[72:73]
	ds_read2_b64 v[68:71], v62 offset0:192 offset1:208
	s_waitcnt lgkmcnt(1)
	v_fmac_f64_e32 v[36:37], v[76:77], v[74:75]
	v_fmac_f64_e32 v[32:33], v[78:79], v[74:75]
	ds_read2_b64 v[72:75], v62 offset0:224 offset1:240
	v_fmac_f64_e32 v[40:41], v[76:77], v[82:83]
	v_fmac_f64_e32 v[38:39], v[78:79], v[82:83]
	s_waitcnt lgkmcnt(1)
	v_fmac_f64_e32 v[40:41], v[68:69], v[0:1]
	v_fmac_f64_e32 v[38:39], v[70:71], v[0:1]
	;; [unrolled: 1-line block ×4, first 2 shown]
	s_waitcnt lgkmcnt(0)
	v_fmac_f64_e32 v[40:41], v[72:73], v[2:3]
	v_fmac_f64_e32 v[38:39], v[74:75], v[2:3]
	ds_read_b128 v[0:3], v60 offset:64
	ds_read2_b64 v[68:71], v64 offset1:16
	v_fmac_f64_e32 v[36:37], v[72:73], v[86:87]
	v_fmac_f64_e32 v[32:33], v[74:75], v[86:87]
	ds_read_b128 v[72:75], v60 offset:4160
	ds_read_b128 v[76:79], v60 offset:80
	ds_read2_b64 v[80:83], v64 offset0:32 offset1:48
	s_waitcnt lgkmcnt(3)
	v_fmac_f64_e32 v[40:41], v[68:69], v[0:1]
	v_fmac_f64_e32 v[38:39], v[70:71], v[0:1]
	ds_read_b128 v[84:87], v60 offset:4176
	s_waitcnt lgkmcnt(3)
	v_fmac_f64_e32 v[36:37], v[68:69], v[72:73]
	v_fmac_f64_e32 v[32:33], v[70:71], v[72:73]
	ds_read2_b64 v[68:71], v64 offset0:64 offset1:80
	s_waitcnt lgkmcnt(2)
	v_fmac_f64_e32 v[40:41], v[80:81], v[2:3]
	v_fmac_f64_e32 v[38:39], v[82:83], v[2:3]
	ds_read2_b64 v[0:3], v64 offset0:96 offset1:112
	v_fmac_f64_e32 v[36:37], v[80:81], v[74:75]
	v_fmac_f64_e32 v[32:33], v[82:83], v[74:75]
	s_waitcnt lgkmcnt(1)
	v_fmac_f64_e32 v[40:41], v[68:69], v[76:77]
	v_fmac_f64_e32 v[38:39], v[70:71], v[76:77]
	;; [unrolled: 1-line block ×4, first 2 shown]
	ds_read_b128 v[68:71], v60 offset:96
	ds_read2_b64 v[72:75], v64 offset0:128 offset1:144
	s_waitcnt lgkmcnt(2)
	v_fmac_f64_e32 v[40:41], v[0:1], v[78:79]
	v_fmac_f64_e32 v[38:39], v[2:3], v[78:79]
	;; [unrolled: 1-line block ×4, first 2 shown]
	ds_read_b128 v[0:3], v60 offset:4192
	ds_read_b128 v[76:79], v60 offset:112
	ds_read2_b64 v[80:83], v64 offset0:160 offset1:176
	s_waitcnt lgkmcnt(3)
	v_fmac_f64_e32 v[40:41], v[72:73], v[68:69]
	v_fmac_f64_e32 v[38:39], v[74:75], v[68:69]
	ds_read_b128 v[84:87], v60 offset:4208
	s_waitcnt lgkmcnt(3)
	v_fmac_f64_e32 v[36:37], v[72:73], v[0:1]
	v_fmac_f64_e32 v[32:33], v[74:75], v[0:1]
	ds_read2_b64 v[72:75], v64 offset0:192 offset1:208
	s_waitcnt lgkmcnt(2)
	v_fmac_f64_e32 v[36:37], v[80:81], v[2:3]
	v_fmac_f64_e32 v[32:33], v[82:83], v[2:3]
	ds_read2_b64 v[0:3], v64 offset0:224 offset1:240
	v_fmac_f64_e32 v[40:41], v[80:81], v[70:71]
	v_fmac_f64_e32 v[38:39], v[82:83], v[70:71]
	s_waitcnt lgkmcnt(1)
	v_fmac_f64_e32 v[40:41], v[72:73], v[76:77]
	v_fmac_f64_e32 v[38:39], v[74:75], v[76:77]
	;; [unrolled: 1-line block ×4, first 2 shown]
	ds_read_b128 v[68:71], v60 offset:128
	ds_read2_b64 v[72:75], v65 offset1:16
	s_waitcnt lgkmcnt(2)
	v_fmac_f64_e32 v[40:41], v[0:1], v[78:79]
	v_fmac_f64_e32 v[38:39], v[2:3], v[78:79]
	;; [unrolled: 1-line block ×4, first 2 shown]
	ds_read_b128 v[0:3], v60 offset:4224
	ds_read_b128 v[76:79], v60 offset:144
	ds_read2_b64 v[80:83], v65 offset0:32 offset1:48
	s_waitcnt lgkmcnt(3)
	v_fmac_f64_e32 v[40:41], v[72:73], v[68:69]
	v_fmac_f64_e32 v[38:39], v[74:75], v[68:69]
	ds_read_b128 v[84:87], v60 offset:4240
	s_waitcnt lgkmcnt(3)
	v_fmac_f64_e32 v[36:37], v[72:73], v[0:1]
	v_fmac_f64_e32 v[32:33], v[74:75], v[0:1]
	ds_read2_b64 v[72:75], v65 offset0:64 offset1:80
	s_waitcnt lgkmcnt(2)
	v_fmac_f64_e32 v[36:37], v[80:81], v[2:3]
	v_fmac_f64_e32 v[32:33], v[82:83], v[2:3]
	ds_read2_b64 v[0:3], v65 offset0:96 offset1:112
	v_fmac_f64_e32 v[40:41], v[80:81], v[70:71]
	v_fmac_f64_e32 v[38:39], v[82:83], v[70:71]
	s_waitcnt lgkmcnt(1)
	v_fmac_f64_e32 v[40:41], v[72:73], v[76:77]
	v_fmac_f64_e32 v[38:39], v[74:75], v[76:77]
	;; [unrolled: 1-line block ×4, first 2 shown]
	ds_read_b128 v[68:71], v60 offset:160
	ds_read2_b64 v[72:75], v65 offset0:128 offset1:144
	s_waitcnt lgkmcnt(2)
	v_fmac_f64_e32 v[40:41], v[0:1], v[78:79]
	v_fmac_f64_e32 v[38:39], v[2:3], v[78:79]
	;; [unrolled: 1-line block ×4, first 2 shown]
	ds_read_b128 v[0:3], v60 offset:4256
	ds_read_b128 v[76:79], v60 offset:176
	ds_read2_b64 v[80:83], v65 offset0:160 offset1:176
	s_waitcnt lgkmcnt(3)
	v_fmac_f64_e32 v[40:41], v[72:73], v[68:69]
	v_fmac_f64_e32 v[38:39], v[74:75], v[68:69]
	ds_read_b128 v[84:87], v60 offset:4272
	s_waitcnt lgkmcnt(3)
	v_fmac_f64_e32 v[36:37], v[72:73], v[0:1]
	v_fmac_f64_e32 v[32:33], v[74:75], v[0:1]
	ds_read2_b64 v[72:75], v65 offset0:192 offset1:208
	s_waitcnt lgkmcnt(2)
	v_fmac_f64_e32 v[36:37], v[80:81], v[2:3]
	v_fmac_f64_e32 v[32:33], v[82:83], v[2:3]
	ds_read2_b64 v[0:3], v65 offset0:224 offset1:240
	v_fmac_f64_e32 v[40:41], v[80:81], v[70:71]
	v_fmac_f64_e32 v[38:39], v[82:83], v[70:71]
	s_waitcnt lgkmcnt(1)
	v_fmac_f64_e32 v[40:41], v[72:73], v[76:77]
	v_fmac_f64_e32 v[38:39], v[74:75], v[76:77]
	;; [unrolled: 1-line block ×4, first 2 shown]
	ds_read_b128 v[68:71], v60 offset:192
	ds_read2_b64 v[72:75], v66 offset1:16
	s_waitcnt lgkmcnt(2)
	v_fmac_f64_e32 v[40:41], v[0:1], v[78:79]
	v_fmac_f64_e32 v[38:39], v[2:3], v[78:79]
	;; [unrolled: 1-line block ×4, first 2 shown]
	ds_read_b128 v[0:3], v60 offset:4288
	ds_read_b128 v[76:79], v60 offset:208
	ds_read2_b64 v[80:83], v66 offset0:32 offset1:48
	s_waitcnt lgkmcnt(3)
	v_fmac_f64_e32 v[40:41], v[72:73], v[68:69]
	v_fmac_f64_e32 v[38:39], v[74:75], v[68:69]
	ds_read_b128 v[84:87], v60 offset:4304
	s_waitcnt lgkmcnt(3)
	v_fmac_f64_e32 v[36:37], v[72:73], v[0:1]
	v_fmac_f64_e32 v[32:33], v[74:75], v[0:1]
	ds_read2_b64 v[72:75], v66 offset0:64 offset1:80
	s_waitcnt lgkmcnt(2)
	v_fmac_f64_e32 v[36:37], v[80:81], v[2:3]
	v_fmac_f64_e32 v[32:33], v[82:83], v[2:3]
	ds_read2_b64 v[0:3], v66 offset0:96 offset1:112
	v_fmac_f64_e32 v[40:41], v[80:81], v[70:71]
	v_fmac_f64_e32 v[38:39], v[82:83], v[70:71]
	s_waitcnt lgkmcnt(1)
	v_fmac_f64_e32 v[40:41], v[72:73], v[76:77]
	v_fmac_f64_e32 v[38:39], v[74:75], v[76:77]
	;; [unrolled: 1-line block ×4, first 2 shown]
	ds_read_b128 v[68:71], v60 offset:224
	ds_read2_b64 v[72:75], v66 offset0:128 offset1:144
	s_waitcnt lgkmcnt(2)
	v_fmac_f64_e32 v[40:41], v[0:1], v[78:79]
	v_fmac_f64_e32 v[38:39], v[2:3], v[78:79]
	;; [unrolled: 1-line block ×4, first 2 shown]
	ds_read_b128 v[0:3], v60 offset:4320
	ds_read_b128 v[76:79], v60 offset:240
	ds_read2_b64 v[80:83], v66 offset0:160 offset1:176
	s_waitcnt lgkmcnt(3)
	v_fmac_f64_e32 v[40:41], v[72:73], v[68:69]
	v_fmac_f64_e32 v[38:39], v[74:75], v[68:69]
	ds_read_b128 v[84:87], v60 offset:4336
	s_waitcnt lgkmcnt(3)
	v_fmac_f64_e32 v[36:37], v[72:73], v[0:1]
	v_fmac_f64_e32 v[32:33], v[74:75], v[0:1]
	ds_read2_b64 v[72:75], v66 offset0:192 offset1:208
	s_waitcnt lgkmcnt(2)
	v_fmac_f64_e32 v[36:37], v[80:81], v[2:3]
	v_fmac_f64_e32 v[32:33], v[82:83], v[2:3]
	ds_read2_b64 v[0:3], v66 offset0:224 offset1:240
	v_fmac_f64_e32 v[40:41], v[80:81], v[70:71]
	v_fmac_f64_e32 v[38:39], v[82:83], v[70:71]
	s_waitcnt lgkmcnt(1)
	v_fmac_f64_e32 v[40:41], v[72:73], v[76:77]
	v_fmac_f64_e32 v[38:39], v[74:75], v[76:77]
	;; [unrolled: 1-line block ×4, first 2 shown]
	s_addc_u32 s25, s25, 0
	s_sub_i32 s10, s24, 32
	s_waitcnt lgkmcnt(0)
	v_fmac_f64_e32 v[40:41], v[0:1], v[78:79]
	v_fmac_f64_e32 v[38:39], v[2:3], v[78:79]
	;; [unrolled: 1-line block ×4, first 2 shown]
	v_lshl_add_u64 v[56:57], v[56:57], 0, s[42:43]
	v_lshl_add_u64 v[54:55], v[54:55], 0, s[38:39]
	s_cmp_ge_i32 s10, s29
	v_lshl_add_u64 v[52:53], v[52:53], 0, s[38:39]
	s_barrier
	s_cbranch_scc1 .LBB57_43
.LBB57_7:                               ;   Parent Loop BB57_4 Depth=1
                                        ; =>  This Inner Loop Header: Depth=2
	v_lshl_add_u64 v[2:3], v[6:7], 0, s[24:25]
	v_cmp_eq_u64_e64 s[10:11], s[24:25], v[42:43]
	v_cmp_gt_i64_e64 s[12:13], v[2:3], v[34:35]
	s_and_b64 s[10:11], s[36:37], s[10:11]
	s_or_b64 s[16:17], s[6:7], s[12:13]
	v_cmp_le_i64_e64 s[14:15], s[30:31], v[2:3]
	s_or_b64 s[16:17], s[16:17], s[10:11]
	v_lshl_add_u64 v[0:1], v[52:53], 0, v[44:45]
	s_nor_b64 s[16:17], s[14:15], s[16:17]
                                        ; implicit-def: $vgpr58_vgpr59
	s_and_saveexec_b64 s[18:19], s[16:17]
	s_xor_b64 s[16:17], exec, s[18:19]
	s_cbranch_execz .LBB57_9
; %bb.8:                                ;   in Loop: Header=BB57_7 Depth=2
	global_load_dwordx2 v[58:59], v[0:1], off
.LBB57_9:                               ;   in Loop: Header=BB57_7 Depth=2
	s_andn2_saveexec_b64 s[16:17], s[16:17]
	s_cbranch_execz .LBB57_11
; %bb.10:                               ;   in Loop: Header=BB57_7 Depth=2
	v_cndmask_b32_e64 v9, 0, v29, s[10:11]
	s_waitcnt vmcnt(0)
	v_mov_b64_e32 v[58:59], v[8:9]
.LBB57_11:                              ;   in Loop: Header=BB57_7 Depth=2
	s_or_b64 exec, exec, s[16:17]
	s_waitcnt vmcnt(0)
	ds_write_b64 v61, v[58:59]
	v_lshl_add_u64 v[58:59], v[2:3], 0, 16
	v_cmp_eq_u64_e64 s[16:17], s[24:25], v[50:51]
	v_cmp_gt_i64_e64 s[18:19], v[58:59], v[34:35]
	s_and_b64 s[22:23], s[36:37], s[16:17]
	s_or_b64 s[18:19], s[6:7], s[18:19]
	v_cmp_le_i64_e64 s[16:17], s[30:31], v[58:59]
	s_or_b64 s[18:19], s[18:19], s[22:23]
	s_nor_b64 s[18:19], s[16:17], s[18:19]
	v_lshl_add_u64 v[58:59], v[54:55], 0, v[44:45]
	s_and_saveexec_b64 s[46:47], s[18:19]
	s_xor_b64 s[18:19], exec, s[46:47]
	s_cbranch_execz .LBB57_13
; %bb.12:                               ;   in Loop: Header=BB57_7 Depth=2
	global_load_dwordx2 v[68:69], v[58:59], off
	s_waitcnt vmcnt(0)
	ds_write_b64 v61, v[68:69] offset:128
.LBB57_13:                              ;   in Loop: Header=BB57_7 Depth=2
	s_andn2_saveexec_b64 s[18:19], s[18:19]
	s_cbranch_execz .LBB57_19
; %bb.14:                               ;   in Loop: Header=BB57_7 Depth=2
	s_xor_b64 s[22:23], s[22:23], -1
	s_and_saveexec_b64 s[46:47], s[22:23]
	s_xor_b64 s[22:23], exec, s[46:47]
; %bb.15:                               ;   in Loop: Header=BB57_7 Depth=2
	ds_write_b64 v61, v[30:31] offset:128
; %bb.16:                               ;   in Loop: Header=BB57_7 Depth=2
	s_andn2_saveexec_b64 s[22:23], s[22:23]
; %bb.17:                               ;   in Loop: Header=BB57_7 Depth=2
	ds_write_b64 v61, v[28:29] offset:128
; %bb.18:                               ;   in Loop: Header=BB57_7 Depth=2
	s_or_b64 exec, exec, s[22:23]
.LBB57_19:                              ;   in Loop: Header=BB57_7 Depth=2
	s_or_b64 exec, exec, s[18:19]
	v_cmp_eq_u64_e64 s[18:19], s[24:25], v[48:49]
	v_cmp_gt_i64_e64 s[22:23], v[2:3], v[46:47]
	s_and_b64 s[18:19], s[36:37], s[18:19]
	s_or_b64 s[22:23], s[8:9], s[22:23]
	s_or_b64 s[22:23], s[22:23], s[18:19]
	s_nor_b64 s[14:15], s[14:15], s[22:23]
                                        ; implicit-def: $vgpr2_vgpr3
	s_and_saveexec_b64 s[22:23], s[14:15]
	s_xor_b64 s[14:15], exec, s[22:23]
	s_cbranch_execz .LBB57_21
; %bb.20:                               ;   in Loop: Header=BB57_7 Depth=2
	global_load_dwordx2 v[2:3], v[0:1], off offset:128
.LBB57_21:                              ;   in Loop: Header=BB57_7 Depth=2
	s_andn2_saveexec_b64 s[14:15], s[14:15]
	s_cbranch_execz .LBB57_23
; %bb.22:                               ;   in Loop: Header=BB57_7 Depth=2
	v_cndmask_b32_e64 v9, 0, v29, s[18:19]
	s_waitcnt vmcnt(0)
	v_mov_b64_e32 v[2:3], v[8:9]
.LBB57_23:                              ;   in Loop: Header=BB57_7 Depth=2
	s_or_b64 exec, exec, s[14:15]
	s_or_b64 s[12:13], s[8:9], s[12:13]
	s_or_b64 s[12:13], s[12:13], s[10:11]
	s_nor_b64 s[12:13], s[16:17], s[12:13]
	s_waitcnt vmcnt(0)
	ds_write_b64 v61, v[2:3] offset:4096
	s_and_saveexec_b64 s[14:15], s[12:13]
	s_xor_b64 s[12:13], exec, s[14:15]
	s_cbranch_execz .LBB57_25
; %bb.24:                               ;   in Loop: Header=BB57_7 Depth=2
	global_load_dwordx2 v[0:1], v[58:59], off offset:128
	s_waitcnt vmcnt(0)
	ds_write_b64 v61, v[0:1] offset:4224
.LBB57_25:                              ;   in Loop: Header=BB57_7 Depth=2
	s_andn2_saveexec_b64 s[12:13], s[12:13]
	s_cbranch_execz .LBB57_31
; %bb.26:                               ;   in Loop: Header=BB57_7 Depth=2
	s_xor_b64 s[10:11], s[10:11], -1
	s_and_saveexec_b64 s[14:15], s[10:11]
	s_xor_b64 s[10:11], exec, s[14:15]
; %bb.27:                               ;   in Loop: Header=BB57_7 Depth=2
	ds_write_b64 v61, v[30:31] offset:4224
; %bb.28:                               ;   in Loop: Header=BB57_7 Depth=2
	s_andn2_saveexec_b64 s[10:11], s[10:11]
; %bb.29:                               ;   in Loop: Header=BB57_7 Depth=2
	ds_write_b64 v61, v[28:29] offset:4224
; %bb.30:                               ;   in Loop: Header=BB57_7 Depth=2
	s_or_b64 exec, exec, s[10:11]
.LBB57_31:                              ;   in Loop: Header=BB57_7 Depth=2
	s_or_b64 exec, exec, s[12:13]
	v_lshl_add_u64 v[0:1], v[4:5], 0, s[24:25]
	v_cmp_le_i64_e64 s[10:11], s[30:31], v[0:1]
	v_lshl_add_u64 v[2:3], v[56:57], 0, v[22:23]
	s_nor_b64 s[14:15], s[10:11], vcc
	v_mov_b64_e32 v[58:59], 0
	s_and_saveexec_b64 s[12:13], s[14:15]
	s_cbranch_execz .LBB57_33
; %bb.32:                               ;   in Loop: Header=BB57_7 Depth=2
	global_load_dwordx2 v[58:59], v[2:3], off offset:-128
.LBB57_33:                              ;   in Loop: Header=BB57_7 Depth=2
	s_or_b64 exec, exec, s[12:13]
	s_nor_b64 s[10:11], s[10:11], s[0:1]
	s_waitcnt vmcnt(0)
	ds_write_b64 v63, v[58:59]
	s_and_saveexec_b64 s[12:13], s[10:11]
	s_xor_b64 s[10:11], exec, s[12:13]
	s_cbranch_execz .LBB57_35
; %bb.34:                               ;   in Loop: Header=BB57_7 Depth=2
	global_load_dwordx2 v[2:3], v[2:3], off
	s_waitcnt vmcnt(0)
	ds_write_b64 v63, v[2:3] offset:128
.LBB57_35:                              ;   in Loop: Header=BB57_7 Depth=2
	s_andn2_saveexec_b64 s[10:11], s[10:11]
; %bb.36:                               ;   in Loop: Header=BB57_7 Depth=2
	ds_write_b64 v63, v[30:31] offset:128
; %bb.37:                               ;   in Loop: Header=BB57_7 Depth=2
	s_or_b64 exec, exec, s[10:11]
	v_cmp_le_i64_e64 s[10:11], s[44:45], v[0:1]
	v_lshl_add_u64 v[0:1], v[56:57], 0, v[26:27]
	s_nor_b64 s[14:15], s[10:11], vcc
	v_mov_b64_e32 v[2:3], 0
	s_and_saveexec_b64 s[12:13], s[14:15]
	s_cbranch_execz .LBB57_39
; %bb.38:                               ;   in Loop: Header=BB57_7 Depth=2
	global_load_dwordx2 v[2:3], v[0:1], off
.LBB57_39:                              ;   in Loop: Header=BB57_7 Depth=2
	s_or_b64 exec, exec, s[12:13]
	s_nor_b64 s[10:11], s[10:11], s[0:1]
	s_waitcnt vmcnt(0)
	ds_write_b64 v63, v[2:3] offset:4096
	s_and_saveexec_b64 s[12:13], s[10:11]
	s_xor_b64 s[10:11], exec, s[12:13]
	s_cbranch_execz .LBB57_41
; %bb.40:                               ;   in Loop: Header=BB57_7 Depth=2
	global_load_dwordx2 v[0:1], v[0:1], off offset:128
	s_waitcnt vmcnt(0)
	ds_write_b64 v63, v[0:1] offset:4224
.LBB57_41:                              ;   in Loop: Header=BB57_7 Depth=2
	s_andn2_saveexec_b64 s[10:11], s[10:11]
	s_cbranch_execz .LBB57_6
; %bb.42:                               ;   in Loop: Header=BB57_7 Depth=2
	ds_write_b64 v63, v[30:31] offset:4224
	s_branch .LBB57_6
.LBB57_43:                              ;   in Loop: Header=BB57_4 Depth=1
	v_mul_lo_u32 v2, s41, v34
	v_mul_lo_u32 v3, s40, v35
	v_mad_u64_u32 v[0:1], s[8:9], s40, v34, 0
	v_cmp_gt_i32_e64 s[6:7], s30, v34
	v_add3_u32 v1, v1, v3, v2
	v_lshl_add_u64 v[0:1], v[0:1], 3, s[26:27]
	s_and_b64 s[10:11], s[20:21], s[6:7]
	s_and_saveexec_b64 s[8:9], s[10:11]
	s_cbranch_execz .LBB57_45
; %bb.44:                               ;   in Loop: Header=BB57_4 Depth=1
	v_lshl_add_u64 v[2:3], v[10:11], 3, v[0:1]
	global_load_dwordx2 v[42:43], v[2:3], off
	s_waitcnt vmcnt(0)
	v_fmac_f64_e32 v[42:43], s[34:35], v[40:41]
	global_store_dwordx2 v[2:3], v[42:43], off
.LBB57_45:                              ;   in Loop: Header=BB57_4 Depth=1
	s_or_b64 exec, exec, s[8:9]
	s_and_b64 s[8:9], s[4:5], s[6:7]
	s_and_saveexec_b64 s[6:7], s[8:9]
	s_cbranch_execz .LBB57_47
; %bb.46:                               ;   in Loop: Header=BB57_4 Depth=1
	v_lshl_add_u64 v[0:1], v[16:17], 3, v[0:1]
	global_load_dwordx2 v[2:3], v[0:1], off
	s_waitcnt vmcnt(0)
	v_fmac_f64_e32 v[2:3], s[34:35], v[38:39]
	global_store_dwordx2 v[0:1], v[2:3], off
.LBB57_47:                              ;   in Loop: Header=BB57_4 Depth=1
	s_or_b64 exec, exec, s[6:7]
	v_add_u32_e32 v0, 16, v34
	v_ashrrev_i32_e32 v1, 31, v0
	v_cmp_gt_i32_e64 s[6:7], s30, v0
	v_mul_lo_u32 v2, s40, v1
	v_mul_lo_u32 v3, s41, v0
	v_mad_u64_u32 v[0:1], s[8:9], s40, v0, 0
	v_add3_u32 v1, v1, v2, v3
	v_lshl_add_u64 v[0:1], v[0:1], 3, s[26:27]
	s_and_b64 s[10:11], s[20:21], s[6:7]
	s_and_saveexec_b64 s[8:9], s[10:11]
	s_cbranch_execz .LBB57_49
; %bb.48:                               ;   in Loop: Header=BB57_4 Depth=1
	v_lshl_add_u64 v[2:3], v[10:11], 3, v[0:1]
	global_load_dwordx2 v[34:35], v[2:3], off
	s_waitcnt vmcnt(0)
	v_fmac_f64_e32 v[34:35], s[34:35], v[36:37]
	global_store_dwordx2 v[2:3], v[34:35], off
.LBB57_49:                              ;   in Loop: Header=BB57_4 Depth=1
	s_or_b64 exec, exec, s[8:9]
	s_and_b64 s[8:9], s[4:5], s[6:7]
	s_and_saveexec_b64 s[6:7], s[8:9]
	s_cbranch_execz .LBB57_3
; %bb.50:                               ;   in Loop: Header=BB57_4 Depth=1
	v_lshl_add_u64 v[0:1], v[16:17], 3, v[0:1]
	global_load_dwordx2 v[2:3], v[0:1], off
	s_waitcnt vmcnt(0)
	v_fmac_f64_e32 v[2:3], s[34:35], v[32:33]
	global_store_dwordx2 v[0:1], v[2:3], off
	s_branch .LBB57_3
.LBB57_51:
	s_endpgm
	.section	.rodata,"a",@progbits
	.p2align	6, 0x0
	.amdhsa_kernel _ZL30rocblas_trmm_outofplace_kernelIdLi32ELi2ELb0ELb0ELb1ELb1EdKddEv17rocblas_diagonal_iiT6_lPT7_lllS4_lllPT8_llli
		.amdhsa_group_segment_fixed_size 16384
		.amdhsa_private_segment_fixed_size 0
		.amdhsa_kernarg_size 392
		.amdhsa_user_sgpr_count 2
		.amdhsa_user_sgpr_dispatch_ptr 0
		.amdhsa_user_sgpr_queue_ptr 0
		.amdhsa_user_sgpr_kernarg_segment_ptr 1
		.amdhsa_user_sgpr_dispatch_id 0
		.amdhsa_user_sgpr_kernarg_preload_length 0
		.amdhsa_user_sgpr_kernarg_preload_offset 0
		.amdhsa_user_sgpr_private_segment_size 0
		.amdhsa_uses_dynamic_stack 0
		.amdhsa_enable_private_segment 0
		.amdhsa_system_sgpr_workgroup_id_x 1
		.amdhsa_system_sgpr_workgroup_id_y 1
		.amdhsa_system_sgpr_workgroup_id_z 1
		.amdhsa_system_sgpr_workgroup_info 0
		.amdhsa_system_vgpr_workitem_id 1
		.amdhsa_next_free_vgpr 96
		.amdhsa_next_free_sgpr 48
		.amdhsa_accum_offset 96
		.amdhsa_reserve_vcc 1
		.amdhsa_float_round_mode_32 0
		.amdhsa_float_round_mode_16_64 0
		.amdhsa_float_denorm_mode_32 3
		.amdhsa_float_denorm_mode_16_64 3
		.amdhsa_dx10_clamp 1
		.amdhsa_ieee_mode 1
		.amdhsa_fp16_overflow 0
		.amdhsa_tg_split 0
		.amdhsa_exception_fp_ieee_invalid_op 0
		.amdhsa_exception_fp_denorm_src 0
		.amdhsa_exception_fp_ieee_div_zero 0
		.amdhsa_exception_fp_ieee_overflow 0
		.amdhsa_exception_fp_ieee_underflow 0
		.amdhsa_exception_fp_ieee_inexact 0
		.amdhsa_exception_int_div_zero 0
	.end_amdhsa_kernel
	.section	.text._ZL30rocblas_trmm_outofplace_kernelIdLi32ELi2ELb0ELb0ELb1ELb1EdKddEv17rocblas_diagonal_iiT6_lPT7_lllS4_lllPT8_llli,"axG",@progbits,_ZL30rocblas_trmm_outofplace_kernelIdLi32ELi2ELb0ELb0ELb1ELb1EdKddEv17rocblas_diagonal_iiT6_lPT7_lllS4_lllPT8_llli,comdat
.Lfunc_end57:
	.size	_ZL30rocblas_trmm_outofplace_kernelIdLi32ELi2ELb0ELb0ELb1ELb1EdKddEv17rocblas_diagonal_iiT6_lPT7_lllS4_lllPT8_llli, .Lfunc_end57-_ZL30rocblas_trmm_outofplace_kernelIdLi32ELi2ELb0ELb0ELb1ELb1EdKddEv17rocblas_diagonal_iiT6_lPT7_lllS4_lllPT8_llli
                                        ; -- End function
	.set _ZL30rocblas_trmm_outofplace_kernelIdLi32ELi2ELb0ELb0ELb1ELb1EdKddEv17rocblas_diagonal_iiT6_lPT7_lllS4_lllPT8_llli.num_vgpr, 96
	.set _ZL30rocblas_trmm_outofplace_kernelIdLi32ELi2ELb0ELb0ELb1ELb1EdKddEv17rocblas_diagonal_iiT6_lPT7_lllS4_lllPT8_llli.num_agpr, 0
	.set _ZL30rocblas_trmm_outofplace_kernelIdLi32ELi2ELb0ELb0ELb1ELb1EdKddEv17rocblas_diagonal_iiT6_lPT7_lllS4_lllPT8_llli.numbered_sgpr, 48
	.set _ZL30rocblas_trmm_outofplace_kernelIdLi32ELi2ELb0ELb0ELb1ELb1EdKddEv17rocblas_diagonal_iiT6_lPT7_lllS4_lllPT8_llli.num_named_barrier, 0
	.set _ZL30rocblas_trmm_outofplace_kernelIdLi32ELi2ELb0ELb0ELb1ELb1EdKddEv17rocblas_diagonal_iiT6_lPT7_lllS4_lllPT8_llli.private_seg_size, 0
	.set _ZL30rocblas_trmm_outofplace_kernelIdLi32ELi2ELb0ELb0ELb1ELb1EdKddEv17rocblas_diagonal_iiT6_lPT7_lllS4_lllPT8_llli.uses_vcc, 1
	.set _ZL30rocblas_trmm_outofplace_kernelIdLi32ELi2ELb0ELb0ELb1ELb1EdKddEv17rocblas_diagonal_iiT6_lPT7_lllS4_lllPT8_llli.uses_flat_scratch, 0
	.set _ZL30rocblas_trmm_outofplace_kernelIdLi32ELi2ELb0ELb0ELb1ELb1EdKddEv17rocblas_diagonal_iiT6_lPT7_lllS4_lllPT8_llli.has_dyn_sized_stack, 0
	.set _ZL30rocblas_trmm_outofplace_kernelIdLi32ELi2ELb0ELb0ELb1ELb1EdKddEv17rocblas_diagonal_iiT6_lPT7_lllS4_lllPT8_llli.has_recursion, 0
	.set _ZL30rocblas_trmm_outofplace_kernelIdLi32ELi2ELb0ELb0ELb1ELb1EdKddEv17rocblas_diagonal_iiT6_lPT7_lllS4_lllPT8_llli.has_indirect_call, 0
	.section	.AMDGPU.csdata,"",@progbits
; Kernel info:
; codeLenInByte = 2976
; TotalNumSgprs: 54
; NumVgprs: 96
; NumAgprs: 0
; TotalNumVgprs: 96
; ScratchSize: 0
; MemoryBound: 0
; FloatMode: 240
; IeeeMode: 1
; LDSByteSize: 16384 bytes/workgroup (compile time only)
; SGPRBlocks: 6
; VGPRBlocks: 11
; NumSGPRsForWavesPerEU: 54
; NumVGPRsForWavesPerEU: 96
; AccumOffset: 96
; Occupancy: 5
; WaveLimiterHint : 0
; COMPUTE_PGM_RSRC2:SCRATCH_EN: 0
; COMPUTE_PGM_RSRC2:USER_SGPR: 2
; COMPUTE_PGM_RSRC2:TRAP_HANDLER: 0
; COMPUTE_PGM_RSRC2:TGID_X_EN: 1
; COMPUTE_PGM_RSRC2:TGID_Y_EN: 1
; COMPUTE_PGM_RSRC2:TGID_Z_EN: 1
; COMPUTE_PGM_RSRC2:TIDIG_COMP_CNT: 1
; COMPUTE_PGM_RSRC3_GFX90A:ACCUM_OFFSET: 23
; COMPUTE_PGM_RSRC3_GFX90A:TG_SPLIT: 0
	.section	.text._ZL30rocblas_trmm_outofplace_kernelIdLi32ELi2ELb0ELb1ELb1ELb1EPKdS0_dEv17rocblas_diagonal_iiT6_lPT7_lllS5_lllPT8_llli,"axG",@progbits,_ZL30rocblas_trmm_outofplace_kernelIdLi32ELi2ELb0ELb1ELb1ELb1EPKdS0_dEv17rocblas_diagonal_iiT6_lPT7_lllS5_lllPT8_llli,comdat
	.globl	_ZL30rocblas_trmm_outofplace_kernelIdLi32ELi2ELb0ELb1ELb1ELb1EPKdS0_dEv17rocblas_diagonal_iiT6_lPT7_lllS5_lllPT8_llli ; -- Begin function _ZL30rocblas_trmm_outofplace_kernelIdLi32ELi2ELb0ELb1ELb1ELb1EPKdS0_dEv17rocblas_diagonal_iiT6_lPT7_lllS5_lllPT8_llli
	.p2align	8
	.type	_ZL30rocblas_trmm_outofplace_kernelIdLi32ELi2ELb0ELb1ELb1ELb1EPKdS0_dEv17rocblas_diagonal_iiT6_lPT7_lllS5_lllPT8_llli,@function
_ZL30rocblas_trmm_outofplace_kernelIdLi32ELi2ELb0ELb1ELb1ELb1EPKdS0_dEv17rocblas_diagonal_iiT6_lPT7_lllS5_lllPT8_llli: ; @_ZL30rocblas_trmm_outofplace_kernelIdLi32ELi2ELb0ELb1ELb1ELb1EPKdS0_dEv17rocblas_diagonal_iiT6_lPT7_lllS5_lllPT8_llli
; %bb.0:
	s_load_dwordx16 s[36:51], s[0:1], 0x10
	s_waitcnt lgkmcnt(0)
	s_mul_i32 s5, s39, s4
	s_mul_hi_u32 s6, s38, s4
	s_add_i32 s7, s6, s5
	s_mul_i32 s6, s38, s4
	s_lshl_b64 s[6:7], s[6:7], 3
	s_add_u32 s6, s36, s6
	s_addc_u32 s7, s37, s7
	s_load_dwordx2 s[34:35], s[6:7], 0x0
	s_waitcnt lgkmcnt(0)
	v_cmp_eq_f64_e64 s[6:7], s[34:35], 0
	s_and_b64 vcc, exec, s[6:7]
	s_cbranch_vccnz .LBB58_52
; %bb.1:
	s_load_dwordx4 s[36:39], s[0:1], 0x0
	s_waitcnt lgkmcnt(0)
	s_add_i32 s5, s38, -1
	s_ashr_i32 s6, s5, 31
	s_lshr_b32 s6, s6, 27
	s_add_i32 s5, s5, s6
	s_ashr_i32 s33, s5, 5
	s_cmp_gt_i32 s3, s33
	s_cbranch_scc1 .LBB58_52
; %bb.2:
	s_load_dwordx4 s[52:55], s[0:1], 0x70
	s_load_dwordx8 s[24:31], s[0:1], 0x50
	s_load_dword s64, s[0:1], 0x8c
	v_and_b32_e32 v2, 0x3ff, v0
	v_bfe_u32 v54, v0, 10, 10
	v_lshl_add_u32 v4, s2, 5, v2
	s_waitcnt lgkmcnt(0)
	s_mul_i32 s0, s55, s4
	s_mul_hi_u32 s1, s54, s4
	s_add_i32 s1, s1, s0
	s_mul_i32 s0, s54, s4
	s_lshl_b64 s[0:1], s[0:1], 3
	s_add_u32 s5, s28, s0
	s_addc_u32 s6, s29, s1
	s_lshl_b64 s[0:1], s[30:31], 3
	s_add_u32 s28, s5, s0
	s_addc_u32 s29, s6, s1
	s_cmpk_eq_i32 s36, 0x84
	s_cselect_b64 s[30:31], -1, 0
	s_ashr_i32 s39, s38, 31
	s_ashr_i32 s0, s37, 31
	s_lshl_b64 s[54:55], s[44:45], 8
	s_lshl_b64 s[56:57], s[24:25], 8
	s_add_u32 s58, s38, -16
	s_addc_u32 s59, s39, -1
	s_lshl_b32 s5, s3, 5
	s_lshl_b32 s2, s64, 5
	v_add_u32_e32 v8, s5, v2
	v_add_u32_e32 v10, s5, v54
	s_add_u32 s60, s48, 0x80
	s_mul_i32 s5, s27, s4
	s_mul_hi_u32 s6, s26, s4
	s_addc_u32 s61, s49, 0
	s_add_i32 s7, s6, s5
	s_mul_i32 s6, s26, s4
	s_lshl_b64 s[62:63], s[24:25], 3
	s_lshl_b64 s[6:7], s[6:7], 3
	;; [unrolled: 1-line block ×3, first 2 shown]
	s_add_u32 s6, s6, s8
	v_ashrrev_i32_e32 v5, 31, v4
	s_addc_u32 s7, s7, s9
	v_lshl_add_u64 v[12:13], v[4:5], 3, s[6:7]
	s_mul_i32 s5, s47, s4
	s_mul_hi_u32 s6, s46, s4
	s_add_i32 s5, s6, s5
	s_mul_i32 s4, s46, s4
	s_lshl_b64 s[4:5], s[4:5], 3
	s_lshl_b64 s[6:7], s[42:43], 3
	s_add_u32 s4, s4, s6
	v_lshlrev_b32_e32 v3, 3, v2
	v_mov_b32_e32 v1, s0
	v_sub_co_u32_e32 v0, vcc, s37, v4
	s_addc_u32 s5, s5, s7
	v_lshlrev_b32_e32 v55, 8, v54
	v_subb_co_u32_e32 v1, vcc, v1, v5, vcc
	v_or_b32_e32 v57, 0x2000, v3
	v_add_u32_e32 v6, 16, v4
	s_add_u32 s26, s40, s4
	v_mov_b32_e32 v14, 0
	v_add_u32_e32 v56, v55, v3
	v_add_u32_e32 v58, v57, v55
	v_cmp_gt_i64_e32 vcc, 1, v[0:1]
	v_cmp_gt_i64_e64 s[0:1], 17, v[0:1]
	v_cmp_gt_i32_e64 s[20:21], s37, v4
	v_cmp_gt_i32_e64 s[22:23], s37, v6
	v_ashrrev_i32_e32 v7, 31, v6
	s_mov_b64 s[36:37], 0x80
	s_addc_u32 s27, s41, s5
	s_lshl_b64 s[40:41], s[44:45], 3
	v_mov_b64_e32 v[16:17], 0x80
	v_mov_b32_e32 v19, 0x3ff00000
	v_mov_b32_e32 v20, 0
	;; [unrolled: 1-line block ×4, first 2 shown]
	v_add_u32_e32 v59, 0x800, v57
	v_add_u32_e32 v60, 0x1000, v57
	;; [unrolled: 1-line block ×3, first 2 shown]
	s_branch .LBB58_4
.LBB58_3:                               ;   in Loop: Header=BB58_4 Depth=1
	s_or_b64 exec, exec, s[4:5]
	s_add_i32 s3, s64, s3
	v_add_u32_e32 v8, s2, v8
	s_cmp_le_i32 s3, s33
	v_add_u32_e32 v10, s2, v10
	s_cbranch_scc0 .LBB58_52
.LBB58_4:                               ; =>This Loop Header: Depth=1
                                        ;     Child Loop BB58_7 Depth 2
	s_lshl_b32 s4, s3, 5
	v_add_u32_e32 v22, s4, v54
	s_sub_i32 s46, s38, s4
	v_ashrrev_i32_e32 v9, 31, v8
	v_ashrrev_i32_e32 v11, 31, v10
	s_cmp_lt_i32 s46, 1
	v_ashrrev_i32_e32 v23, 31, v22
	s_cbranch_scc1 .LBB58_43
; %bb.5:                                ;   in Loop: Header=BB58_4 Depth=1
	v_sub_co_u32_e64 v28, s[4:5], v10, v8
	v_mov_b64_e32 v[0:1], s[60:61]
	s_nop 0
	v_subb_co_u32_e64 v29, s[4:5], v11, v9, s[4:5]
	v_mad_u64_u32 v[32:33], s[4:5], s62, v10, v[0:1]
	v_mul_lo_u32 v0, s62, v11
	v_mul_lo_u32 v1, s63, v10
	v_add3_u32 v33, v1, v33, v0
	v_lshl_add_u64 v[0:1], v[8:9], 3, v[16:17]
	v_mov_b64_e32 v[2:3], s[26:27]
	v_mul_lo_u32 v1, s44, v1
	v_mul_lo_u32 v15, s45, v0
	v_mad_u64_u32 v[38:39], s[4:5], s44, v0, v[2:3]
	v_lshlrev_b64 v[34:35], 3, v[10:11]
	v_add3_u32 v39, v15, v39, v1
	v_mad_u64_u32 v[40:41], s[4:5], s40, v8, v[2:3]
	v_mul_lo_u32 v0, s40, v9
	v_mul_lo_u32 v1, s41, v8
	v_add3_u32 v41, v1, v41, v0
	v_lshl_add_u64 v[0:1], v[34:35], 0, s[36:37]
	v_mov_b64_e32 v[2:3], s[48:49]
	v_mul_lo_u32 v1, s24, v1
	v_mul_lo_u32 v15, s25, v0
	v_mad_u64_u32 v[42:43], s[4:5], s24, v0, v[2:3]
	v_lshl_add_u64 v[44:45], v[22:23], 0, 16
	v_add3_u32 v43, v15, v43, v1
	v_cmp_le_i32_e64 s[6:7], s38, v22
	v_cmp_le_i64_e64 s[8:9], s[38:39], v[44:45]
	v_lshl_add_u64 v[46:47], v[28:29], 0, 16
	v_lshl_add_u64 v[48:49], v[28:29], 0, -16
	v_mov_b64_e32 v[24:25], 0
	s_mov_b64 s[42:43], 0
	v_mov_b64_e32 v[50:51], v[12:13]
	v_mov_b64_e32 v[26:27], 0
	;; [unrolled: 1-line block ×4, first 2 shown]
	s_branch .LBB58_7
.LBB58_6:                               ;   in Loop: Header=BB58_7 Depth=2
	s_or_b64 exec, exec, s[4:5]
	s_waitcnt lgkmcnt(0)
	s_barrier
	ds_read_b128 v[62:65], v55
	ds_read_b128 v[66:69], v55 offset:16
	ds_read_b128 v[70:73], v55 offset:32
	;; [unrolled: 1-line block ×3, first 2 shown]
	ds_read2_b64 v[74:77], v57 offset1:16
	ds_read_b128 v[78:81], v55 offset:4096
	s_add_u32 s42, s42, 32
	s_addc_u32 s43, s43, 0
	v_lshl_add_u64 v[50:51], v[50:51], 0, s[56:57]
	s_waitcnt lgkmcnt(1)
	v_fmac_f64_e32 v[36:37], v[74:75], v[62:63]
	v_fmac_f64_e32 v[30:31], v[76:77], v[62:63]
	s_waitcnt lgkmcnt(0)
	v_fmac_f64_e32 v[26:27], v[74:75], v[78:79]
	v_fmac_f64_e32 v[24:25], v[76:77], v[78:79]
	ds_read2_b64 v[74:77], v57 offset0:32 offset1:48
	v_lshl_add_u64 v[38:39], v[38:39], 0, s[54:55]
	v_lshl_add_u64 v[40:41], v[40:41], 0, s[54:55]
	s_cmp_ge_i32 s42, s46
	s_waitcnt lgkmcnt(0)
	v_fmac_f64_e32 v[36:37], v[74:75], v[64:65]
	v_fmac_f64_e32 v[30:31], v[76:77], v[64:65]
	v_fmac_f64_e32 v[26:27], v[74:75], v[80:81]
	v_fmac_f64_e32 v[24:25], v[76:77], v[80:81]
	ds_read2_b64 v[62:65], v57 offset0:64 offset1:80
	ds_read_b128 v[74:77], v55 offset:4112
	s_waitcnt lgkmcnt(1)
	v_fmac_f64_e32 v[36:37], v[62:63], v[66:67]
	v_fmac_f64_e32 v[30:31], v[64:65], v[66:67]
	s_waitcnt lgkmcnt(0)
	v_fmac_f64_e32 v[26:27], v[62:63], v[74:75]
	v_fmac_f64_e32 v[24:25], v[64:65], v[74:75]
	ds_read2_b64 v[62:65], v57 offset0:96 offset1:112
	s_waitcnt lgkmcnt(0)
	v_fmac_f64_e32 v[36:37], v[62:63], v[68:69]
	v_fmac_f64_e32 v[30:31], v[64:65], v[68:69]
	v_fmac_f64_e32 v[26:27], v[62:63], v[76:77]
	v_fmac_f64_e32 v[24:25], v[64:65], v[76:77]
	ds_read2_b64 v[62:65], v57 offset0:128 offset1:144
	ds_read_b128 v[66:69], v55 offset:4128
	s_waitcnt lgkmcnt(1)
	v_fmac_f64_e32 v[36:37], v[62:63], v[70:71]
	v_fmac_f64_e32 v[30:31], v[64:65], v[70:71]
	s_waitcnt lgkmcnt(0)
	v_fmac_f64_e32 v[26:27], v[62:63], v[66:67]
	v_fmac_f64_e32 v[24:25], v[64:65], v[66:67]
	ds_read2_b64 v[62:65], v57 offset0:160 offset1:176
	;; [unrolled: 14-line block ×3, first 2 shown]
	s_waitcnt lgkmcnt(0)
	v_fmac_f64_e32 v[36:37], v[62:63], v[2:3]
	v_fmac_f64_e32 v[30:31], v[64:65], v[2:3]
	v_fmac_f64_e32 v[26:27], v[62:63], v[68:69]
	v_fmac_f64_e32 v[24:25], v[64:65], v[68:69]
	ds_read_b128 v[0:3], v55 offset:64
	ds_read2_b64 v[62:65], v59 offset1:16
	ds_read_b128 v[66:69], v55 offset:4160
	s_waitcnt lgkmcnt(1)
	v_fmac_f64_e32 v[36:37], v[62:63], v[0:1]
	v_fmac_f64_e32 v[30:31], v[64:65], v[0:1]
	s_waitcnt lgkmcnt(0)
	v_fmac_f64_e32 v[26:27], v[62:63], v[66:67]
	v_fmac_f64_e32 v[24:25], v[64:65], v[66:67]
	ds_read2_b64 v[62:65], v59 offset0:32 offset1:48
	s_waitcnt lgkmcnt(0)
	v_fmac_f64_e32 v[36:37], v[62:63], v[2:3]
	v_fmac_f64_e32 v[30:31], v[64:65], v[2:3]
	v_fmac_f64_e32 v[26:27], v[62:63], v[68:69]
	v_fmac_f64_e32 v[24:25], v[64:65], v[68:69]
	ds_read_b128 v[0:3], v55 offset:80
	ds_read2_b64 v[62:65], v59 offset0:64 offset1:80
	ds_read_b128 v[66:69], v55 offset:4176
	s_waitcnt lgkmcnt(1)
	v_fmac_f64_e32 v[36:37], v[62:63], v[0:1]
	v_fmac_f64_e32 v[30:31], v[64:65], v[0:1]
	s_waitcnt lgkmcnt(0)
	v_fmac_f64_e32 v[26:27], v[62:63], v[66:67]
	v_fmac_f64_e32 v[24:25], v[64:65], v[66:67]
	ds_read2_b64 v[62:65], v59 offset0:96 offset1:112
	s_waitcnt lgkmcnt(0)
	v_fmac_f64_e32 v[36:37], v[62:63], v[2:3]
	v_fmac_f64_e32 v[30:31], v[64:65], v[2:3]
	v_fmac_f64_e32 v[26:27], v[62:63], v[68:69]
	v_fmac_f64_e32 v[24:25], v[64:65], v[68:69]
	ds_read_b128 v[0:3], v55 offset:96
	ds_read2_b64 v[62:65], v59 offset0:128 offset1:144
	ds_read_b128 v[66:69], v55 offset:4192
	s_waitcnt lgkmcnt(1)
	v_fmac_f64_e32 v[36:37], v[62:63], v[0:1]
	v_fmac_f64_e32 v[30:31], v[64:65], v[0:1]
	s_waitcnt lgkmcnt(0)
	v_fmac_f64_e32 v[26:27], v[62:63], v[66:67]
	v_fmac_f64_e32 v[24:25], v[64:65], v[66:67]
	ds_read2_b64 v[62:65], v59 offset0:160 offset1:176
	s_waitcnt lgkmcnt(0)
	v_fmac_f64_e32 v[36:37], v[62:63], v[2:3]
	v_fmac_f64_e32 v[30:31], v[64:65], v[2:3]
	v_fmac_f64_e32 v[26:27], v[62:63], v[68:69]
	v_fmac_f64_e32 v[24:25], v[64:65], v[68:69]
	ds_read_b128 v[0:3], v55 offset:112
	ds_read2_b64 v[62:65], v59 offset0:192 offset1:208
	ds_read_b128 v[66:69], v55 offset:4208
	s_waitcnt lgkmcnt(1)
	v_fmac_f64_e32 v[36:37], v[62:63], v[0:1]
	v_fmac_f64_e32 v[30:31], v[64:65], v[0:1]
	s_waitcnt lgkmcnt(0)
	v_fmac_f64_e32 v[26:27], v[62:63], v[66:67]
	v_fmac_f64_e32 v[24:25], v[64:65], v[66:67]
	ds_read2_b64 v[62:65], v59 offset0:224 offset1:240
	s_waitcnt lgkmcnt(0)
	v_fmac_f64_e32 v[36:37], v[62:63], v[2:3]
	v_fmac_f64_e32 v[30:31], v[64:65], v[2:3]
	v_fmac_f64_e32 v[26:27], v[62:63], v[68:69]
	v_fmac_f64_e32 v[24:25], v[64:65], v[68:69]
	ds_read_b128 v[0:3], v55 offset:128
	ds_read2_b64 v[62:65], v60 offset1:16
	ds_read_b128 v[66:69], v55 offset:4224
	s_waitcnt lgkmcnt(1)
	v_fmac_f64_e32 v[36:37], v[62:63], v[0:1]
	v_fmac_f64_e32 v[30:31], v[64:65], v[0:1]
	s_waitcnt lgkmcnt(0)
	v_fmac_f64_e32 v[26:27], v[62:63], v[66:67]
	v_fmac_f64_e32 v[24:25], v[64:65], v[66:67]
	ds_read2_b64 v[62:65], v60 offset0:32 offset1:48
	s_waitcnt lgkmcnt(0)
	v_fmac_f64_e32 v[36:37], v[62:63], v[2:3]
	v_fmac_f64_e32 v[30:31], v[64:65], v[2:3]
	v_fmac_f64_e32 v[26:27], v[62:63], v[68:69]
	v_fmac_f64_e32 v[24:25], v[64:65], v[68:69]
	ds_read_b128 v[0:3], v55 offset:144
	ds_read2_b64 v[62:65], v60 offset0:64 offset1:80
	ds_read_b128 v[66:69], v55 offset:4240
	s_waitcnt lgkmcnt(1)
	v_fmac_f64_e32 v[36:37], v[62:63], v[0:1]
	v_fmac_f64_e32 v[30:31], v[64:65], v[0:1]
	s_waitcnt lgkmcnt(0)
	v_fmac_f64_e32 v[26:27], v[62:63], v[66:67]
	v_fmac_f64_e32 v[24:25], v[64:65], v[66:67]
	ds_read2_b64 v[62:65], v60 offset0:96 offset1:112
	s_waitcnt lgkmcnt(0)
	v_fmac_f64_e32 v[36:37], v[62:63], v[2:3]
	v_fmac_f64_e32 v[30:31], v[64:65], v[2:3]
	v_fmac_f64_e32 v[26:27], v[62:63], v[68:69]
	v_fmac_f64_e32 v[24:25], v[64:65], v[68:69]
	ds_read_b128 v[0:3], v55 offset:160
	ds_read2_b64 v[62:65], v60 offset0:128 offset1:144
	ds_read_b128 v[66:69], v55 offset:4256
	s_waitcnt lgkmcnt(1)
	v_fmac_f64_e32 v[36:37], v[62:63], v[0:1]
	v_fmac_f64_e32 v[30:31], v[64:65], v[0:1]
	s_waitcnt lgkmcnt(0)
	v_fmac_f64_e32 v[26:27], v[62:63], v[66:67]
	v_fmac_f64_e32 v[24:25], v[64:65], v[66:67]
	ds_read2_b64 v[62:65], v60 offset0:160 offset1:176
	s_waitcnt lgkmcnt(0)
	v_fmac_f64_e32 v[36:37], v[62:63], v[2:3]
	v_fmac_f64_e32 v[30:31], v[64:65], v[2:3]
	v_fmac_f64_e32 v[26:27], v[62:63], v[68:69]
	v_fmac_f64_e32 v[24:25], v[64:65], v[68:69]
	ds_read_b128 v[0:3], v55 offset:176
	ds_read2_b64 v[62:65], v60 offset0:192 offset1:208
	ds_read_b128 v[66:69], v55 offset:4272
	s_waitcnt lgkmcnt(1)
	v_fmac_f64_e32 v[36:37], v[62:63], v[0:1]
	v_fmac_f64_e32 v[30:31], v[64:65], v[0:1]
	s_waitcnt lgkmcnt(0)
	v_fmac_f64_e32 v[26:27], v[62:63], v[66:67]
	v_fmac_f64_e32 v[24:25], v[64:65], v[66:67]
	ds_read2_b64 v[62:65], v60 offset0:224 offset1:240
	s_waitcnt lgkmcnt(0)
	v_fmac_f64_e32 v[36:37], v[62:63], v[2:3]
	v_fmac_f64_e32 v[30:31], v[64:65], v[2:3]
	v_fmac_f64_e32 v[26:27], v[62:63], v[68:69]
	v_fmac_f64_e32 v[24:25], v[64:65], v[68:69]
	ds_read_b128 v[0:3], v55 offset:192
	ds_read2_b64 v[62:65], v61 offset1:16
	ds_read_b128 v[66:69], v55 offset:4288
	s_waitcnt lgkmcnt(1)
	v_fmac_f64_e32 v[36:37], v[62:63], v[0:1]
	v_fmac_f64_e32 v[30:31], v[64:65], v[0:1]
	s_waitcnt lgkmcnt(0)
	v_fmac_f64_e32 v[26:27], v[62:63], v[66:67]
	v_fmac_f64_e32 v[24:25], v[64:65], v[66:67]
	ds_read2_b64 v[62:65], v61 offset0:32 offset1:48
	s_waitcnt lgkmcnt(0)
	v_fmac_f64_e32 v[36:37], v[62:63], v[2:3]
	v_fmac_f64_e32 v[30:31], v[64:65], v[2:3]
	v_fmac_f64_e32 v[26:27], v[62:63], v[68:69]
	v_fmac_f64_e32 v[24:25], v[64:65], v[68:69]
	ds_read_b128 v[0:3], v55 offset:208
	ds_read2_b64 v[62:65], v61 offset0:64 offset1:80
	ds_read_b128 v[66:69], v55 offset:4304
	s_waitcnt lgkmcnt(1)
	v_fmac_f64_e32 v[36:37], v[62:63], v[0:1]
	v_fmac_f64_e32 v[30:31], v[64:65], v[0:1]
	s_waitcnt lgkmcnt(0)
	v_fmac_f64_e32 v[26:27], v[62:63], v[66:67]
	v_fmac_f64_e32 v[24:25], v[64:65], v[66:67]
	ds_read2_b64 v[62:65], v61 offset0:96 offset1:112
	s_waitcnt lgkmcnt(0)
	v_fmac_f64_e32 v[36:37], v[62:63], v[2:3]
	v_fmac_f64_e32 v[30:31], v[64:65], v[2:3]
	v_fmac_f64_e32 v[26:27], v[62:63], v[68:69]
	v_fmac_f64_e32 v[24:25], v[64:65], v[68:69]
	ds_read_b128 v[0:3], v55 offset:224
	ds_read2_b64 v[62:65], v61 offset0:128 offset1:144
	ds_read_b128 v[66:69], v55 offset:4320
	s_waitcnt lgkmcnt(1)
	v_fmac_f64_e32 v[36:37], v[62:63], v[0:1]
	v_fmac_f64_e32 v[30:31], v[64:65], v[0:1]
	s_waitcnt lgkmcnt(0)
	v_fmac_f64_e32 v[26:27], v[62:63], v[66:67]
	v_fmac_f64_e32 v[24:25], v[64:65], v[66:67]
	ds_read2_b64 v[62:65], v61 offset0:160 offset1:176
	s_waitcnt lgkmcnt(0)
	v_fmac_f64_e32 v[36:37], v[62:63], v[2:3]
	v_fmac_f64_e32 v[30:31], v[64:65], v[2:3]
	v_fmac_f64_e32 v[26:27], v[62:63], v[68:69]
	v_fmac_f64_e32 v[24:25], v[64:65], v[68:69]
	ds_read_b128 v[0:3], v55 offset:240
	ds_read2_b64 v[62:65], v61 offset0:192 offset1:208
	ds_read_b128 v[66:69], v55 offset:4336
	s_waitcnt lgkmcnt(1)
	v_fmac_f64_e32 v[36:37], v[62:63], v[0:1]
	v_fmac_f64_e32 v[30:31], v[64:65], v[0:1]
	s_waitcnt lgkmcnt(0)
	v_fmac_f64_e32 v[26:27], v[62:63], v[66:67]
	v_fmac_f64_e32 v[24:25], v[64:65], v[66:67]
	ds_read2_b64 v[62:65], v61 offset0:224 offset1:240
	s_waitcnt lgkmcnt(0)
	s_barrier
	v_fmac_f64_e32 v[36:37], v[62:63], v[2:3]
	v_fmac_f64_e32 v[30:31], v[64:65], v[2:3]
	;; [unrolled: 1-line block ×4, first 2 shown]
	s_cbranch_scc1 .LBB58_44
.LBB58_7:                               ;   Parent Loop BB58_4 Depth=1
                                        ; =>  This Inner Loop Header: Depth=2
	v_lshl_add_u64 v[2:3], v[8:9], 0, s[42:43]
	v_cmp_eq_u64_e64 s[4:5], s[42:43], v[28:29]
	v_cmp_lt_i64_e64 s[12:13], v[2:3], v[22:23]
	s_and_b64 s[10:11], s[30:31], s[4:5]
	v_cmp_le_i64_e64 s[14:15], s[38:39], v[2:3]
	s_or_b64 s[4:5], s[6:7], s[12:13]
	s_or_b64 s[4:5], s[14:15], s[4:5]
	v_lshl_add_u64 v[0:1], v[40:41], 0, v[34:35]
	s_nor_b64 s[4:5], s[4:5], s[10:11]
                                        ; implicit-def: $vgpr52_vgpr53
	s_and_saveexec_b64 s[16:17], s[4:5]
	s_xor_b64 s[4:5], exec, s[16:17]
	s_cbranch_execz .LBB58_9
; %bb.8:                                ;   in Loop: Header=BB58_7 Depth=2
	global_load_dwordx2 v[52:53], v[0:1], off
.LBB58_9:                               ;   in Loop: Header=BB58_7 Depth=2
	s_andn2_saveexec_b64 s[4:5], s[4:5]
	s_cbranch_execz .LBB58_11
; %bb.10:                               ;   in Loop: Header=BB58_7 Depth=2
	v_cndmask_b32_e64 v15, 0, v19, s[10:11]
	s_waitcnt vmcnt(0)
	v_mov_b64_e32 v[52:53], v[14:15]
.LBB58_11:                              ;   in Loop: Header=BB58_7 Depth=2
	s_or_b64 exec, exec, s[4:5]
	s_waitcnt vmcnt(0)
	ds_write_b64 v56, v[52:53]
	v_lshl_add_u64 v[52:53], v[2:3], 0, 16
	v_cmp_eq_u64_e64 s[4:5], s[42:43], v[48:49]
	s_and_b64 s[18:19], s[30:31], s[4:5]
	v_cmp_lt_i64_e64 s[4:5], v[52:53], v[22:23]
	v_cmp_le_i64_e64 s[16:17], s[38:39], v[52:53]
	s_or_b64 s[4:5], s[6:7], s[4:5]
	s_or_b64 s[4:5], s[16:17], s[4:5]
	s_nor_b64 s[4:5], s[4:5], s[18:19]
	v_lshl_add_u64 v[52:53], v[38:39], 0, v[34:35]
	s_and_saveexec_b64 s[50:51], s[4:5]
	s_xor_b64 s[4:5], exec, s[50:51]
	s_cbranch_execz .LBB58_13
; %bb.12:                               ;   in Loop: Header=BB58_7 Depth=2
	global_load_dwordx2 v[62:63], v[52:53], off
	s_waitcnt vmcnt(0)
	ds_write_b64 v56, v[62:63] offset:128
.LBB58_13:                              ;   in Loop: Header=BB58_7 Depth=2
	s_andn2_saveexec_b64 s[4:5], s[4:5]
	s_cbranch_execz .LBB58_19
; %bb.14:                               ;   in Loop: Header=BB58_7 Depth=2
	s_xor_b64 s[18:19], s[18:19], -1
	s_and_saveexec_b64 s[50:51], s[18:19]
	s_xor_b64 s[18:19], exec, s[50:51]
; %bb.15:                               ;   in Loop: Header=BB58_7 Depth=2
	ds_write_b64 v56, v[20:21] offset:128
; %bb.16:                               ;   in Loop: Header=BB58_7 Depth=2
	s_andn2_saveexec_b64 s[18:19], s[18:19]
; %bb.17:                               ;   in Loop: Header=BB58_7 Depth=2
	ds_write_b64 v56, v[18:19] offset:128
; %bb.18:                               ;   in Loop: Header=BB58_7 Depth=2
	s_or_b64 exec, exec, s[18:19]
.LBB58_19:                              ;   in Loop: Header=BB58_7 Depth=2
	s_or_b64 exec, exec, s[4:5]
	v_cmp_eq_u64_e64 s[4:5], s[42:43], v[46:47]
	s_and_b64 s[18:19], s[30:31], s[4:5]
	v_cmp_lt_i64_e64 s[4:5], v[2:3], v[44:45]
	s_or_b64 s[4:5], s[8:9], s[4:5]
	s_or_b64 s[4:5], s[4:5], s[18:19]
	s_nor_b64 s[4:5], s[14:15], s[4:5]
                                        ; implicit-def: $vgpr2_vgpr3
	s_and_saveexec_b64 s[14:15], s[4:5]
	s_xor_b64 s[4:5], exec, s[14:15]
	s_cbranch_execz .LBB58_21
; %bb.20:                               ;   in Loop: Header=BB58_7 Depth=2
	global_load_dwordx2 v[2:3], v[0:1], off offset:128
.LBB58_21:                              ;   in Loop: Header=BB58_7 Depth=2
	s_andn2_saveexec_b64 s[4:5], s[4:5]
	s_cbranch_execz .LBB58_23
; %bb.22:                               ;   in Loop: Header=BB58_7 Depth=2
	v_cndmask_b32_e64 v15, 0, v19, s[18:19]
	s_waitcnt vmcnt(0)
	v_mov_b64_e32 v[2:3], v[14:15]
.LBB58_23:                              ;   in Loop: Header=BB58_7 Depth=2
	s_or_b64 exec, exec, s[4:5]
	s_or_b64 s[4:5], s[8:9], s[12:13]
	s_or_b64 s[4:5], s[16:17], s[4:5]
	s_nor_b64 s[4:5], s[4:5], s[10:11]
	s_waitcnt vmcnt(0)
	ds_write_b64 v56, v[2:3] offset:4096
	s_and_saveexec_b64 s[12:13], s[4:5]
	s_xor_b64 s[4:5], exec, s[12:13]
	s_cbranch_execz .LBB58_25
; %bb.24:                               ;   in Loop: Header=BB58_7 Depth=2
	global_load_dwordx2 v[0:1], v[52:53], off offset:128
	s_waitcnt vmcnt(0)
	ds_write_b64 v56, v[0:1] offset:4224
.LBB58_25:                              ;   in Loop: Header=BB58_7 Depth=2
	s_andn2_saveexec_b64 s[4:5], s[4:5]
	s_cbranch_execz .LBB58_31
; %bb.26:                               ;   in Loop: Header=BB58_7 Depth=2
	s_xor_b64 s[10:11], s[10:11], -1
	s_and_saveexec_b64 s[12:13], s[10:11]
	s_xor_b64 s[10:11], exec, s[12:13]
; %bb.27:                               ;   in Loop: Header=BB58_7 Depth=2
	ds_write_b64 v56, v[20:21] offset:4224
; %bb.28:                               ;   in Loop: Header=BB58_7 Depth=2
	s_andn2_saveexec_b64 s[10:11], s[10:11]
; %bb.29:                               ;   in Loop: Header=BB58_7 Depth=2
	ds_write_b64 v56, v[18:19] offset:4224
; %bb.30:                               ;   in Loop: Header=BB58_7 Depth=2
	s_or_b64 exec, exec, s[10:11]
.LBB58_31:                              ;   in Loop: Header=BB58_7 Depth=2
	s_or_b64 exec, exec, s[4:5]
	v_lshl_add_u64 v[0:1], v[10:11], 0, s[42:43]
	v_cmp_le_i64_e64 s[10:11], s[38:39], v[0:1]
	v_lshl_add_u64 v[2:3], v[32:33], 0, v[50:51]
	s_nor_b64 s[12:13], s[10:11], vcc
	v_mov_b64_e32 v[52:53], 0
	s_and_saveexec_b64 s[4:5], s[12:13]
	s_cbranch_execz .LBB58_33
; %bb.32:                               ;   in Loop: Header=BB58_7 Depth=2
	global_load_dwordx2 v[52:53], v[2:3], off offset:-128
.LBB58_33:                              ;   in Loop: Header=BB58_7 Depth=2
	s_or_b64 exec, exec, s[4:5]
	s_nor_b64 s[4:5], s[10:11], s[0:1]
	s_waitcnt vmcnt(0)
	ds_write_b64 v58, v[52:53]
	s_and_saveexec_b64 s[10:11], s[4:5]
	s_xor_b64 s[4:5], exec, s[10:11]
	s_cbranch_execz .LBB58_35
; %bb.34:                               ;   in Loop: Header=BB58_7 Depth=2
	global_load_dwordx2 v[2:3], v[2:3], off
	s_waitcnt vmcnt(0)
	ds_write_b64 v58, v[2:3] offset:128
.LBB58_35:                              ;   in Loop: Header=BB58_7 Depth=2
	s_andn2_saveexec_b64 s[4:5], s[4:5]
; %bb.36:                               ;   in Loop: Header=BB58_7 Depth=2
	ds_write_b64 v58, v[20:21] offset:128
; %bb.37:                               ;   in Loop: Header=BB58_7 Depth=2
	s_or_b64 exec, exec, s[4:5]
	v_cmp_le_i64_e64 s[10:11], s[58:59], v[0:1]
	v_lshl_add_u64 v[0:1], v[42:43], 0, v[50:51]
	s_nor_b64 s[12:13], s[10:11], vcc
	v_mov_b64_e32 v[2:3], 0
	s_and_saveexec_b64 s[4:5], s[12:13]
	s_cbranch_execz .LBB58_39
; %bb.38:                               ;   in Loop: Header=BB58_7 Depth=2
	global_load_dwordx2 v[2:3], v[0:1], off
.LBB58_39:                              ;   in Loop: Header=BB58_7 Depth=2
	s_or_b64 exec, exec, s[4:5]
	s_nor_b64 s[4:5], s[10:11], s[0:1]
	s_waitcnt vmcnt(0)
	ds_write_b64 v58, v[2:3] offset:4096
	s_and_saveexec_b64 s[10:11], s[4:5]
	s_xor_b64 s[4:5], exec, s[10:11]
	s_cbranch_execz .LBB58_41
; %bb.40:                               ;   in Loop: Header=BB58_7 Depth=2
	global_load_dwordx2 v[0:1], v[0:1], off offset:128
	s_waitcnt vmcnt(0)
	ds_write_b64 v58, v[0:1] offset:4224
.LBB58_41:                              ;   in Loop: Header=BB58_7 Depth=2
	s_andn2_saveexec_b64 s[4:5], s[4:5]
	s_cbranch_execz .LBB58_6
; %bb.42:                               ;   in Loop: Header=BB58_7 Depth=2
	ds_write_b64 v58, v[20:21] offset:4224
	s_branch .LBB58_6
.LBB58_43:                              ;   in Loop: Header=BB58_4 Depth=1
	v_mov_b64_e32 v[36:37], 0
	v_mov_b64_e32 v[30:31], 0
	;; [unrolled: 1-line block ×4, first 2 shown]
.LBB58_44:                              ;   in Loop: Header=BB58_4 Depth=1
	v_mul_lo_u32 v2, s53, v22
	v_mul_lo_u32 v3, s52, v23
	v_mad_u64_u32 v[0:1], s[4:5], s52, v22, 0
	v_cmp_gt_i32_e64 s[6:7], s38, v22
	v_add3_u32 v1, v1, v3, v2
	v_lshl_add_u64 v[0:1], v[0:1], 3, s[28:29]
	s_and_b64 s[8:9], s[20:21], s[6:7]
	s_and_saveexec_b64 s[4:5], s[8:9]
	s_cbranch_execz .LBB58_46
; %bb.45:                               ;   in Loop: Header=BB58_4 Depth=1
	v_lshl_add_u64 v[2:3], v[4:5], 3, v[0:1]
	global_load_dwordx2 v[28:29], v[2:3], off
	s_waitcnt vmcnt(0)
	v_fmac_f64_e32 v[28:29], s[34:35], v[36:37]
	global_store_dwordx2 v[2:3], v[28:29], off
.LBB58_46:                              ;   in Loop: Header=BB58_4 Depth=1
	s_or_b64 exec, exec, s[4:5]
	s_and_b64 s[6:7], s[22:23], s[6:7]
	s_and_saveexec_b64 s[4:5], s[6:7]
	s_cbranch_execz .LBB58_48
; %bb.47:                               ;   in Loop: Header=BB58_4 Depth=1
	v_lshl_add_u64 v[0:1], v[6:7], 3, v[0:1]
	global_load_dwordx2 v[2:3], v[0:1], off
	s_waitcnt vmcnt(0)
	v_fmac_f64_e32 v[2:3], s[34:35], v[30:31]
	global_store_dwordx2 v[0:1], v[2:3], off
.LBB58_48:                              ;   in Loop: Header=BB58_4 Depth=1
	s_or_b64 exec, exec, s[4:5]
	v_add_u32_e32 v0, 16, v22
	v_ashrrev_i32_e32 v1, 31, v0
	v_cmp_gt_i32_e64 s[6:7], s38, v0
	v_mul_lo_u32 v2, s52, v1
	v_mul_lo_u32 v3, s53, v0
	v_mad_u64_u32 v[0:1], s[4:5], s52, v0, 0
	v_add3_u32 v1, v1, v2, v3
	v_lshl_add_u64 v[0:1], v[0:1], 3, s[28:29]
	s_and_b64 s[8:9], s[20:21], s[6:7]
	s_and_saveexec_b64 s[4:5], s[8:9]
	s_cbranch_execz .LBB58_50
; %bb.49:                               ;   in Loop: Header=BB58_4 Depth=1
	v_lshl_add_u64 v[2:3], v[4:5], 3, v[0:1]
	global_load_dwordx2 v[22:23], v[2:3], off
	s_waitcnt vmcnt(0)
	v_fmac_f64_e32 v[22:23], s[34:35], v[26:27]
	global_store_dwordx2 v[2:3], v[22:23], off
.LBB58_50:                              ;   in Loop: Header=BB58_4 Depth=1
	s_or_b64 exec, exec, s[4:5]
	s_and_b64 s[6:7], s[22:23], s[6:7]
	s_and_saveexec_b64 s[4:5], s[6:7]
	s_cbranch_execz .LBB58_3
; %bb.51:                               ;   in Loop: Header=BB58_4 Depth=1
	v_lshl_add_u64 v[0:1], v[6:7], 3, v[0:1]
	global_load_dwordx2 v[2:3], v[0:1], off
	s_waitcnt vmcnt(0)
	v_fmac_f64_e32 v[2:3], s[34:35], v[24:25]
	global_store_dwordx2 v[0:1], v[2:3], off
	s_branch .LBB58_3
.LBB58_52:
	s_endpgm
	.section	.rodata,"a",@progbits
	.p2align	6, 0x0
	.amdhsa_kernel _ZL30rocblas_trmm_outofplace_kernelIdLi32ELi2ELb0ELb1ELb1ELb1EPKdS0_dEv17rocblas_diagonal_iiT6_lPT7_lllS5_lllPT8_llli
		.amdhsa_group_segment_fixed_size 16384
		.amdhsa_private_segment_fixed_size 0
		.amdhsa_kernarg_size 392
		.amdhsa_user_sgpr_count 2
		.amdhsa_user_sgpr_dispatch_ptr 0
		.amdhsa_user_sgpr_queue_ptr 0
		.amdhsa_user_sgpr_kernarg_segment_ptr 1
		.amdhsa_user_sgpr_dispatch_id 0
		.amdhsa_user_sgpr_kernarg_preload_length 0
		.amdhsa_user_sgpr_kernarg_preload_offset 0
		.amdhsa_user_sgpr_private_segment_size 0
		.amdhsa_uses_dynamic_stack 0
		.amdhsa_enable_private_segment 0
		.amdhsa_system_sgpr_workgroup_id_x 1
		.amdhsa_system_sgpr_workgroup_id_y 1
		.amdhsa_system_sgpr_workgroup_id_z 1
		.amdhsa_system_sgpr_workgroup_info 0
		.amdhsa_system_vgpr_workitem_id 1
		.amdhsa_next_free_vgpr 82
		.amdhsa_next_free_sgpr 65
		.amdhsa_accum_offset 84
		.amdhsa_reserve_vcc 1
		.amdhsa_float_round_mode_32 0
		.amdhsa_float_round_mode_16_64 0
		.amdhsa_float_denorm_mode_32 3
		.amdhsa_float_denorm_mode_16_64 3
		.amdhsa_dx10_clamp 1
		.amdhsa_ieee_mode 1
		.amdhsa_fp16_overflow 0
		.amdhsa_tg_split 0
		.amdhsa_exception_fp_ieee_invalid_op 0
		.amdhsa_exception_fp_denorm_src 0
		.amdhsa_exception_fp_ieee_div_zero 0
		.amdhsa_exception_fp_ieee_overflow 0
		.amdhsa_exception_fp_ieee_underflow 0
		.amdhsa_exception_fp_ieee_inexact 0
		.amdhsa_exception_int_div_zero 0
	.end_amdhsa_kernel
	.section	.text._ZL30rocblas_trmm_outofplace_kernelIdLi32ELi2ELb0ELb1ELb1ELb1EPKdS0_dEv17rocblas_diagonal_iiT6_lPT7_lllS5_lllPT8_llli,"axG",@progbits,_ZL30rocblas_trmm_outofplace_kernelIdLi32ELi2ELb0ELb1ELb1ELb1EPKdS0_dEv17rocblas_diagonal_iiT6_lPT7_lllS5_lllPT8_llli,comdat
.Lfunc_end58:
	.size	_ZL30rocblas_trmm_outofplace_kernelIdLi32ELi2ELb0ELb1ELb1ELb1EPKdS0_dEv17rocblas_diagonal_iiT6_lPT7_lllS5_lllPT8_llli, .Lfunc_end58-_ZL30rocblas_trmm_outofplace_kernelIdLi32ELi2ELb0ELb1ELb1ELb1EPKdS0_dEv17rocblas_diagonal_iiT6_lPT7_lllS5_lllPT8_llli
                                        ; -- End function
	.set _ZL30rocblas_trmm_outofplace_kernelIdLi32ELi2ELb0ELb1ELb1ELb1EPKdS0_dEv17rocblas_diagonal_iiT6_lPT7_lllS5_lllPT8_llli.num_vgpr, 82
	.set _ZL30rocblas_trmm_outofplace_kernelIdLi32ELi2ELb0ELb1ELb1ELb1EPKdS0_dEv17rocblas_diagonal_iiT6_lPT7_lllS5_lllPT8_llli.num_agpr, 0
	.set _ZL30rocblas_trmm_outofplace_kernelIdLi32ELi2ELb0ELb1ELb1ELb1EPKdS0_dEv17rocblas_diagonal_iiT6_lPT7_lllS5_lllPT8_llli.numbered_sgpr, 65
	.set _ZL30rocblas_trmm_outofplace_kernelIdLi32ELi2ELb0ELb1ELb1ELb1EPKdS0_dEv17rocblas_diagonal_iiT6_lPT7_lllS5_lllPT8_llli.num_named_barrier, 0
	.set _ZL30rocblas_trmm_outofplace_kernelIdLi32ELi2ELb0ELb1ELb1ELb1EPKdS0_dEv17rocblas_diagonal_iiT6_lPT7_lllS5_lllPT8_llli.private_seg_size, 0
	.set _ZL30rocblas_trmm_outofplace_kernelIdLi32ELi2ELb0ELb1ELb1ELb1EPKdS0_dEv17rocblas_diagonal_iiT6_lPT7_lllS5_lllPT8_llli.uses_vcc, 1
	.set _ZL30rocblas_trmm_outofplace_kernelIdLi32ELi2ELb0ELb1ELb1ELb1EPKdS0_dEv17rocblas_diagonal_iiT6_lPT7_lllS5_lllPT8_llli.uses_flat_scratch, 0
	.set _ZL30rocblas_trmm_outofplace_kernelIdLi32ELi2ELb0ELb1ELb1ELb1EPKdS0_dEv17rocblas_diagonal_iiT6_lPT7_lllS5_lllPT8_llli.has_dyn_sized_stack, 0
	.set _ZL30rocblas_trmm_outofplace_kernelIdLi32ELi2ELb0ELb1ELb1ELb1EPKdS0_dEv17rocblas_diagonal_iiT6_lPT7_lllS5_lllPT8_llli.has_recursion, 0
	.set _ZL30rocblas_trmm_outofplace_kernelIdLi32ELi2ELb0ELb1ELb1ELb1EPKdS0_dEv17rocblas_diagonal_iiT6_lPT7_lllS5_lllPT8_llli.has_indirect_call, 0
	.section	.AMDGPU.csdata,"",@progbits
; Kernel info:
; codeLenInByte = 3052
; TotalNumSgprs: 71
; NumVgprs: 82
; NumAgprs: 0
; TotalNumVgprs: 82
; ScratchSize: 0
; MemoryBound: 0
; FloatMode: 240
; IeeeMode: 1
; LDSByteSize: 16384 bytes/workgroup (compile time only)
; SGPRBlocks: 8
; VGPRBlocks: 10
; NumSGPRsForWavesPerEU: 71
; NumVGPRsForWavesPerEU: 82
; AccumOffset: 84
; Occupancy: 5
; WaveLimiterHint : 0
; COMPUTE_PGM_RSRC2:SCRATCH_EN: 0
; COMPUTE_PGM_RSRC2:USER_SGPR: 2
; COMPUTE_PGM_RSRC2:TRAP_HANDLER: 0
; COMPUTE_PGM_RSRC2:TGID_X_EN: 1
; COMPUTE_PGM_RSRC2:TGID_Y_EN: 1
; COMPUTE_PGM_RSRC2:TGID_Z_EN: 1
; COMPUTE_PGM_RSRC2:TIDIG_COMP_CNT: 1
; COMPUTE_PGM_RSRC3_GFX90A:ACCUM_OFFSET: 20
; COMPUTE_PGM_RSRC3_GFX90A:TG_SPLIT: 0
	.section	.text._ZL30rocblas_trmm_outofplace_kernelIdLi32ELi2ELb0ELb1ELb1ELb1EdKddEv17rocblas_diagonal_iiT6_lPT7_lllS4_lllPT8_llli,"axG",@progbits,_ZL30rocblas_trmm_outofplace_kernelIdLi32ELi2ELb0ELb1ELb1ELb1EdKddEv17rocblas_diagonal_iiT6_lPT7_lllS4_lllPT8_llli,comdat
	.globl	_ZL30rocblas_trmm_outofplace_kernelIdLi32ELi2ELb0ELb1ELb1ELb1EdKddEv17rocblas_diagonal_iiT6_lPT7_lllS4_lllPT8_llli ; -- Begin function _ZL30rocblas_trmm_outofplace_kernelIdLi32ELi2ELb0ELb1ELb1ELb1EdKddEv17rocblas_diagonal_iiT6_lPT7_lllS4_lllPT8_llli
	.p2align	8
	.type	_ZL30rocblas_trmm_outofplace_kernelIdLi32ELi2ELb0ELb1ELb1ELb1EdKddEv17rocblas_diagonal_iiT6_lPT7_lllS4_lllPT8_llli,@function
_ZL30rocblas_trmm_outofplace_kernelIdLi32ELi2ELb0ELb1ELb1ELb1EdKddEv17rocblas_diagonal_iiT6_lPT7_lllS4_lllPT8_llli: ; @_ZL30rocblas_trmm_outofplace_kernelIdLi32ELi2ELb0ELb1ELb1ELb1EdKddEv17rocblas_diagonal_iiT6_lPT7_lllS4_lllPT8_llli
; %bb.0:
	s_load_dwordx2 s[34:35], s[0:1], 0x10
	s_waitcnt lgkmcnt(0)
	v_cmp_eq_f64_e64 s[6:7], s[34:35], 0
	s_and_b64 vcc, exec, s[6:7]
	s_cbranch_vccnz .LBB59_52
; %bb.1:
	s_load_dwordx4 s[28:31], s[0:1], 0x0
	s_waitcnt lgkmcnt(0)
	s_add_i32 s5, s30, -1
	s_ashr_i32 s6, s5, 31
	s_lshr_b32 s6, s6, 27
	s_add_i32 s5, s5, s6
	s_ashr_i32 s33, s5, 5
	s_cmp_gt_i32 s3, s33
	s_cbranch_scc1 .LBB59_52
; %bb.2:
	s_load_dwordx8 s[20:27], s[0:1], 0x60
	s_load_dwordx16 s[36:51], s[0:1], 0x20
	v_and_b32_e32 v2, 0x3ff, v0
	v_lshl_add_u32 v4, s2, 5, v2
	v_bfe_u32 v54, v0, 10, 10
	s_waitcnt lgkmcnt(0)
	s_mul_i32 s5, s27, s4
	s_mul_hi_u32 s7, s26, s4
	s_mul_i32 s6, s26, s4
	s_add_i32 s7, s7, s5
	s_lshl_b64 s[6:7], s[6:7], 3
	s_add_u32 s5, s20, s6
	s_addc_u32 s8, s21, s7
	s_lshl_b64 s[6:7], s[22:23], 3
	s_add_u32 s26, s5, s6
	s_addc_u32 s27, s8, s7
	s_cmpk_eq_i32 s28, 0x84
	s_cselect_b64 s[52:53], -1, 0
	s_ashr_i32 s2, s29, 31
	v_mov_b32_e32 v1, s2
	s_load_dword s2, s[0:1], 0x8c
	s_ashr_i32 s31, s30, 31
	s_lshl_b64 s[54:55], s[40:41], 8
	s_lshl_b64 s[56:57], s[48:49], 8
	s_add_u32 s58, s30, -16
	s_addc_u32 s59, s31, -1
	s_lshl_b32 s5, s3, 5
	s_waitcnt lgkmcnt(0)
	s_lshl_b32 s64, s2, 5
	v_add_u32_e32 v8, s5, v2
	v_add_u32_e32 v10, s5, v54
	s_add_u32 s60, s44, 0x80
	s_mul_i32 s5, s51, s4
	s_mul_hi_u32 s6, s50, s4
	s_addc_u32 s61, s45, 0
	s_add_i32 s7, s6, s5
	s_mul_i32 s6, s50, s4
	s_lshl_b64 s[62:63], s[48:49], 3
	s_lshl_b64 s[6:7], s[6:7], 3
	;; [unrolled: 1-line block ×3, first 2 shown]
	s_add_u32 s6, s6, s8
	v_ashrrev_i32_e32 v5, 31, v4
	s_addc_u32 s7, s7, s9
	v_lshl_add_u64 v[12:13], v[4:5], 3, s[6:7]
	s_mul_i32 s5, s43, s4
	s_mul_hi_u32 s6, s42, s4
	s_add_i32 s5, s6, s5
	s_mul_i32 s4, s42, s4
	s_lshl_b64 s[4:5], s[4:5], 3
	s_lshl_b64 s[6:7], s[38:39], 3
	s_add_u32 s4, s4, s6
	v_lshlrev_b32_e32 v3, 3, v2
	v_sub_co_u32_e32 v0, vcc, s29, v4
	s_addc_u32 s5, s5, s7
	v_lshlrev_b32_e32 v55, 8, v54
	v_subb_co_u32_e32 v1, vcc, v1, v5, vcc
	v_or_b32_e32 v57, 0x2000, v3
	v_add_u32_e32 v6, 16, v4
	s_add_u32 s36, s36, s4
	v_mov_b32_e32 v14, 0
	v_add_u32_e32 v56, v55, v3
	v_add_u32_e32 v58, v57, v55
	v_cmp_gt_i64_e32 vcc, 1, v[0:1]
	v_cmp_gt_i64_e64 s[0:1], 17, v[0:1]
	v_cmp_gt_i32_e64 s[20:21], s29, v4
	v_cmp_gt_i32_e64 s[22:23], s29, v6
	v_ashrrev_i32_e32 v7, 31, v6
	s_mov_b64 s[28:29], 0x80
	s_addc_u32 s37, s37, s5
	s_lshl_b64 s[38:39], s[40:41], 3
	v_mov_b64_e32 v[16:17], 0x80
	v_mov_b32_e32 v19, 0x3ff00000
	v_mov_b32_e32 v20, 0
	;; [unrolled: 1-line block ×4, first 2 shown]
	v_add_u32_e32 v59, 0x800, v57
	v_add_u32_e32 v60, 0x1000, v57
	;; [unrolled: 1-line block ×3, first 2 shown]
	s_branch .LBB59_4
.LBB59_3:                               ;   in Loop: Header=BB59_4 Depth=1
	s_or_b64 exec, exec, s[4:5]
	s_add_i32 s3, s2, s3
	v_add_u32_e32 v8, s64, v8
	s_cmp_le_i32 s3, s33
	v_add_u32_e32 v10, s64, v10
	s_cbranch_scc0 .LBB59_52
.LBB59_4:                               ; =>This Loop Header: Depth=1
                                        ;     Child Loop BB59_7 Depth 2
	s_lshl_b32 s4, s3, 5
	v_add_u32_e32 v22, s4, v54
	s_sub_i32 s46, s30, s4
	v_ashrrev_i32_e32 v9, 31, v8
	v_ashrrev_i32_e32 v11, 31, v10
	s_cmp_lt_i32 s46, 1
	v_ashrrev_i32_e32 v23, 31, v22
	s_cbranch_scc1 .LBB59_43
; %bb.5:                                ;   in Loop: Header=BB59_4 Depth=1
	v_sub_co_u32_e64 v28, s[4:5], v10, v8
	v_mov_b64_e32 v[0:1], s[60:61]
	s_nop 0
	v_subb_co_u32_e64 v29, s[4:5], v11, v9, s[4:5]
	v_mad_u64_u32 v[32:33], s[4:5], s62, v10, v[0:1]
	v_mul_lo_u32 v0, s62, v11
	v_mul_lo_u32 v1, s63, v10
	v_add3_u32 v33, v1, v33, v0
	v_lshl_add_u64 v[0:1], v[8:9], 3, v[16:17]
	v_mov_b64_e32 v[2:3], s[36:37]
	v_mul_lo_u32 v1, s40, v1
	v_mul_lo_u32 v15, s41, v0
	v_mad_u64_u32 v[38:39], s[4:5], s40, v0, v[2:3]
	v_lshlrev_b64 v[34:35], 3, v[10:11]
	v_add3_u32 v39, v15, v39, v1
	v_mad_u64_u32 v[40:41], s[4:5], s38, v8, v[2:3]
	v_mul_lo_u32 v0, s38, v9
	v_mul_lo_u32 v1, s39, v8
	v_add3_u32 v41, v1, v41, v0
	v_lshl_add_u64 v[0:1], v[34:35], 0, s[28:29]
	v_mov_b64_e32 v[2:3], s[44:45]
	v_mul_lo_u32 v1, s48, v1
	v_mul_lo_u32 v15, s49, v0
	v_mad_u64_u32 v[42:43], s[4:5], s48, v0, v[2:3]
	v_lshl_add_u64 v[44:45], v[22:23], 0, 16
	v_add3_u32 v43, v15, v43, v1
	v_cmp_le_i32_e64 s[6:7], s30, v22
	v_cmp_le_i64_e64 s[8:9], s[30:31], v[44:45]
	v_lshl_add_u64 v[46:47], v[28:29], 0, 16
	v_lshl_add_u64 v[48:49], v[28:29], 0, -16
	v_mov_b64_e32 v[24:25], 0
	s_mov_b64 s[42:43], 0
	v_mov_b64_e32 v[50:51], v[12:13]
	v_mov_b64_e32 v[26:27], 0
	;; [unrolled: 1-line block ×4, first 2 shown]
	s_branch .LBB59_7
.LBB59_6:                               ;   in Loop: Header=BB59_7 Depth=2
	s_or_b64 exec, exec, s[4:5]
	s_waitcnt lgkmcnt(0)
	s_barrier
	ds_read_b128 v[62:65], v55
	ds_read_b128 v[66:69], v55 offset:16
	ds_read_b128 v[70:73], v55 offset:32
	ds_read_b128 v[0:3], v55 offset:48
	ds_read2_b64 v[74:77], v57 offset1:16
	ds_read_b128 v[78:81], v55 offset:4096
	s_add_u32 s42, s42, 32
	s_addc_u32 s43, s43, 0
	v_lshl_add_u64 v[50:51], v[50:51], 0, s[56:57]
	s_waitcnt lgkmcnt(1)
	v_fmac_f64_e32 v[36:37], v[74:75], v[62:63]
	v_fmac_f64_e32 v[30:31], v[76:77], v[62:63]
	s_waitcnt lgkmcnt(0)
	v_fmac_f64_e32 v[26:27], v[74:75], v[78:79]
	v_fmac_f64_e32 v[24:25], v[76:77], v[78:79]
	ds_read2_b64 v[74:77], v57 offset0:32 offset1:48
	v_lshl_add_u64 v[38:39], v[38:39], 0, s[54:55]
	v_lshl_add_u64 v[40:41], v[40:41], 0, s[54:55]
	s_cmp_ge_i32 s42, s46
	s_waitcnt lgkmcnt(0)
	v_fmac_f64_e32 v[36:37], v[74:75], v[64:65]
	v_fmac_f64_e32 v[30:31], v[76:77], v[64:65]
	v_fmac_f64_e32 v[26:27], v[74:75], v[80:81]
	v_fmac_f64_e32 v[24:25], v[76:77], v[80:81]
	ds_read2_b64 v[62:65], v57 offset0:64 offset1:80
	ds_read_b128 v[74:77], v55 offset:4112
	s_waitcnt lgkmcnt(1)
	v_fmac_f64_e32 v[36:37], v[62:63], v[66:67]
	v_fmac_f64_e32 v[30:31], v[64:65], v[66:67]
	s_waitcnt lgkmcnt(0)
	v_fmac_f64_e32 v[26:27], v[62:63], v[74:75]
	v_fmac_f64_e32 v[24:25], v[64:65], v[74:75]
	ds_read2_b64 v[62:65], v57 offset0:96 offset1:112
	s_waitcnt lgkmcnt(0)
	v_fmac_f64_e32 v[36:37], v[62:63], v[68:69]
	v_fmac_f64_e32 v[30:31], v[64:65], v[68:69]
	v_fmac_f64_e32 v[26:27], v[62:63], v[76:77]
	v_fmac_f64_e32 v[24:25], v[64:65], v[76:77]
	ds_read2_b64 v[62:65], v57 offset0:128 offset1:144
	ds_read_b128 v[66:69], v55 offset:4128
	s_waitcnt lgkmcnt(1)
	v_fmac_f64_e32 v[36:37], v[62:63], v[70:71]
	v_fmac_f64_e32 v[30:31], v[64:65], v[70:71]
	s_waitcnt lgkmcnt(0)
	v_fmac_f64_e32 v[26:27], v[62:63], v[66:67]
	v_fmac_f64_e32 v[24:25], v[64:65], v[66:67]
	ds_read2_b64 v[62:65], v57 offset0:160 offset1:176
	;; [unrolled: 14-line block ×3, first 2 shown]
	s_waitcnt lgkmcnt(0)
	v_fmac_f64_e32 v[36:37], v[62:63], v[2:3]
	v_fmac_f64_e32 v[30:31], v[64:65], v[2:3]
	v_fmac_f64_e32 v[26:27], v[62:63], v[68:69]
	v_fmac_f64_e32 v[24:25], v[64:65], v[68:69]
	ds_read_b128 v[0:3], v55 offset:64
	ds_read2_b64 v[62:65], v59 offset1:16
	ds_read_b128 v[66:69], v55 offset:4160
	s_waitcnt lgkmcnt(1)
	v_fmac_f64_e32 v[36:37], v[62:63], v[0:1]
	v_fmac_f64_e32 v[30:31], v[64:65], v[0:1]
	s_waitcnt lgkmcnt(0)
	v_fmac_f64_e32 v[26:27], v[62:63], v[66:67]
	v_fmac_f64_e32 v[24:25], v[64:65], v[66:67]
	ds_read2_b64 v[62:65], v59 offset0:32 offset1:48
	s_waitcnt lgkmcnt(0)
	v_fmac_f64_e32 v[36:37], v[62:63], v[2:3]
	v_fmac_f64_e32 v[30:31], v[64:65], v[2:3]
	v_fmac_f64_e32 v[26:27], v[62:63], v[68:69]
	v_fmac_f64_e32 v[24:25], v[64:65], v[68:69]
	ds_read_b128 v[0:3], v55 offset:80
	ds_read2_b64 v[62:65], v59 offset0:64 offset1:80
	ds_read_b128 v[66:69], v55 offset:4176
	s_waitcnt lgkmcnt(1)
	v_fmac_f64_e32 v[36:37], v[62:63], v[0:1]
	v_fmac_f64_e32 v[30:31], v[64:65], v[0:1]
	s_waitcnt lgkmcnt(0)
	v_fmac_f64_e32 v[26:27], v[62:63], v[66:67]
	v_fmac_f64_e32 v[24:25], v[64:65], v[66:67]
	ds_read2_b64 v[62:65], v59 offset0:96 offset1:112
	s_waitcnt lgkmcnt(0)
	v_fmac_f64_e32 v[36:37], v[62:63], v[2:3]
	v_fmac_f64_e32 v[30:31], v[64:65], v[2:3]
	v_fmac_f64_e32 v[26:27], v[62:63], v[68:69]
	v_fmac_f64_e32 v[24:25], v[64:65], v[68:69]
	ds_read_b128 v[0:3], v55 offset:96
	ds_read2_b64 v[62:65], v59 offset0:128 offset1:144
	ds_read_b128 v[66:69], v55 offset:4192
	s_waitcnt lgkmcnt(1)
	v_fmac_f64_e32 v[36:37], v[62:63], v[0:1]
	v_fmac_f64_e32 v[30:31], v[64:65], v[0:1]
	s_waitcnt lgkmcnt(0)
	v_fmac_f64_e32 v[26:27], v[62:63], v[66:67]
	v_fmac_f64_e32 v[24:25], v[64:65], v[66:67]
	ds_read2_b64 v[62:65], v59 offset0:160 offset1:176
	s_waitcnt lgkmcnt(0)
	v_fmac_f64_e32 v[36:37], v[62:63], v[2:3]
	v_fmac_f64_e32 v[30:31], v[64:65], v[2:3]
	v_fmac_f64_e32 v[26:27], v[62:63], v[68:69]
	v_fmac_f64_e32 v[24:25], v[64:65], v[68:69]
	ds_read_b128 v[0:3], v55 offset:112
	ds_read2_b64 v[62:65], v59 offset0:192 offset1:208
	ds_read_b128 v[66:69], v55 offset:4208
	s_waitcnt lgkmcnt(1)
	v_fmac_f64_e32 v[36:37], v[62:63], v[0:1]
	v_fmac_f64_e32 v[30:31], v[64:65], v[0:1]
	s_waitcnt lgkmcnt(0)
	v_fmac_f64_e32 v[26:27], v[62:63], v[66:67]
	v_fmac_f64_e32 v[24:25], v[64:65], v[66:67]
	ds_read2_b64 v[62:65], v59 offset0:224 offset1:240
	s_waitcnt lgkmcnt(0)
	v_fmac_f64_e32 v[36:37], v[62:63], v[2:3]
	v_fmac_f64_e32 v[30:31], v[64:65], v[2:3]
	v_fmac_f64_e32 v[26:27], v[62:63], v[68:69]
	v_fmac_f64_e32 v[24:25], v[64:65], v[68:69]
	ds_read_b128 v[0:3], v55 offset:128
	ds_read2_b64 v[62:65], v60 offset1:16
	ds_read_b128 v[66:69], v55 offset:4224
	s_waitcnt lgkmcnt(1)
	v_fmac_f64_e32 v[36:37], v[62:63], v[0:1]
	v_fmac_f64_e32 v[30:31], v[64:65], v[0:1]
	s_waitcnt lgkmcnt(0)
	v_fmac_f64_e32 v[26:27], v[62:63], v[66:67]
	v_fmac_f64_e32 v[24:25], v[64:65], v[66:67]
	ds_read2_b64 v[62:65], v60 offset0:32 offset1:48
	s_waitcnt lgkmcnt(0)
	v_fmac_f64_e32 v[36:37], v[62:63], v[2:3]
	v_fmac_f64_e32 v[30:31], v[64:65], v[2:3]
	v_fmac_f64_e32 v[26:27], v[62:63], v[68:69]
	v_fmac_f64_e32 v[24:25], v[64:65], v[68:69]
	ds_read_b128 v[0:3], v55 offset:144
	ds_read2_b64 v[62:65], v60 offset0:64 offset1:80
	ds_read_b128 v[66:69], v55 offset:4240
	s_waitcnt lgkmcnt(1)
	v_fmac_f64_e32 v[36:37], v[62:63], v[0:1]
	v_fmac_f64_e32 v[30:31], v[64:65], v[0:1]
	s_waitcnt lgkmcnt(0)
	v_fmac_f64_e32 v[26:27], v[62:63], v[66:67]
	v_fmac_f64_e32 v[24:25], v[64:65], v[66:67]
	ds_read2_b64 v[62:65], v60 offset0:96 offset1:112
	s_waitcnt lgkmcnt(0)
	v_fmac_f64_e32 v[36:37], v[62:63], v[2:3]
	v_fmac_f64_e32 v[30:31], v[64:65], v[2:3]
	v_fmac_f64_e32 v[26:27], v[62:63], v[68:69]
	v_fmac_f64_e32 v[24:25], v[64:65], v[68:69]
	ds_read_b128 v[0:3], v55 offset:160
	ds_read2_b64 v[62:65], v60 offset0:128 offset1:144
	ds_read_b128 v[66:69], v55 offset:4256
	s_waitcnt lgkmcnt(1)
	v_fmac_f64_e32 v[36:37], v[62:63], v[0:1]
	v_fmac_f64_e32 v[30:31], v[64:65], v[0:1]
	s_waitcnt lgkmcnt(0)
	v_fmac_f64_e32 v[26:27], v[62:63], v[66:67]
	v_fmac_f64_e32 v[24:25], v[64:65], v[66:67]
	ds_read2_b64 v[62:65], v60 offset0:160 offset1:176
	s_waitcnt lgkmcnt(0)
	v_fmac_f64_e32 v[36:37], v[62:63], v[2:3]
	v_fmac_f64_e32 v[30:31], v[64:65], v[2:3]
	v_fmac_f64_e32 v[26:27], v[62:63], v[68:69]
	v_fmac_f64_e32 v[24:25], v[64:65], v[68:69]
	ds_read_b128 v[0:3], v55 offset:176
	ds_read2_b64 v[62:65], v60 offset0:192 offset1:208
	ds_read_b128 v[66:69], v55 offset:4272
	s_waitcnt lgkmcnt(1)
	v_fmac_f64_e32 v[36:37], v[62:63], v[0:1]
	v_fmac_f64_e32 v[30:31], v[64:65], v[0:1]
	s_waitcnt lgkmcnt(0)
	v_fmac_f64_e32 v[26:27], v[62:63], v[66:67]
	v_fmac_f64_e32 v[24:25], v[64:65], v[66:67]
	ds_read2_b64 v[62:65], v60 offset0:224 offset1:240
	;; [unrolled: 60-line block ×3, first 2 shown]
	s_waitcnt lgkmcnt(0)
	s_barrier
	v_fmac_f64_e32 v[36:37], v[62:63], v[2:3]
	v_fmac_f64_e32 v[30:31], v[64:65], v[2:3]
	;; [unrolled: 1-line block ×4, first 2 shown]
	s_cbranch_scc1 .LBB59_44
.LBB59_7:                               ;   Parent Loop BB59_4 Depth=1
                                        ; =>  This Inner Loop Header: Depth=2
	v_lshl_add_u64 v[2:3], v[8:9], 0, s[42:43]
	v_cmp_eq_u64_e64 s[4:5], s[42:43], v[28:29]
	v_cmp_lt_i64_e64 s[12:13], v[2:3], v[22:23]
	s_and_b64 s[10:11], s[52:53], s[4:5]
	v_cmp_le_i64_e64 s[14:15], s[30:31], v[2:3]
	s_or_b64 s[4:5], s[6:7], s[12:13]
	s_or_b64 s[4:5], s[14:15], s[4:5]
	v_lshl_add_u64 v[0:1], v[40:41], 0, v[34:35]
	s_nor_b64 s[4:5], s[4:5], s[10:11]
                                        ; implicit-def: $vgpr52_vgpr53
	s_and_saveexec_b64 s[16:17], s[4:5]
	s_xor_b64 s[4:5], exec, s[16:17]
	s_cbranch_execz .LBB59_9
; %bb.8:                                ;   in Loop: Header=BB59_7 Depth=2
	global_load_dwordx2 v[52:53], v[0:1], off
.LBB59_9:                               ;   in Loop: Header=BB59_7 Depth=2
	s_andn2_saveexec_b64 s[4:5], s[4:5]
	s_cbranch_execz .LBB59_11
; %bb.10:                               ;   in Loop: Header=BB59_7 Depth=2
	v_cndmask_b32_e64 v15, 0, v19, s[10:11]
	s_waitcnt vmcnt(0)
	v_mov_b64_e32 v[52:53], v[14:15]
.LBB59_11:                              ;   in Loop: Header=BB59_7 Depth=2
	s_or_b64 exec, exec, s[4:5]
	s_waitcnt vmcnt(0)
	ds_write_b64 v56, v[52:53]
	v_lshl_add_u64 v[52:53], v[2:3], 0, 16
	v_cmp_eq_u64_e64 s[4:5], s[42:43], v[48:49]
	s_and_b64 s[18:19], s[52:53], s[4:5]
	v_cmp_lt_i64_e64 s[4:5], v[52:53], v[22:23]
	v_cmp_le_i64_e64 s[16:17], s[30:31], v[52:53]
	s_or_b64 s[4:5], s[6:7], s[4:5]
	s_or_b64 s[4:5], s[16:17], s[4:5]
	s_nor_b64 s[4:5], s[4:5], s[18:19]
	v_lshl_add_u64 v[52:53], v[38:39], 0, v[34:35]
	s_and_saveexec_b64 s[50:51], s[4:5]
	s_xor_b64 s[4:5], exec, s[50:51]
	s_cbranch_execz .LBB59_13
; %bb.12:                               ;   in Loop: Header=BB59_7 Depth=2
	global_load_dwordx2 v[62:63], v[52:53], off
	s_waitcnt vmcnt(0)
	ds_write_b64 v56, v[62:63] offset:128
.LBB59_13:                              ;   in Loop: Header=BB59_7 Depth=2
	s_andn2_saveexec_b64 s[4:5], s[4:5]
	s_cbranch_execz .LBB59_19
; %bb.14:                               ;   in Loop: Header=BB59_7 Depth=2
	s_xor_b64 s[18:19], s[18:19], -1
	s_and_saveexec_b64 s[50:51], s[18:19]
	s_xor_b64 s[18:19], exec, s[50:51]
; %bb.15:                               ;   in Loop: Header=BB59_7 Depth=2
	ds_write_b64 v56, v[20:21] offset:128
; %bb.16:                               ;   in Loop: Header=BB59_7 Depth=2
	s_andn2_saveexec_b64 s[18:19], s[18:19]
; %bb.17:                               ;   in Loop: Header=BB59_7 Depth=2
	ds_write_b64 v56, v[18:19] offset:128
; %bb.18:                               ;   in Loop: Header=BB59_7 Depth=2
	s_or_b64 exec, exec, s[18:19]
.LBB59_19:                              ;   in Loop: Header=BB59_7 Depth=2
	s_or_b64 exec, exec, s[4:5]
	v_cmp_eq_u64_e64 s[4:5], s[42:43], v[46:47]
	s_and_b64 s[18:19], s[52:53], s[4:5]
	v_cmp_lt_i64_e64 s[4:5], v[2:3], v[44:45]
	s_or_b64 s[4:5], s[8:9], s[4:5]
	s_or_b64 s[4:5], s[4:5], s[18:19]
	s_nor_b64 s[4:5], s[14:15], s[4:5]
                                        ; implicit-def: $vgpr2_vgpr3
	s_and_saveexec_b64 s[14:15], s[4:5]
	s_xor_b64 s[4:5], exec, s[14:15]
	s_cbranch_execz .LBB59_21
; %bb.20:                               ;   in Loop: Header=BB59_7 Depth=2
	global_load_dwordx2 v[2:3], v[0:1], off offset:128
.LBB59_21:                              ;   in Loop: Header=BB59_7 Depth=2
	s_andn2_saveexec_b64 s[4:5], s[4:5]
	s_cbranch_execz .LBB59_23
; %bb.22:                               ;   in Loop: Header=BB59_7 Depth=2
	v_cndmask_b32_e64 v15, 0, v19, s[18:19]
	s_waitcnt vmcnt(0)
	v_mov_b64_e32 v[2:3], v[14:15]
.LBB59_23:                              ;   in Loop: Header=BB59_7 Depth=2
	s_or_b64 exec, exec, s[4:5]
	s_or_b64 s[4:5], s[8:9], s[12:13]
	s_or_b64 s[4:5], s[16:17], s[4:5]
	s_nor_b64 s[4:5], s[4:5], s[10:11]
	s_waitcnt vmcnt(0)
	ds_write_b64 v56, v[2:3] offset:4096
	s_and_saveexec_b64 s[12:13], s[4:5]
	s_xor_b64 s[4:5], exec, s[12:13]
	s_cbranch_execz .LBB59_25
; %bb.24:                               ;   in Loop: Header=BB59_7 Depth=2
	global_load_dwordx2 v[0:1], v[52:53], off offset:128
	s_waitcnt vmcnt(0)
	ds_write_b64 v56, v[0:1] offset:4224
.LBB59_25:                              ;   in Loop: Header=BB59_7 Depth=2
	s_andn2_saveexec_b64 s[4:5], s[4:5]
	s_cbranch_execz .LBB59_31
; %bb.26:                               ;   in Loop: Header=BB59_7 Depth=2
	s_xor_b64 s[10:11], s[10:11], -1
	s_and_saveexec_b64 s[12:13], s[10:11]
	s_xor_b64 s[10:11], exec, s[12:13]
; %bb.27:                               ;   in Loop: Header=BB59_7 Depth=2
	ds_write_b64 v56, v[20:21] offset:4224
; %bb.28:                               ;   in Loop: Header=BB59_7 Depth=2
	s_andn2_saveexec_b64 s[10:11], s[10:11]
; %bb.29:                               ;   in Loop: Header=BB59_7 Depth=2
	ds_write_b64 v56, v[18:19] offset:4224
; %bb.30:                               ;   in Loop: Header=BB59_7 Depth=2
	s_or_b64 exec, exec, s[10:11]
.LBB59_31:                              ;   in Loop: Header=BB59_7 Depth=2
	s_or_b64 exec, exec, s[4:5]
	v_lshl_add_u64 v[0:1], v[10:11], 0, s[42:43]
	v_cmp_le_i64_e64 s[10:11], s[30:31], v[0:1]
	v_lshl_add_u64 v[2:3], v[32:33], 0, v[50:51]
	s_nor_b64 s[12:13], s[10:11], vcc
	v_mov_b64_e32 v[52:53], 0
	s_and_saveexec_b64 s[4:5], s[12:13]
	s_cbranch_execz .LBB59_33
; %bb.32:                               ;   in Loop: Header=BB59_7 Depth=2
	global_load_dwordx2 v[52:53], v[2:3], off offset:-128
.LBB59_33:                              ;   in Loop: Header=BB59_7 Depth=2
	s_or_b64 exec, exec, s[4:5]
	s_nor_b64 s[4:5], s[10:11], s[0:1]
	s_waitcnt vmcnt(0)
	ds_write_b64 v58, v[52:53]
	s_and_saveexec_b64 s[10:11], s[4:5]
	s_xor_b64 s[4:5], exec, s[10:11]
	s_cbranch_execz .LBB59_35
; %bb.34:                               ;   in Loop: Header=BB59_7 Depth=2
	global_load_dwordx2 v[2:3], v[2:3], off
	s_waitcnt vmcnt(0)
	ds_write_b64 v58, v[2:3] offset:128
.LBB59_35:                              ;   in Loop: Header=BB59_7 Depth=2
	s_andn2_saveexec_b64 s[4:5], s[4:5]
; %bb.36:                               ;   in Loop: Header=BB59_7 Depth=2
	ds_write_b64 v58, v[20:21] offset:128
; %bb.37:                               ;   in Loop: Header=BB59_7 Depth=2
	s_or_b64 exec, exec, s[4:5]
	v_cmp_le_i64_e64 s[10:11], s[58:59], v[0:1]
	v_lshl_add_u64 v[0:1], v[42:43], 0, v[50:51]
	s_nor_b64 s[12:13], s[10:11], vcc
	v_mov_b64_e32 v[2:3], 0
	s_and_saveexec_b64 s[4:5], s[12:13]
	s_cbranch_execz .LBB59_39
; %bb.38:                               ;   in Loop: Header=BB59_7 Depth=2
	global_load_dwordx2 v[2:3], v[0:1], off
.LBB59_39:                              ;   in Loop: Header=BB59_7 Depth=2
	s_or_b64 exec, exec, s[4:5]
	s_nor_b64 s[4:5], s[10:11], s[0:1]
	s_waitcnt vmcnt(0)
	ds_write_b64 v58, v[2:3] offset:4096
	s_and_saveexec_b64 s[10:11], s[4:5]
	s_xor_b64 s[4:5], exec, s[10:11]
	s_cbranch_execz .LBB59_41
; %bb.40:                               ;   in Loop: Header=BB59_7 Depth=2
	global_load_dwordx2 v[0:1], v[0:1], off offset:128
	s_waitcnt vmcnt(0)
	ds_write_b64 v58, v[0:1] offset:4224
.LBB59_41:                              ;   in Loop: Header=BB59_7 Depth=2
	s_andn2_saveexec_b64 s[4:5], s[4:5]
	s_cbranch_execz .LBB59_6
; %bb.42:                               ;   in Loop: Header=BB59_7 Depth=2
	ds_write_b64 v58, v[20:21] offset:4224
	s_branch .LBB59_6
.LBB59_43:                              ;   in Loop: Header=BB59_4 Depth=1
	v_mov_b64_e32 v[36:37], 0
	v_mov_b64_e32 v[30:31], 0
	;; [unrolled: 1-line block ×4, first 2 shown]
.LBB59_44:                              ;   in Loop: Header=BB59_4 Depth=1
	v_mul_lo_u32 v2, s25, v22
	v_mul_lo_u32 v3, s24, v23
	v_mad_u64_u32 v[0:1], s[4:5], s24, v22, 0
	v_cmp_gt_i32_e64 s[6:7], s30, v22
	v_add3_u32 v1, v1, v3, v2
	v_lshl_add_u64 v[0:1], v[0:1], 3, s[26:27]
	s_and_b64 s[8:9], s[20:21], s[6:7]
	s_and_saveexec_b64 s[4:5], s[8:9]
	s_cbranch_execz .LBB59_46
; %bb.45:                               ;   in Loop: Header=BB59_4 Depth=1
	v_lshl_add_u64 v[2:3], v[4:5], 3, v[0:1]
	global_load_dwordx2 v[28:29], v[2:3], off
	s_waitcnt vmcnt(0)
	v_fmac_f64_e32 v[28:29], s[34:35], v[36:37]
	global_store_dwordx2 v[2:3], v[28:29], off
.LBB59_46:                              ;   in Loop: Header=BB59_4 Depth=1
	s_or_b64 exec, exec, s[4:5]
	s_and_b64 s[6:7], s[22:23], s[6:7]
	s_and_saveexec_b64 s[4:5], s[6:7]
	s_cbranch_execz .LBB59_48
; %bb.47:                               ;   in Loop: Header=BB59_4 Depth=1
	v_lshl_add_u64 v[0:1], v[6:7], 3, v[0:1]
	global_load_dwordx2 v[2:3], v[0:1], off
	s_waitcnt vmcnt(0)
	v_fmac_f64_e32 v[2:3], s[34:35], v[30:31]
	global_store_dwordx2 v[0:1], v[2:3], off
.LBB59_48:                              ;   in Loop: Header=BB59_4 Depth=1
	s_or_b64 exec, exec, s[4:5]
	v_add_u32_e32 v0, 16, v22
	v_ashrrev_i32_e32 v1, 31, v0
	v_cmp_gt_i32_e64 s[6:7], s30, v0
	v_mul_lo_u32 v2, s24, v1
	v_mul_lo_u32 v3, s25, v0
	v_mad_u64_u32 v[0:1], s[4:5], s24, v0, 0
	v_add3_u32 v1, v1, v2, v3
	v_lshl_add_u64 v[0:1], v[0:1], 3, s[26:27]
	s_and_b64 s[8:9], s[20:21], s[6:7]
	s_and_saveexec_b64 s[4:5], s[8:9]
	s_cbranch_execz .LBB59_50
; %bb.49:                               ;   in Loop: Header=BB59_4 Depth=1
	v_lshl_add_u64 v[2:3], v[4:5], 3, v[0:1]
	global_load_dwordx2 v[22:23], v[2:3], off
	s_waitcnt vmcnt(0)
	v_fmac_f64_e32 v[22:23], s[34:35], v[26:27]
	global_store_dwordx2 v[2:3], v[22:23], off
.LBB59_50:                              ;   in Loop: Header=BB59_4 Depth=1
	s_or_b64 exec, exec, s[4:5]
	s_and_b64 s[6:7], s[22:23], s[6:7]
	s_and_saveexec_b64 s[4:5], s[6:7]
	s_cbranch_execz .LBB59_3
; %bb.51:                               ;   in Loop: Header=BB59_4 Depth=1
	v_lshl_add_u64 v[0:1], v[6:7], 3, v[0:1]
	global_load_dwordx2 v[2:3], v[0:1], off
	s_waitcnt vmcnt(0)
	v_fmac_f64_e32 v[2:3], s[34:35], v[24:25]
	global_store_dwordx2 v[0:1], v[2:3], off
	s_branch .LBB59_3
.LBB59_52:
	s_endpgm
	.section	.rodata,"a",@progbits
	.p2align	6, 0x0
	.amdhsa_kernel _ZL30rocblas_trmm_outofplace_kernelIdLi32ELi2ELb0ELb1ELb1ELb1EdKddEv17rocblas_diagonal_iiT6_lPT7_lllS4_lllPT8_llli
		.amdhsa_group_segment_fixed_size 16384
		.amdhsa_private_segment_fixed_size 0
		.amdhsa_kernarg_size 392
		.amdhsa_user_sgpr_count 2
		.amdhsa_user_sgpr_dispatch_ptr 0
		.amdhsa_user_sgpr_queue_ptr 0
		.amdhsa_user_sgpr_kernarg_segment_ptr 1
		.amdhsa_user_sgpr_dispatch_id 0
		.amdhsa_user_sgpr_kernarg_preload_length 0
		.amdhsa_user_sgpr_kernarg_preload_offset 0
		.amdhsa_user_sgpr_private_segment_size 0
		.amdhsa_uses_dynamic_stack 0
		.amdhsa_enable_private_segment 0
		.amdhsa_system_sgpr_workgroup_id_x 1
		.amdhsa_system_sgpr_workgroup_id_y 1
		.amdhsa_system_sgpr_workgroup_id_z 1
		.amdhsa_system_sgpr_workgroup_info 0
		.amdhsa_system_vgpr_workitem_id 1
		.amdhsa_next_free_vgpr 82
		.amdhsa_next_free_sgpr 65
		.amdhsa_accum_offset 84
		.amdhsa_reserve_vcc 1
		.amdhsa_float_round_mode_32 0
		.amdhsa_float_round_mode_16_64 0
		.amdhsa_float_denorm_mode_32 3
		.amdhsa_float_denorm_mode_16_64 3
		.amdhsa_dx10_clamp 1
		.amdhsa_ieee_mode 1
		.amdhsa_fp16_overflow 0
		.amdhsa_tg_split 0
		.amdhsa_exception_fp_ieee_invalid_op 0
		.amdhsa_exception_fp_denorm_src 0
		.amdhsa_exception_fp_ieee_div_zero 0
		.amdhsa_exception_fp_ieee_overflow 0
		.amdhsa_exception_fp_ieee_underflow 0
		.amdhsa_exception_fp_ieee_inexact 0
		.amdhsa_exception_int_div_zero 0
	.end_amdhsa_kernel
	.section	.text._ZL30rocblas_trmm_outofplace_kernelIdLi32ELi2ELb0ELb1ELb1ELb1EdKddEv17rocblas_diagonal_iiT6_lPT7_lllS4_lllPT8_llli,"axG",@progbits,_ZL30rocblas_trmm_outofplace_kernelIdLi32ELi2ELb0ELb1ELb1ELb1EdKddEv17rocblas_diagonal_iiT6_lPT7_lllS4_lllPT8_llli,comdat
.Lfunc_end59:
	.size	_ZL30rocblas_trmm_outofplace_kernelIdLi32ELi2ELb0ELb1ELb1ELb1EdKddEv17rocblas_diagonal_iiT6_lPT7_lllS4_lllPT8_llli, .Lfunc_end59-_ZL30rocblas_trmm_outofplace_kernelIdLi32ELi2ELb0ELb1ELb1ELb1EdKddEv17rocblas_diagonal_iiT6_lPT7_lllS4_lllPT8_llli
                                        ; -- End function
	.set _ZL30rocblas_trmm_outofplace_kernelIdLi32ELi2ELb0ELb1ELb1ELb1EdKddEv17rocblas_diagonal_iiT6_lPT7_lllS4_lllPT8_llli.num_vgpr, 82
	.set _ZL30rocblas_trmm_outofplace_kernelIdLi32ELi2ELb0ELb1ELb1ELb1EdKddEv17rocblas_diagonal_iiT6_lPT7_lllS4_lllPT8_llli.num_agpr, 0
	.set _ZL30rocblas_trmm_outofplace_kernelIdLi32ELi2ELb0ELb1ELb1ELb1EdKddEv17rocblas_diagonal_iiT6_lPT7_lllS4_lllPT8_llli.numbered_sgpr, 65
	.set _ZL30rocblas_trmm_outofplace_kernelIdLi32ELi2ELb0ELb1ELb1ELb1EdKddEv17rocblas_diagonal_iiT6_lPT7_lllS4_lllPT8_llli.num_named_barrier, 0
	.set _ZL30rocblas_trmm_outofplace_kernelIdLi32ELi2ELb0ELb1ELb1ELb1EdKddEv17rocblas_diagonal_iiT6_lPT7_lllS4_lllPT8_llli.private_seg_size, 0
	.set _ZL30rocblas_trmm_outofplace_kernelIdLi32ELi2ELb0ELb1ELb1ELb1EdKddEv17rocblas_diagonal_iiT6_lPT7_lllS4_lllPT8_llli.uses_vcc, 1
	.set _ZL30rocblas_trmm_outofplace_kernelIdLi32ELi2ELb0ELb1ELb1ELb1EdKddEv17rocblas_diagonal_iiT6_lPT7_lllS4_lllPT8_llli.uses_flat_scratch, 0
	.set _ZL30rocblas_trmm_outofplace_kernelIdLi32ELi2ELb0ELb1ELb1ELb1EdKddEv17rocblas_diagonal_iiT6_lPT7_lllS4_lllPT8_llli.has_dyn_sized_stack, 0
	.set _ZL30rocblas_trmm_outofplace_kernelIdLi32ELi2ELb0ELb1ELb1ELb1EdKddEv17rocblas_diagonal_iiT6_lPT7_lllS4_lllPT8_llli.has_recursion, 0
	.set _ZL30rocblas_trmm_outofplace_kernelIdLi32ELi2ELb0ELb1ELb1ELb1EdKddEv17rocblas_diagonal_iiT6_lPT7_lllS4_lllPT8_llli.has_indirect_call, 0
	.section	.AMDGPU.csdata,"",@progbits
; Kernel info:
; codeLenInByte = 3016
; TotalNumSgprs: 71
; NumVgprs: 82
; NumAgprs: 0
; TotalNumVgprs: 82
; ScratchSize: 0
; MemoryBound: 0
; FloatMode: 240
; IeeeMode: 1
; LDSByteSize: 16384 bytes/workgroup (compile time only)
; SGPRBlocks: 8
; VGPRBlocks: 10
; NumSGPRsForWavesPerEU: 71
; NumVGPRsForWavesPerEU: 82
; AccumOffset: 84
; Occupancy: 5
; WaveLimiterHint : 0
; COMPUTE_PGM_RSRC2:SCRATCH_EN: 0
; COMPUTE_PGM_RSRC2:USER_SGPR: 2
; COMPUTE_PGM_RSRC2:TRAP_HANDLER: 0
; COMPUTE_PGM_RSRC2:TGID_X_EN: 1
; COMPUTE_PGM_RSRC2:TGID_Y_EN: 1
; COMPUTE_PGM_RSRC2:TGID_Z_EN: 1
; COMPUTE_PGM_RSRC2:TIDIG_COMP_CNT: 1
; COMPUTE_PGM_RSRC3_GFX90A:ACCUM_OFFSET: 20
; COMPUTE_PGM_RSRC3_GFX90A:TG_SPLIT: 0
	.section	.text._ZL23rocblas_trmm_lNx_kernelILi32EdPKdS0_dEv13rocblas_fill_17rocblas_diagonal_iiT1_lPT2_llS6_llPT3_lli,"axG",@progbits,_ZL23rocblas_trmm_lNx_kernelILi32EdPKdS0_dEv13rocblas_fill_17rocblas_diagonal_iiT1_lPT2_llS6_llPT3_lli,comdat
	.globl	_ZL23rocblas_trmm_lNx_kernelILi32EdPKdS0_dEv13rocblas_fill_17rocblas_diagonal_iiT1_lPT2_llS6_llPT3_lli ; -- Begin function _ZL23rocblas_trmm_lNx_kernelILi32EdPKdS0_dEv13rocblas_fill_17rocblas_diagonal_iiT1_lPT2_llS6_llPT3_lli
	.p2align	8
	.type	_ZL23rocblas_trmm_lNx_kernelILi32EdPKdS0_dEv13rocblas_fill_17rocblas_diagonal_iiT1_lPT2_llS6_llPT3_lli,@function
_ZL23rocblas_trmm_lNx_kernelILi32EdPKdS0_dEv13rocblas_fill_17rocblas_diagonal_iiT1_lPT2_llS6_llPT3_lli: ; @_ZL23rocblas_trmm_lNx_kernelILi32EdPKdS0_dEv13rocblas_fill_17rocblas_diagonal_iiT1_lPT2_llS6_llPT3_lli
; %bb.0:
	s_load_dwordx16 s[4:19], s[0:1], 0x10
	s_waitcnt lgkmcnt(0)
	s_mul_i32 s7, s7, s3
	s_mul_hi_u32 s20, s6, s3
	s_add_i32 s7, s20, s7
	s_mul_i32 s6, s6, s3
	s_lshl_b64 s[6:7], s[6:7], 3
	s_add_u32 s4, s4, s6
	s_addc_u32 s5, s5, s7
	s_load_dwordx2 s[24:25], s[4:5], 0x0
	s_waitcnt lgkmcnt(0)
	v_cmp_eq_f64_e64 s[4:5], s[24:25], 0
	s_and_b64 vcc, exec, s[4:5]
	s_cbranch_vccnz .LBB60_15
; %bb.1:
	s_load_dwordx4 s[20:23], s[0:1], 0x0
	s_mov_b32 s4, 0
	v_bfe_u32 v4, v0, 10, 10
	v_and_b32_e32 v5, 0x3ff, v0
	v_lshlrev_b32_e32 v2, 5, v4
	s_mov_b32 s5, s4
	v_add_lshl_u32 v3, v2, v5, 3
	v_mov_b64_e32 v[0:1], s[4:5]
	s_waitcnt lgkmcnt(0)
	v_cmp_gt_i32_e64 s[4:5], s22, v4
	v_cmp_gt_i32_e32 vcc, s22, v5
	ds_write2st64_b64 v3, v[0:1], v[0:1] offset1:16
	s_and_b64 s[6:7], s[4:5], vcc
	v_lshlrev_b32_e32 v0, 3, v5
	s_and_saveexec_b64 s[4:5], s[6:7]
	s_cbranch_execz .LBB60_3
; %bb.2:
	s_mul_i32 s6, s13, s3
	s_mul_hi_u32 s7, s12, s3
	s_add_i32 s7, s7, s6
	s_mul_i32 s6, s12, s3
	s_lshl_b64 s[6:7], s[6:7], 3
	s_add_u32 s6, s8, s6
	s_addc_u32 s7, s9, s7
	v_mad_u64_u32 v[6:7], s[8:9], s10, v4, 0
	v_mov_b32_e32 v8, v7
	v_mad_u64_u32 v[8:9], s[8:9], s11, v4, v[8:9]
	v_mov_b32_e32 v7, v8
	v_lshl_add_u64 v[6:7], v[6:7], 3, s[6:7]
	v_mov_b32_e32 v1, 0
	v_lshl_add_u64 v[6:7], v[6:7], 0, v[0:1]
	global_load_dwordx2 v[6:7], v[6:7], off
	s_waitcnt vmcnt(0)
	ds_write_b64 v3, v[6:7]
.LBB60_3:
	s_or_b64 exec, exec, s[4:5]
	s_add_i32 s4, s23, -1
	s_ashr_i32 s5, s4, 31
	s_lshr_b32 s5, s5, 27
	s_add_i32 s4, s4, s5
	s_ashr_i32 s5, s4, 5
	s_andn2_b32 s4, s4, 31
	s_sub_i32 s4, s23, s4
	s_cmp_ge_i32 s2, s5
	s_cselect_b32 s4, s4, 32
	s_lshl_b32 s2, s2, 5
	v_cmp_gt_i32_e64 s[4:5], s4, v4
	s_ashr_i32 s10, s2, 31
	s_and_b64 s[4:5], vcc, s[4:5]
	s_and_saveexec_b64 s[6:7], s[4:5]
	s_cbranch_execz .LBB60_5
; %bb.4:
	s_mul_i32 s8, s19, s3
	s_mul_hi_u32 s9, s18, s3
	s_add_i32 s9, s9, s8
	s_mul_i32 s8, s18, s3
	s_lshl_b64 s[8:9], s[8:9], 3
	s_add_u32 s11, s14, s8
	s_addc_u32 s12, s15, s9
	s_mul_i32 s8, s16, s10
	s_mul_hi_u32 s9, s16, s2
	s_add_i32 s8, s9, s8
	s_mul_i32 s9, s17, s2
	s_add_i32 s9, s8, s9
	s_mul_i32 s8, s16, s2
	s_lshl_b64 s[8:9], s[8:9], 3
	s_add_u32 s8, s11, s8
	s_addc_u32 s9, s12, s9
	v_mad_u64_u32 v[6:7], s[12:13], s16, v4, 0
	v_mov_b32_e32 v8, v7
	v_mad_u64_u32 v[8:9], s[12:13], s17, v4, v[8:9]
	v_mov_b32_e32 v7, v8
	v_lshl_add_u64 v[6:7], v[6:7], 3, s[8:9]
	v_mov_b32_e32 v1, 0
	v_lshl_add_u64 v[6:7], v[6:7], 0, v[0:1]
	global_load_dwordx2 v[6:7], v[6:7], off
	v_add_u32_e32 v1, 0x2000, v3
	s_waitcnt vmcnt(0)
	ds_write_b64 v1, v[6:7]
.LBB60_5:
	s_or_b64 exec, exec, s[6:7]
	s_cmpk_eq_i32 s21, 0x84
	s_cselect_b64 s[6:7], -1, 0
	v_cmp_eq_u32_e32 vcc, v4, v5
	s_and_b64 s[8:9], vcc, s[6:7]
	s_and_saveexec_b64 s[6:7], s[8:9]
; %bb.6:
	v_mov_b32_e32 v6, 0
	v_mov_b32_e32 v7, 0x3ff00000
	ds_write_b64 v3, v[6:7]
; %bb.7:
	s_or_b64 exec, exec, s[6:7]
	s_cmpk_lg_i32 s20, 0x79
	s_cbranch_scc0 .LBB60_9
; %bb.8:
	v_cmp_lt_u32_e32 vcc, v5, v4
	s_and_b64 s[6:7], vcc, exec
	s_cbranch_execz .LBB60_10
	s_branch .LBB60_11
.LBB60_9:
	s_mov_b64 s[6:7], 0
.LBB60_10:
	v_cmp_gt_u32_e32 vcc, v5, v4
	s_andn2_b64 s[6:7], s[6:7], exec
	s_and_b64 s[8:9], vcc, exec
	s_or_b64 s[6:7], s[6:7], s[8:9]
.LBB60_11:
	s_and_saveexec_b64 s[8:9], s[6:7]
; %bb.12:
	v_mov_b32_e32 v6, 0
	v_mov_b32_e32 v7, v6
	ds_write_b64 v3, v[6:7]
; %bb.13:
	s_or_b64 exec, exec, s[8:9]
	s_waitcnt lgkmcnt(0)
	s_barrier
	s_and_saveexec_b64 s[6:7], s[4:5]
	s_cbranch_execz .LBB60_15
; %bb.14:
	s_load_dwordx2 s[8:9], s[0:1], 0x60
	s_load_dwordx4 s[4:7], s[0:1], 0x50
	ds_read2_b64 v[6:9], v0 offset1:32
	v_lshlrev_b32_e32 v1, 3, v2
	ds_read_b128 v[10:13], v1 offset:8192
	ds_read_b128 v[14:17], v1 offset:8208
	ds_read2_b64 v[18:21], v0 offset0:64 offset1:96
	ds_read_b128 v[22:25], v1 offset:8224
	ds_read_b128 v[26:29], v1 offset:8240
	ds_read2_b64 v[30:33], v0 offset0:128 offset1:160
	v_add_u32_e32 v5, 0x800, v0
	s_waitcnt lgkmcnt(0)
	s_mul_i32 s1, s9, s3
	v_fma_f64 v[2:3], v[6:7], v[10:11], 0
	v_fmac_f64_e32 v[2:3], v[8:9], v[12:13]
	ds_read2_b64 v[6:9], v0 offset0:192 offset1:224
	v_fmac_f64_e32 v[2:3], v[18:19], v[14:15]
	v_fmac_f64_e32 v[2:3], v[20:21], v[16:17]
	;; [unrolled: 1-line block ×4, first 2 shown]
	ds_read2_b64 v[10:13], v5 offset1:32
	ds_read_b128 v[14:17], v1 offset:8256
	s_waitcnt lgkmcnt(2)
	v_fmac_f64_e32 v[2:3], v[6:7], v[26:27]
	v_fmac_f64_e32 v[2:3], v[8:9], v[28:29]
	ds_read2_b64 v[6:9], v5 offset0:64 offset1:96
	ds_read_b128 v[18:21], v1 offset:8272
	ds_read2_b64 v[22:25], v5 offset0:128 offset1:160
	ds_read_b128 v[26:29], v1 offset:8288
	s_waitcnt lgkmcnt(4)
	v_fmac_f64_e32 v[2:3], v[10:11], v[14:15]
	v_fmac_f64_e32 v[2:3], v[12:13], v[16:17]
	ds_read2_b64 v[10:13], v5 offset0:192 offset1:224
	s_waitcnt lgkmcnt(3)
	v_fmac_f64_e32 v[2:3], v[6:7], v[18:19]
	v_fmac_f64_e32 v[2:3], v[8:9], v[20:21]
	ds_read_b128 v[6:9], v1 offset:8304
	s_waitcnt lgkmcnt(2)
	v_fmac_f64_e32 v[2:3], v[22:23], v[26:27]
	v_add_u32_e32 v5, 0x1000, v0
	v_fmac_f64_e32 v[2:3], v[24:25], v[28:29]
	ds_read2_b64 v[14:17], v5 offset1:32
	ds_read_b128 v[18:21], v1 offset:8320
	s_waitcnt lgkmcnt(2)
	v_fmac_f64_e32 v[2:3], v[10:11], v[6:7]
	v_fmac_f64_e32 v[2:3], v[12:13], v[8:9]
	ds_read2_b64 v[6:9], v5 offset0:64 offset1:96
	ds_read_b128 v[10:13], v1 offset:8336
	ds_read2_b64 v[22:25], v5 offset0:128 offset1:160
	ds_read_b128 v[26:29], v1 offset:8352
	s_waitcnt lgkmcnt(4)
	v_fmac_f64_e32 v[2:3], v[14:15], v[18:19]
	v_fmac_f64_e32 v[2:3], v[16:17], v[20:21]
	s_mul_hi_u32 s9, s8, s3
	s_waitcnt lgkmcnt(2)
	v_fmac_f64_e32 v[2:3], v[6:7], v[10:11]
	v_fmac_f64_e32 v[2:3], v[8:9], v[12:13]
	ds_read_b128 v[6:9], v1 offset:8368
	ds_read2_b64 v[10:13], v5 offset0:192 offset1:224
	s_waitcnt lgkmcnt(2)
	v_fmac_f64_e32 v[2:3], v[22:23], v[26:27]
	v_add_u32_e32 v5, 0x1800, v0
	ds_read2_b64 v[14:17], v5 offset1:32
	ds_read_b128 v[18:21], v1 offset:8384
	v_fmac_f64_e32 v[2:3], v[24:25], v[28:29]
	s_waitcnt lgkmcnt(2)
	v_fmac_f64_e32 v[2:3], v[10:11], v[6:7]
	v_fmac_f64_e32 v[2:3], v[12:13], v[8:9]
	ds_read_b128 v[6:9], v1 offset:8400
	s_mul_i32 s0, s8, s3
	s_add_i32 s1, s9, s1
	s_lshl_b64 s[0:1], s[0:1], 3
	s_waitcnt lgkmcnt(1)
	v_fmac_f64_e32 v[2:3], v[14:15], v[18:19]
	s_mul_i32 s3, s6, s10
	s_add_u32 s4, s4, s0
	s_mul_hi_u32 s0, s6, s2
	v_fmac_f64_e32 v[2:3], v[16:17], v[20:21]
	ds_read2_b64 v[10:13], v5 offset0:64 offset1:96
	ds_read2_b64 v[14:17], v5 offset0:128 offset1:160
	ds_read_b128 v[18:21], v1 offset:8416
	ds_read2_b64 v[22:25], v5 offset0:192 offset1:224
	ds_read_b128 v[26:29], v1 offset:8432
	s_addc_u32 s5, s5, s1
	s_add_i32 s0, s0, s3
	s_mul_i32 s1, s7, s2
	s_waitcnt lgkmcnt(4)
	v_fmac_f64_e32 v[2:3], v[10:11], v[6:7]
	s_add_i32 s1, s0, s1
	s_mul_i32 s0, s6, s2
	v_fmac_f64_e32 v[2:3], v[12:13], v[8:9]
	v_mad_u64_u32 v[6:7], s[2:3], s6, v4, 0
	s_lshl_b64 s[0:1], s[0:1], 3
	s_waitcnt lgkmcnt(2)
	v_fmac_f64_e32 v[2:3], v[14:15], v[18:19]
	v_mov_b32_e32 v8, v7
	s_add_u32 s0, s4, s0
	v_fmac_f64_e32 v[2:3], v[16:17], v[20:21]
	v_mad_u64_u32 v[4:5], s[2:3], s7, v4, v[8:9]
	s_addc_u32 s1, s5, s1
	s_waitcnt lgkmcnt(0)
	v_fmac_f64_e32 v[2:3], v[22:23], v[26:27]
	v_mov_b32_e32 v7, v4
	v_fmac_f64_e32 v[2:3], v[24:25], v[28:29]
	v_lshl_add_u64 v[4:5], v[6:7], 3, s[0:1]
	v_mov_b32_e32 v1, 0
	v_mul_f64 v[2:3], s[24:25], v[2:3]
	v_lshl_add_u64 v[0:1], v[4:5], 0, v[0:1]
	global_store_dwordx2 v[0:1], v[2:3], off
.LBB60_15:
	s_endpgm
	.section	.rodata,"a",@progbits
	.p2align	6, 0x0
	.amdhsa_kernel _ZL23rocblas_trmm_lNx_kernelILi32EdPKdS0_dEv13rocblas_fill_17rocblas_diagonal_iiT1_lPT2_llS6_llPT3_lli
		.amdhsa_group_segment_fixed_size 16384
		.amdhsa_private_segment_fixed_size 0
		.amdhsa_kernarg_size 108
		.amdhsa_user_sgpr_count 2
		.amdhsa_user_sgpr_dispatch_ptr 0
		.amdhsa_user_sgpr_queue_ptr 0
		.amdhsa_user_sgpr_kernarg_segment_ptr 1
		.amdhsa_user_sgpr_dispatch_id 0
		.amdhsa_user_sgpr_kernarg_preload_length 0
		.amdhsa_user_sgpr_kernarg_preload_offset 0
		.amdhsa_user_sgpr_private_segment_size 0
		.amdhsa_uses_dynamic_stack 0
		.amdhsa_enable_private_segment 0
		.amdhsa_system_sgpr_workgroup_id_x 1
		.amdhsa_system_sgpr_workgroup_id_y 0
		.amdhsa_system_sgpr_workgroup_id_z 1
		.amdhsa_system_sgpr_workgroup_info 0
		.amdhsa_system_vgpr_workitem_id 1
		.amdhsa_next_free_vgpr 34
		.amdhsa_next_free_sgpr 26
		.amdhsa_accum_offset 36
		.amdhsa_reserve_vcc 1
		.amdhsa_float_round_mode_32 0
		.amdhsa_float_round_mode_16_64 0
		.amdhsa_float_denorm_mode_32 3
		.amdhsa_float_denorm_mode_16_64 3
		.amdhsa_dx10_clamp 1
		.amdhsa_ieee_mode 1
		.amdhsa_fp16_overflow 0
		.amdhsa_tg_split 0
		.amdhsa_exception_fp_ieee_invalid_op 0
		.amdhsa_exception_fp_denorm_src 0
		.amdhsa_exception_fp_ieee_div_zero 0
		.amdhsa_exception_fp_ieee_overflow 0
		.amdhsa_exception_fp_ieee_underflow 0
		.amdhsa_exception_fp_ieee_inexact 0
		.amdhsa_exception_int_div_zero 0
	.end_amdhsa_kernel
	.section	.text._ZL23rocblas_trmm_lNx_kernelILi32EdPKdS0_dEv13rocblas_fill_17rocblas_diagonal_iiT1_lPT2_llS6_llPT3_lli,"axG",@progbits,_ZL23rocblas_trmm_lNx_kernelILi32EdPKdS0_dEv13rocblas_fill_17rocblas_diagonal_iiT1_lPT2_llS6_llPT3_lli,comdat
.Lfunc_end60:
	.size	_ZL23rocblas_trmm_lNx_kernelILi32EdPKdS0_dEv13rocblas_fill_17rocblas_diagonal_iiT1_lPT2_llS6_llPT3_lli, .Lfunc_end60-_ZL23rocblas_trmm_lNx_kernelILi32EdPKdS0_dEv13rocblas_fill_17rocblas_diagonal_iiT1_lPT2_llS6_llPT3_lli
                                        ; -- End function
	.set _ZL23rocblas_trmm_lNx_kernelILi32EdPKdS0_dEv13rocblas_fill_17rocblas_diagonal_iiT1_lPT2_llS6_llPT3_lli.num_vgpr, 34
	.set _ZL23rocblas_trmm_lNx_kernelILi32EdPKdS0_dEv13rocblas_fill_17rocblas_diagonal_iiT1_lPT2_llS6_llPT3_lli.num_agpr, 0
	.set _ZL23rocblas_trmm_lNx_kernelILi32EdPKdS0_dEv13rocblas_fill_17rocblas_diagonal_iiT1_lPT2_llS6_llPT3_lli.numbered_sgpr, 26
	.set _ZL23rocblas_trmm_lNx_kernelILi32EdPKdS0_dEv13rocblas_fill_17rocblas_diagonal_iiT1_lPT2_llS6_llPT3_lli.num_named_barrier, 0
	.set _ZL23rocblas_trmm_lNx_kernelILi32EdPKdS0_dEv13rocblas_fill_17rocblas_diagonal_iiT1_lPT2_llS6_llPT3_lli.private_seg_size, 0
	.set _ZL23rocblas_trmm_lNx_kernelILi32EdPKdS0_dEv13rocblas_fill_17rocblas_diagonal_iiT1_lPT2_llS6_llPT3_lli.uses_vcc, 1
	.set _ZL23rocblas_trmm_lNx_kernelILi32EdPKdS0_dEv13rocblas_fill_17rocblas_diagonal_iiT1_lPT2_llS6_llPT3_lli.uses_flat_scratch, 0
	.set _ZL23rocblas_trmm_lNx_kernelILi32EdPKdS0_dEv13rocblas_fill_17rocblas_diagonal_iiT1_lPT2_llS6_llPT3_lli.has_dyn_sized_stack, 0
	.set _ZL23rocblas_trmm_lNx_kernelILi32EdPKdS0_dEv13rocblas_fill_17rocblas_diagonal_iiT1_lPT2_llS6_llPT3_lli.has_recursion, 0
	.set _ZL23rocblas_trmm_lNx_kernelILi32EdPKdS0_dEv13rocblas_fill_17rocblas_diagonal_iiT1_lPT2_llS6_llPT3_lli.has_indirect_call, 0
	.section	.AMDGPU.csdata,"",@progbits
; Kernel info:
; codeLenInByte = 1200
; TotalNumSgprs: 32
; NumVgprs: 34
; NumAgprs: 0
; TotalNumVgprs: 34
; ScratchSize: 0
; MemoryBound: 0
; FloatMode: 240
; IeeeMode: 1
; LDSByteSize: 16384 bytes/workgroup (compile time only)
; SGPRBlocks: 3
; VGPRBlocks: 4
; NumSGPRsForWavesPerEU: 32
; NumVGPRsForWavesPerEU: 34
; AccumOffset: 36
; Occupancy: 8
; WaveLimiterHint : 0
; COMPUTE_PGM_RSRC2:SCRATCH_EN: 0
; COMPUTE_PGM_RSRC2:USER_SGPR: 2
; COMPUTE_PGM_RSRC2:TRAP_HANDLER: 0
; COMPUTE_PGM_RSRC2:TGID_X_EN: 1
; COMPUTE_PGM_RSRC2:TGID_Y_EN: 0
; COMPUTE_PGM_RSRC2:TGID_Z_EN: 1
; COMPUTE_PGM_RSRC2:TIDIG_COMP_CNT: 1
; COMPUTE_PGM_RSRC3_GFX90A:ACCUM_OFFSET: 8
; COMPUTE_PGM_RSRC3_GFX90A:TG_SPLIT: 0
	.section	.text._ZL23rocblas_trmm_lNx_kernelILi32EddKddEv13rocblas_fill_17rocblas_diagonal_iiT1_lPT2_llS5_llPT3_lli,"axG",@progbits,_ZL23rocblas_trmm_lNx_kernelILi32EddKddEv13rocblas_fill_17rocblas_diagonal_iiT1_lPT2_llS5_llPT3_lli,comdat
	.globl	_ZL23rocblas_trmm_lNx_kernelILi32EddKddEv13rocblas_fill_17rocblas_diagonal_iiT1_lPT2_llS5_llPT3_lli ; -- Begin function _ZL23rocblas_trmm_lNx_kernelILi32EddKddEv13rocblas_fill_17rocblas_diagonal_iiT1_lPT2_llS5_llPT3_lli
	.p2align	8
	.type	_ZL23rocblas_trmm_lNx_kernelILi32EddKddEv13rocblas_fill_17rocblas_diagonal_iiT1_lPT2_llS5_llPT3_lli,@function
_ZL23rocblas_trmm_lNx_kernelILi32EddKddEv13rocblas_fill_17rocblas_diagonal_iiT1_lPT2_llS5_llPT3_lli: ; @_ZL23rocblas_trmm_lNx_kernelILi32EddKddEv13rocblas_fill_17rocblas_diagonal_iiT1_lPT2_llS5_llPT3_lli
; %bb.0:
	s_load_dwordx2 s[6:7], s[0:1], 0x10
	s_waitcnt lgkmcnt(0)
	v_cmp_eq_f64_e64 s[4:5], s[6:7], 0
	s_and_b64 vcc, exec, s[4:5]
	s_cbranch_vccnz .LBB61_15
; %bb.1:
	s_load_dwordx4 s[24:27], s[0:1], 0x0
	s_load_dwordx16 s[8:23], s[0:1], 0x20
	v_bfe_u32 v4, v0, 10, 10
	s_mov_b32 s4, 0
	v_and_b32_e32 v5, 0x3ff, v0
	v_lshlrev_b32_e32 v2, 5, v4
	s_mov_b32 s5, s4
	v_add_lshl_u32 v3, v2, v5, 3
	v_mov_b64_e32 v[0:1], s[4:5]
	s_waitcnt lgkmcnt(0)
	v_cmp_gt_i32_e64 s[4:5], s26, v4
	v_cmp_gt_i32_e32 vcc, s26, v5
	ds_write2st64_b64 v3, v[0:1], v[0:1] offset1:16
	s_and_b64 s[28:29], s[4:5], vcc
	v_lshlrev_b32_e32 v0, 3, v5
	s_and_saveexec_b64 s[4:5], s[28:29]
	s_cbranch_execz .LBB61_3
; %bb.2:
	s_mul_i32 s13, s13, s3
	s_mul_hi_u32 s26, s12, s3
	s_add_i32 s13, s26, s13
	s_mul_i32 s12, s12, s3
	s_lshl_b64 s[12:13], s[12:13], 3
	s_add_u32 s8, s8, s12
	s_addc_u32 s9, s9, s13
	v_mad_u64_u32 v[6:7], s[12:13], s10, v4, 0
	v_mov_b32_e32 v8, v7
	v_mad_u64_u32 v[8:9], s[10:11], s11, v4, v[8:9]
	v_mov_b32_e32 v7, v8
	v_lshl_add_u64 v[6:7], v[6:7], 3, s[8:9]
	v_mov_b32_e32 v1, 0
	v_lshl_add_u64 v[6:7], v[6:7], 0, v[0:1]
	global_load_dwordx2 v[6:7], v[6:7], off
	s_waitcnt vmcnt(0)
	ds_write_b64 v3, v[6:7]
.LBB61_3:
	s_or_b64 exec, exec, s[4:5]
	s_add_i32 s4, s27, -1
	s_ashr_i32 s5, s4, 31
	s_lshr_b32 s5, s5, 27
	s_add_i32 s4, s4, s5
	s_ashr_i32 s5, s4, 5
	s_andn2_b32 s4, s4, 31
	s_sub_i32 s4, s27, s4
	s_cmp_ge_i32 s2, s5
	s_cselect_b32 s4, s4, 32
	s_lshl_b32 s2, s2, 5
	v_cmp_gt_i32_e64 s[4:5], s4, v4
	s_ashr_i32 s12, s2, 31
	s_and_b64 s[4:5], vcc, s[4:5]
	s_and_saveexec_b64 s[8:9], s[4:5]
	s_cbranch_execz .LBB61_5
; %bb.4:
	s_mul_i32 s10, s19, s3
	s_mul_hi_u32 s11, s18, s3
	s_add_i32 s11, s11, s10
	s_mul_i32 s10, s18, s3
	s_lshl_b64 s[10:11], s[10:11], 3
	s_add_u32 s13, s14, s10
	s_addc_u32 s14, s15, s11
	s_mul_i32 s10, s16, s12
	s_mul_hi_u32 s11, s16, s2
	s_add_i32 s10, s11, s10
	s_mul_i32 s11, s17, s2
	s_add_i32 s11, s10, s11
	s_mul_i32 s10, s16, s2
	s_lshl_b64 s[10:11], s[10:11], 3
	s_add_u32 s10, s13, s10
	s_addc_u32 s11, s14, s11
	v_mad_u64_u32 v[6:7], s[14:15], s16, v4, 0
	v_mov_b32_e32 v8, v7
	v_mad_u64_u32 v[8:9], s[14:15], s17, v4, v[8:9]
	v_mov_b32_e32 v7, v8
	v_lshl_add_u64 v[6:7], v[6:7], 3, s[10:11]
	v_mov_b32_e32 v1, 0
	v_lshl_add_u64 v[6:7], v[6:7], 0, v[0:1]
	global_load_dwordx2 v[6:7], v[6:7], off
	v_add_u32_e32 v1, 0x2000, v3
	s_waitcnt vmcnt(0)
	ds_write_b64 v1, v[6:7]
.LBB61_5:
	s_or_b64 exec, exec, s[8:9]
	s_cmpk_eq_i32 s25, 0x84
	s_cselect_b64 s[8:9], -1, 0
	v_cmp_eq_u32_e32 vcc, v4, v5
	s_and_b64 s[10:11], vcc, s[8:9]
	s_and_saveexec_b64 s[8:9], s[10:11]
; %bb.6:
	v_mov_b32_e32 v6, 0
	v_mov_b32_e32 v7, 0x3ff00000
	ds_write_b64 v3, v[6:7]
; %bb.7:
	s_or_b64 exec, exec, s[8:9]
	s_cmpk_lg_i32 s24, 0x79
	s_cbranch_scc0 .LBB61_9
; %bb.8:
	v_cmp_lt_u32_e32 vcc, v5, v4
	s_and_b64 s[8:9], vcc, exec
	s_cbranch_execz .LBB61_10
	s_branch .LBB61_11
.LBB61_9:
	s_mov_b64 s[8:9], 0
.LBB61_10:
	v_cmp_gt_u32_e32 vcc, v5, v4
	s_andn2_b64 s[8:9], s[8:9], exec
	s_and_b64 s[10:11], vcc, exec
	s_or_b64 s[8:9], s[8:9], s[10:11]
.LBB61_11:
	s_and_saveexec_b64 s[10:11], s[8:9]
; %bb.12:
	v_mov_b32_e32 v6, 0
	v_mov_b32_e32 v7, v6
	ds_write_b64 v3, v[6:7]
; %bb.13:
	s_or_b64 exec, exec, s[10:11]
	s_waitcnt lgkmcnt(0)
	s_barrier
	s_and_saveexec_b64 s[8:9], s[4:5]
	s_cbranch_execz .LBB61_15
; %bb.14:
	ds_read2_b64 v[6:9], v0 offset1:32
	v_lshlrev_b32_e32 v1, 3, v2
	ds_read_b128 v[10:13], v1 offset:8192
	ds_read_b128 v[14:17], v1 offset:8208
	ds_read2_b64 v[18:21], v0 offset0:64 offset1:96
	ds_read_b128 v[22:25], v1 offset:8224
	ds_read_b128 v[26:29], v1 offset:8240
	ds_read2_b64 v[30:33], v0 offset0:128 offset1:160
	v_add_u32_e32 v5, 0x800, v0
	s_load_dwordx2 s[0:1], s[0:1], 0x60
	s_waitcnt lgkmcnt(0)
	v_fma_f64 v[2:3], v[6:7], v[10:11], 0
	v_fmac_f64_e32 v[2:3], v[8:9], v[12:13]
	ds_read2_b64 v[6:9], v0 offset0:192 offset1:224
	v_fmac_f64_e32 v[2:3], v[18:19], v[14:15]
	v_fmac_f64_e32 v[2:3], v[20:21], v[16:17]
	;; [unrolled: 1-line block ×4, first 2 shown]
	ds_read2_b64 v[10:13], v5 offset1:32
	ds_read_b128 v[14:17], v1 offset:8256
	s_waitcnt lgkmcnt(2)
	v_fmac_f64_e32 v[2:3], v[6:7], v[26:27]
	v_fmac_f64_e32 v[2:3], v[8:9], v[28:29]
	ds_read2_b64 v[6:9], v5 offset0:64 offset1:96
	ds_read_b128 v[18:21], v1 offset:8272
	ds_read2_b64 v[22:25], v5 offset0:128 offset1:160
	ds_read_b128 v[26:29], v1 offset:8288
	s_waitcnt lgkmcnt(4)
	v_fmac_f64_e32 v[2:3], v[10:11], v[14:15]
	v_fmac_f64_e32 v[2:3], v[12:13], v[16:17]
	ds_read2_b64 v[10:13], v5 offset0:192 offset1:224
	s_waitcnt lgkmcnt(3)
	v_fmac_f64_e32 v[2:3], v[6:7], v[18:19]
	v_fmac_f64_e32 v[2:3], v[8:9], v[20:21]
	ds_read_b128 v[6:9], v1 offset:8304
	s_waitcnt lgkmcnt(2)
	v_fmac_f64_e32 v[2:3], v[22:23], v[26:27]
	v_add_u32_e32 v5, 0x1000, v0
	v_fmac_f64_e32 v[2:3], v[24:25], v[28:29]
	ds_read2_b64 v[14:17], v5 offset1:32
	ds_read_b128 v[18:21], v1 offset:8320
	s_waitcnt lgkmcnt(2)
	v_fmac_f64_e32 v[2:3], v[10:11], v[6:7]
	v_fmac_f64_e32 v[2:3], v[12:13], v[8:9]
	ds_read2_b64 v[6:9], v5 offset0:64 offset1:96
	ds_read_b128 v[10:13], v1 offset:8336
	ds_read2_b64 v[22:25], v5 offset0:128 offset1:160
	ds_read_b128 v[26:29], v1 offset:8352
	s_waitcnt lgkmcnt(4)
	v_fmac_f64_e32 v[2:3], v[14:15], v[18:19]
	v_fmac_f64_e32 v[2:3], v[16:17], v[20:21]
	s_mul_i32 s1, s1, s3
	s_waitcnt lgkmcnt(2)
	v_fmac_f64_e32 v[2:3], v[6:7], v[10:11]
	v_fmac_f64_e32 v[2:3], v[8:9], v[12:13]
	ds_read_b128 v[6:9], v1 offset:8368
	ds_read2_b64 v[10:13], v5 offset0:192 offset1:224
	s_waitcnt lgkmcnt(2)
	v_fmac_f64_e32 v[2:3], v[22:23], v[26:27]
	v_add_u32_e32 v5, 0x1800, v0
	ds_read2_b64 v[14:17], v5 offset1:32
	ds_read_b128 v[18:21], v1 offset:8384
	v_fmac_f64_e32 v[2:3], v[24:25], v[28:29]
	s_mul_hi_u32 s8, s0, s3
	s_waitcnt lgkmcnt(2)
	v_fmac_f64_e32 v[2:3], v[10:11], v[6:7]
	s_mul_i32 s0, s0, s3
	s_add_i32 s1, s8, s1
	v_fmac_f64_e32 v[2:3], v[12:13], v[8:9]
	ds_read_b128 v[6:9], v1 offset:8400
	s_lshl_b64 s[0:1], s[0:1], 3
	s_mul_i32 s4, s22, s12
	s_mul_hi_u32 s5, s22, s2
	s_add_u32 s3, s20, s0
	s_addc_u32 s8, s21, s1
	s_add_i32 s0, s5, s4
	s_mul_i32 s1, s23, s2
	s_waitcnt lgkmcnt(1)
	v_fmac_f64_e32 v[2:3], v[14:15], v[18:19]
	s_add_i32 s1, s0, s1
	s_mul_i32 s0, s22, s2
	v_fmac_f64_e32 v[2:3], v[16:17], v[20:21]
	ds_read2_b64 v[10:13], v5 offset0:64 offset1:96
	ds_read2_b64 v[14:17], v5 offset0:128 offset1:160
	ds_read_b128 v[18:21], v1 offset:8416
	ds_read2_b64 v[22:25], v5 offset0:192 offset1:224
	ds_read_b128 v[26:29], v1 offset:8432
	s_lshl_b64 s[0:1], s[0:1], 3
	s_waitcnt lgkmcnt(4)
	v_fmac_f64_e32 v[2:3], v[10:11], v[6:7]
	s_add_u32 s0, s3, s0
	v_fmac_f64_e32 v[2:3], v[12:13], v[8:9]
	v_mad_u64_u32 v[6:7], s[2:3], s22, v4, 0
	s_waitcnt lgkmcnt(2)
	v_fmac_f64_e32 v[2:3], v[14:15], v[18:19]
	v_mov_b32_e32 v8, v7
	v_fmac_f64_e32 v[2:3], v[16:17], v[20:21]
	v_mad_u64_u32 v[4:5], s[2:3], s23, v4, v[8:9]
	s_addc_u32 s1, s8, s1
	s_waitcnt lgkmcnt(0)
	v_fmac_f64_e32 v[2:3], v[22:23], v[26:27]
	v_mov_b32_e32 v7, v4
	v_fmac_f64_e32 v[2:3], v[24:25], v[28:29]
	v_lshl_add_u64 v[4:5], v[6:7], 3, s[0:1]
	v_mov_b32_e32 v1, 0
	v_mul_f64 v[2:3], s[6:7], v[2:3]
	v_lshl_add_u64 v[0:1], v[4:5], 0, v[0:1]
	global_store_dwordx2 v[0:1], v[2:3], off
.LBB61_15:
	s_endpgm
	.section	.rodata,"a",@progbits
	.p2align	6, 0x0
	.amdhsa_kernel _ZL23rocblas_trmm_lNx_kernelILi32EddKddEv13rocblas_fill_17rocblas_diagonal_iiT1_lPT2_llS5_llPT3_lli
		.amdhsa_group_segment_fixed_size 16384
		.amdhsa_private_segment_fixed_size 0
		.amdhsa_kernarg_size 108
		.amdhsa_user_sgpr_count 2
		.amdhsa_user_sgpr_dispatch_ptr 0
		.amdhsa_user_sgpr_queue_ptr 0
		.amdhsa_user_sgpr_kernarg_segment_ptr 1
		.amdhsa_user_sgpr_dispatch_id 0
		.amdhsa_user_sgpr_kernarg_preload_length 0
		.amdhsa_user_sgpr_kernarg_preload_offset 0
		.amdhsa_user_sgpr_private_segment_size 0
		.amdhsa_uses_dynamic_stack 0
		.amdhsa_enable_private_segment 0
		.amdhsa_system_sgpr_workgroup_id_x 1
		.amdhsa_system_sgpr_workgroup_id_y 0
		.amdhsa_system_sgpr_workgroup_id_z 1
		.amdhsa_system_sgpr_workgroup_info 0
		.amdhsa_system_vgpr_workitem_id 1
		.amdhsa_next_free_vgpr 34
		.amdhsa_next_free_sgpr 30
		.amdhsa_accum_offset 36
		.amdhsa_reserve_vcc 1
		.amdhsa_float_round_mode_32 0
		.amdhsa_float_round_mode_16_64 0
		.amdhsa_float_denorm_mode_32 3
		.amdhsa_float_denorm_mode_16_64 3
		.amdhsa_dx10_clamp 1
		.amdhsa_ieee_mode 1
		.amdhsa_fp16_overflow 0
		.amdhsa_tg_split 0
		.amdhsa_exception_fp_ieee_invalid_op 0
		.amdhsa_exception_fp_denorm_src 0
		.amdhsa_exception_fp_ieee_div_zero 0
		.amdhsa_exception_fp_ieee_overflow 0
		.amdhsa_exception_fp_ieee_underflow 0
		.amdhsa_exception_fp_ieee_inexact 0
		.amdhsa_exception_int_div_zero 0
	.end_amdhsa_kernel
	.section	.text._ZL23rocblas_trmm_lNx_kernelILi32EddKddEv13rocblas_fill_17rocblas_diagonal_iiT1_lPT2_llS5_llPT3_lli,"axG",@progbits,_ZL23rocblas_trmm_lNx_kernelILi32EddKddEv13rocblas_fill_17rocblas_diagonal_iiT1_lPT2_llS5_llPT3_lli,comdat
.Lfunc_end61:
	.size	_ZL23rocblas_trmm_lNx_kernelILi32EddKddEv13rocblas_fill_17rocblas_diagonal_iiT1_lPT2_llS5_llPT3_lli, .Lfunc_end61-_ZL23rocblas_trmm_lNx_kernelILi32EddKddEv13rocblas_fill_17rocblas_diagonal_iiT1_lPT2_llS5_llPT3_lli
                                        ; -- End function
	.set _ZL23rocblas_trmm_lNx_kernelILi32EddKddEv13rocblas_fill_17rocblas_diagonal_iiT1_lPT2_llS5_llPT3_lli.num_vgpr, 34
	.set _ZL23rocblas_trmm_lNx_kernelILi32EddKddEv13rocblas_fill_17rocblas_diagonal_iiT1_lPT2_llS5_llPT3_lli.num_agpr, 0
	.set _ZL23rocblas_trmm_lNx_kernelILi32EddKddEv13rocblas_fill_17rocblas_diagonal_iiT1_lPT2_llS5_llPT3_lli.numbered_sgpr, 30
	.set _ZL23rocblas_trmm_lNx_kernelILi32EddKddEv13rocblas_fill_17rocblas_diagonal_iiT1_lPT2_llS5_llPT3_lli.num_named_barrier, 0
	.set _ZL23rocblas_trmm_lNx_kernelILi32EddKddEv13rocblas_fill_17rocblas_diagonal_iiT1_lPT2_llS5_llPT3_lli.private_seg_size, 0
	.set _ZL23rocblas_trmm_lNx_kernelILi32EddKddEv13rocblas_fill_17rocblas_diagonal_iiT1_lPT2_llS5_llPT3_lli.uses_vcc, 1
	.set _ZL23rocblas_trmm_lNx_kernelILi32EddKddEv13rocblas_fill_17rocblas_diagonal_iiT1_lPT2_llS5_llPT3_lli.uses_flat_scratch, 0
	.set _ZL23rocblas_trmm_lNx_kernelILi32EddKddEv13rocblas_fill_17rocblas_diagonal_iiT1_lPT2_llS5_llPT3_lli.has_dyn_sized_stack, 0
	.set _ZL23rocblas_trmm_lNx_kernelILi32EddKddEv13rocblas_fill_17rocblas_diagonal_iiT1_lPT2_llS5_llPT3_lli.has_recursion, 0
	.set _ZL23rocblas_trmm_lNx_kernelILi32EddKddEv13rocblas_fill_17rocblas_diagonal_iiT1_lPT2_llS5_llPT3_lli.has_indirect_call, 0
	.section	.AMDGPU.csdata,"",@progbits
; Kernel info:
; codeLenInByte = 1160
; TotalNumSgprs: 36
; NumVgprs: 34
; NumAgprs: 0
; TotalNumVgprs: 34
; ScratchSize: 0
; MemoryBound: 0
; FloatMode: 240
; IeeeMode: 1
; LDSByteSize: 16384 bytes/workgroup (compile time only)
; SGPRBlocks: 4
; VGPRBlocks: 4
; NumSGPRsForWavesPerEU: 36
; NumVGPRsForWavesPerEU: 34
; AccumOffset: 36
; Occupancy: 8
; WaveLimiterHint : 0
; COMPUTE_PGM_RSRC2:SCRATCH_EN: 0
; COMPUTE_PGM_RSRC2:USER_SGPR: 2
; COMPUTE_PGM_RSRC2:TRAP_HANDLER: 0
; COMPUTE_PGM_RSRC2:TGID_X_EN: 1
; COMPUTE_PGM_RSRC2:TGID_Y_EN: 0
; COMPUTE_PGM_RSRC2:TGID_Z_EN: 1
; COMPUTE_PGM_RSRC2:TIDIG_COMP_CNT: 1
; COMPUTE_PGM_RSRC3_GFX90A:ACCUM_OFFSET: 8
; COMPUTE_PGM_RSRC3_GFX90A:TG_SPLIT: 0
	.section	.text._ZL23rocblas_trmm_lTx_kernelILi32ELb0EdPKdS0_dEv13rocblas_fill_17rocblas_diagonal_iiT2_lPT3_llS6_llPT4_lli,"axG",@progbits,_ZL23rocblas_trmm_lTx_kernelILi32ELb0EdPKdS0_dEv13rocblas_fill_17rocblas_diagonal_iiT2_lPT3_llS6_llPT4_lli,comdat
	.globl	_ZL23rocblas_trmm_lTx_kernelILi32ELb0EdPKdS0_dEv13rocblas_fill_17rocblas_diagonal_iiT2_lPT3_llS6_llPT4_lli ; -- Begin function _ZL23rocblas_trmm_lTx_kernelILi32ELb0EdPKdS0_dEv13rocblas_fill_17rocblas_diagonal_iiT2_lPT3_llS6_llPT4_lli
	.p2align	8
	.type	_ZL23rocblas_trmm_lTx_kernelILi32ELb0EdPKdS0_dEv13rocblas_fill_17rocblas_diagonal_iiT2_lPT3_llS6_llPT4_lli,@function
_ZL23rocblas_trmm_lTx_kernelILi32ELb0EdPKdS0_dEv13rocblas_fill_17rocblas_diagonal_iiT2_lPT3_llS6_llPT4_lli: ; @_ZL23rocblas_trmm_lTx_kernelILi32ELb0EdPKdS0_dEv13rocblas_fill_17rocblas_diagonal_iiT2_lPT3_llS6_llPT4_lli
; %bb.0:
	s_load_dwordx16 s[4:19], s[0:1], 0x10
	s_waitcnt lgkmcnt(0)
	s_mul_i32 s7, s7, s3
	s_mul_hi_u32 s20, s6, s3
	s_add_i32 s7, s20, s7
	s_mul_i32 s6, s6, s3
	s_lshl_b64 s[6:7], s[6:7], 3
	s_add_u32 s4, s4, s6
	s_addc_u32 s5, s5, s7
	s_load_dwordx2 s[24:25], s[4:5], 0x0
	s_waitcnt lgkmcnt(0)
	v_cmp_eq_f64_e64 s[4:5], s[24:25], 0
	s_and_b64 vcc, exec, s[4:5]
	s_cbranch_vccnz .LBB62_15
; %bb.1:
	s_load_dwordx4 s[20:23], s[0:1], 0x0
	s_mov_b32 s4, 0
	v_bfe_u32 v4, v0, 10, 10
	v_and_b32_e32 v5, 0x3ff, v0
	v_lshlrev_b32_e32 v2, 5, v4
	s_mov_b32 s5, s4
	v_add_lshl_u32 v3, v2, v5, 3
	v_mov_b64_e32 v[0:1], s[4:5]
	s_waitcnt lgkmcnt(0)
	v_cmp_gt_i32_e64 s[4:5], s22, v4
	v_cmp_gt_i32_e32 vcc, s22, v5
	ds_write2st64_b64 v3, v[0:1], v[0:1] offset1:16
	s_and_b64 s[6:7], s[4:5], vcc
	v_lshlrev_b32_e32 v0, 3, v5
	s_waitcnt lgkmcnt(0)
	s_barrier
	s_and_saveexec_b64 s[4:5], s[6:7]
	s_cbranch_execz .LBB62_3
; %bb.2:
	s_mul_i32 s6, s13, s3
	s_mul_hi_u32 s7, s12, s3
	s_add_i32 s7, s7, s6
	s_mul_i32 s6, s12, s3
	s_lshl_b64 s[6:7], s[6:7], 3
	s_add_u32 s6, s8, s6
	s_addc_u32 s7, s9, s7
	v_mad_u64_u32 v[6:7], s[8:9], s10, v4, 0
	v_mov_b32_e32 v8, v7
	v_mad_u64_u32 v[8:9], s[8:9], s11, v4, v[8:9]
	v_mov_b32_e32 v7, v8
	v_lshl_add_u64 v[6:7], v[6:7], 3, s[6:7]
	v_mov_b32_e32 v1, 0
	v_lshl_add_u64 v[6:7], v[6:7], 0, v[0:1]
	global_load_dwordx2 v[6:7], v[6:7], off
	v_lshlrev_b32_e32 v1, 3, v4
	v_lshl_add_u32 v1, v5, 8, v1
	s_waitcnt vmcnt(0)
	ds_write_b64 v1, v[6:7]
.LBB62_3:
	s_or_b64 exec, exec, s[4:5]
	s_add_i32 s4, s23, -1
	s_ashr_i32 s5, s4, 31
	s_lshr_b32 s5, s5, 27
	s_add_i32 s4, s4, s5
	s_ashr_i32 s5, s4, 5
	s_andn2_b32 s4, s4, 31
	s_sub_i32 s4, s23, s4
	s_cmp_ge_i32 s2, s5
	s_cselect_b32 s4, s4, 32
	s_lshl_b32 s2, s2, 5
	v_cmp_gt_i32_e64 s[4:5], s4, v4
	s_ashr_i32 s10, s2, 31
	s_and_b64 s[4:5], vcc, s[4:5]
	s_and_saveexec_b64 s[6:7], s[4:5]
	s_cbranch_execz .LBB62_5
; %bb.4:
	s_mul_i32 s8, s19, s3
	s_mul_hi_u32 s9, s18, s3
	s_add_i32 s9, s9, s8
	s_mul_i32 s8, s18, s3
	s_lshl_b64 s[8:9], s[8:9], 3
	s_add_u32 s11, s14, s8
	s_addc_u32 s12, s15, s9
	s_mul_i32 s8, s16, s10
	s_mul_hi_u32 s9, s16, s2
	s_add_i32 s8, s9, s8
	s_mul_i32 s9, s17, s2
	s_add_i32 s9, s8, s9
	s_mul_i32 s8, s16, s2
	s_lshl_b64 s[8:9], s[8:9], 3
	s_add_u32 s8, s11, s8
	s_addc_u32 s9, s12, s9
	v_mad_u64_u32 v[6:7], s[12:13], s16, v4, 0
	v_mov_b32_e32 v8, v7
	v_mad_u64_u32 v[8:9], s[12:13], s17, v4, v[8:9]
	v_mov_b32_e32 v7, v8
	v_lshl_add_u64 v[6:7], v[6:7], 3, s[8:9]
	v_mov_b32_e32 v1, 0
	v_lshl_add_u64 v[6:7], v[6:7], 0, v[0:1]
	global_load_dwordx2 v[6:7], v[6:7], off
	v_add_u32_e32 v1, 0x2000, v3
	s_waitcnt vmcnt(0)
	ds_write_b64 v1, v[6:7]
.LBB62_5:
	s_or_b64 exec, exec, s[6:7]
	s_cmpk_eq_i32 s21, 0x84
	s_cselect_b64 s[6:7], -1, 0
	v_cmp_eq_u32_e32 vcc, v4, v5
	s_and_b64 s[8:9], vcc, s[6:7]
	s_and_saveexec_b64 s[6:7], s[8:9]
; %bb.6:
	v_mov_b32_e32 v6, 0
	v_mov_b32_e32 v7, 0x3ff00000
	ds_write_b64 v3, v[6:7]
; %bb.7:
	s_or_b64 exec, exec, s[6:7]
	s_cmpk_lg_i32 s20, 0x7a
	s_waitcnt lgkmcnt(0)
	s_barrier
	s_cbranch_scc0 .LBB62_9
; %bb.8:
	v_cmp_lt_u32_e32 vcc, v5, v4
	s_and_b64 s[6:7], vcc, exec
	s_cbranch_execz .LBB62_10
	s_branch .LBB62_11
.LBB62_9:
	s_mov_b64 s[6:7], 0
.LBB62_10:
	v_cmp_gt_u32_e32 vcc, v5, v4
	s_andn2_b64 s[6:7], s[6:7], exec
	s_and_b64 s[8:9], vcc, exec
	s_or_b64 s[6:7], s[6:7], s[8:9]
.LBB62_11:
	s_and_saveexec_b64 s[8:9], s[6:7]
; %bb.12:
	v_mov_b32_e32 v6, 0
	v_mov_b32_e32 v7, v6
	ds_write_b64 v3, v[6:7]
; %bb.13:
	s_or_b64 exec, exec, s[8:9]
	s_waitcnt lgkmcnt(0)
	s_barrier
	s_and_saveexec_b64 s[6:7], s[4:5]
	s_cbranch_execz .LBB62_15
; %bb.14:
	s_load_dwordx2 s[8:9], s[0:1], 0x60
	s_load_dwordx4 s[4:7], s[0:1], 0x50
	ds_read2_b64 v[6:9], v0 offset1:32
	v_lshlrev_b32_e32 v1, 3, v2
	ds_read_b128 v[10:13], v1 offset:8192
	ds_read_b128 v[14:17], v1 offset:8208
	ds_read2_b64 v[18:21], v0 offset0:64 offset1:96
	ds_read_b128 v[22:25], v1 offset:8224
	ds_read_b128 v[26:29], v1 offset:8240
	ds_read2_b64 v[30:33], v0 offset0:128 offset1:160
	v_add_u32_e32 v5, 0x800, v0
	s_waitcnt lgkmcnt(0)
	s_mul_i32 s1, s9, s3
	v_fma_f64 v[2:3], v[6:7], v[10:11], 0
	v_fmac_f64_e32 v[2:3], v[8:9], v[12:13]
	ds_read2_b64 v[6:9], v0 offset0:192 offset1:224
	v_fmac_f64_e32 v[2:3], v[18:19], v[14:15]
	v_fmac_f64_e32 v[2:3], v[20:21], v[16:17]
	;; [unrolled: 1-line block ×4, first 2 shown]
	ds_read2_b64 v[10:13], v5 offset1:32
	ds_read_b128 v[14:17], v1 offset:8256
	s_waitcnt lgkmcnt(2)
	v_fmac_f64_e32 v[2:3], v[6:7], v[26:27]
	v_fmac_f64_e32 v[2:3], v[8:9], v[28:29]
	ds_read2_b64 v[6:9], v5 offset0:64 offset1:96
	ds_read_b128 v[18:21], v1 offset:8272
	ds_read2_b64 v[22:25], v5 offset0:128 offset1:160
	ds_read_b128 v[26:29], v1 offset:8288
	s_waitcnt lgkmcnt(4)
	v_fmac_f64_e32 v[2:3], v[10:11], v[14:15]
	v_fmac_f64_e32 v[2:3], v[12:13], v[16:17]
	ds_read2_b64 v[10:13], v5 offset0:192 offset1:224
	s_waitcnt lgkmcnt(3)
	v_fmac_f64_e32 v[2:3], v[6:7], v[18:19]
	v_fmac_f64_e32 v[2:3], v[8:9], v[20:21]
	ds_read_b128 v[6:9], v1 offset:8304
	s_waitcnt lgkmcnt(2)
	v_fmac_f64_e32 v[2:3], v[22:23], v[26:27]
	v_add_u32_e32 v5, 0x1000, v0
	v_fmac_f64_e32 v[2:3], v[24:25], v[28:29]
	ds_read2_b64 v[14:17], v5 offset1:32
	ds_read_b128 v[18:21], v1 offset:8320
	s_waitcnt lgkmcnt(2)
	v_fmac_f64_e32 v[2:3], v[10:11], v[6:7]
	v_fmac_f64_e32 v[2:3], v[12:13], v[8:9]
	ds_read2_b64 v[6:9], v5 offset0:64 offset1:96
	ds_read_b128 v[10:13], v1 offset:8336
	ds_read2_b64 v[22:25], v5 offset0:128 offset1:160
	ds_read_b128 v[26:29], v1 offset:8352
	s_waitcnt lgkmcnt(4)
	v_fmac_f64_e32 v[2:3], v[14:15], v[18:19]
	v_fmac_f64_e32 v[2:3], v[16:17], v[20:21]
	s_mul_hi_u32 s9, s8, s3
	s_waitcnt lgkmcnt(2)
	v_fmac_f64_e32 v[2:3], v[6:7], v[10:11]
	v_fmac_f64_e32 v[2:3], v[8:9], v[12:13]
	ds_read_b128 v[6:9], v1 offset:8368
	ds_read2_b64 v[10:13], v5 offset0:192 offset1:224
	s_waitcnt lgkmcnt(2)
	v_fmac_f64_e32 v[2:3], v[22:23], v[26:27]
	v_add_u32_e32 v5, 0x1800, v0
	ds_read2_b64 v[14:17], v5 offset1:32
	ds_read_b128 v[18:21], v1 offset:8384
	v_fmac_f64_e32 v[2:3], v[24:25], v[28:29]
	s_waitcnt lgkmcnt(2)
	v_fmac_f64_e32 v[2:3], v[10:11], v[6:7]
	v_fmac_f64_e32 v[2:3], v[12:13], v[8:9]
	ds_read_b128 v[6:9], v1 offset:8400
	s_mul_i32 s0, s8, s3
	s_add_i32 s1, s9, s1
	s_lshl_b64 s[0:1], s[0:1], 3
	s_waitcnt lgkmcnt(1)
	v_fmac_f64_e32 v[2:3], v[14:15], v[18:19]
	s_mul_i32 s3, s6, s10
	s_add_u32 s4, s4, s0
	s_mul_hi_u32 s0, s6, s2
	v_fmac_f64_e32 v[2:3], v[16:17], v[20:21]
	ds_read2_b64 v[10:13], v5 offset0:64 offset1:96
	ds_read2_b64 v[14:17], v5 offset0:128 offset1:160
	ds_read_b128 v[18:21], v1 offset:8416
	ds_read2_b64 v[22:25], v5 offset0:192 offset1:224
	ds_read_b128 v[26:29], v1 offset:8432
	s_addc_u32 s5, s5, s1
	s_add_i32 s0, s0, s3
	s_mul_i32 s1, s7, s2
	s_waitcnt lgkmcnt(4)
	v_fmac_f64_e32 v[2:3], v[10:11], v[6:7]
	s_add_i32 s1, s0, s1
	s_mul_i32 s0, s6, s2
	v_fmac_f64_e32 v[2:3], v[12:13], v[8:9]
	v_mad_u64_u32 v[6:7], s[2:3], s6, v4, 0
	s_lshl_b64 s[0:1], s[0:1], 3
	s_waitcnt lgkmcnt(2)
	v_fmac_f64_e32 v[2:3], v[14:15], v[18:19]
	v_mov_b32_e32 v8, v7
	s_add_u32 s0, s4, s0
	v_fmac_f64_e32 v[2:3], v[16:17], v[20:21]
	v_mad_u64_u32 v[4:5], s[2:3], s7, v4, v[8:9]
	s_addc_u32 s1, s5, s1
	s_waitcnt lgkmcnt(0)
	v_fmac_f64_e32 v[2:3], v[22:23], v[26:27]
	v_mov_b32_e32 v7, v4
	v_fmac_f64_e32 v[2:3], v[24:25], v[28:29]
	v_lshl_add_u64 v[4:5], v[6:7], 3, s[0:1]
	v_mov_b32_e32 v1, 0
	v_mul_f64 v[2:3], s[24:25], v[2:3]
	v_lshl_add_u64 v[0:1], v[4:5], 0, v[0:1]
	global_store_dwordx2 v[0:1], v[2:3], off
.LBB62_15:
	s_endpgm
	.section	.rodata,"a",@progbits
	.p2align	6, 0x0
	.amdhsa_kernel _ZL23rocblas_trmm_lTx_kernelILi32ELb0EdPKdS0_dEv13rocblas_fill_17rocblas_diagonal_iiT2_lPT3_llS6_llPT4_lli
		.amdhsa_group_segment_fixed_size 16384
		.amdhsa_private_segment_fixed_size 0
		.amdhsa_kernarg_size 108
		.amdhsa_user_sgpr_count 2
		.amdhsa_user_sgpr_dispatch_ptr 0
		.amdhsa_user_sgpr_queue_ptr 0
		.amdhsa_user_sgpr_kernarg_segment_ptr 1
		.amdhsa_user_sgpr_dispatch_id 0
		.amdhsa_user_sgpr_kernarg_preload_length 0
		.amdhsa_user_sgpr_kernarg_preload_offset 0
		.amdhsa_user_sgpr_private_segment_size 0
		.amdhsa_uses_dynamic_stack 0
		.amdhsa_enable_private_segment 0
		.amdhsa_system_sgpr_workgroup_id_x 1
		.amdhsa_system_sgpr_workgroup_id_y 0
		.amdhsa_system_sgpr_workgroup_id_z 1
		.amdhsa_system_sgpr_workgroup_info 0
		.amdhsa_system_vgpr_workitem_id 1
		.amdhsa_next_free_vgpr 34
		.amdhsa_next_free_sgpr 26
		.amdhsa_accum_offset 36
		.amdhsa_reserve_vcc 1
		.amdhsa_float_round_mode_32 0
		.amdhsa_float_round_mode_16_64 0
		.amdhsa_float_denorm_mode_32 3
		.amdhsa_float_denorm_mode_16_64 3
		.amdhsa_dx10_clamp 1
		.amdhsa_ieee_mode 1
		.amdhsa_fp16_overflow 0
		.amdhsa_tg_split 0
		.amdhsa_exception_fp_ieee_invalid_op 0
		.amdhsa_exception_fp_denorm_src 0
		.amdhsa_exception_fp_ieee_div_zero 0
		.amdhsa_exception_fp_ieee_overflow 0
		.amdhsa_exception_fp_ieee_underflow 0
		.amdhsa_exception_fp_ieee_inexact 0
		.amdhsa_exception_int_div_zero 0
	.end_amdhsa_kernel
	.section	.text._ZL23rocblas_trmm_lTx_kernelILi32ELb0EdPKdS0_dEv13rocblas_fill_17rocblas_diagonal_iiT2_lPT3_llS6_llPT4_lli,"axG",@progbits,_ZL23rocblas_trmm_lTx_kernelILi32ELb0EdPKdS0_dEv13rocblas_fill_17rocblas_diagonal_iiT2_lPT3_llS6_llPT4_lli,comdat
.Lfunc_end62:
	.size	_ZL23rocblas_trmm_lTx_kernelILi32ELb0EdPKdS0_dEv13rocblas_fill_17rocblas_diagonal_iiT2_lPT3_llS6_llPT4_lli, .Lfunc_end62-_ZL23rocblas_trmm_lTx_kernelILi32ELb0EdPKdS0_dEv13rocblas_fill_17rocblas_diagonal_iiT2_lPT3_llS6_llPT4_lli
                                        ; -- End function
	.set _ZL23rocblas_trmm_lTx_kernelILi32ELb0EdPKdS0_dEv13rocblas_fill_17rocblas_diagonal_iiT2_lPT3_llS6_llPT4_lli.num_vgpr, 34
	.set _ZL23rocblas_trmm_lTx_kernelILi32ELb0EdPKdS0_dEv13rocblas_fill_17rocblas_diagonal_iiT2_lPT3_llS6_llPT4_lli.num_agpr, 0
	.set _ZL23rocblas_trmm_lTx_kernelILi32ELb0EdPKdS0_dEv13rocblas_fill_17rocblas_diagonal_iiT2_lPT3_llS6_llPT4_lli.numbered_sgpr, 26
	.set _ZL23rocblas_trmm_lTx_kernelILi32ELb0EdPKdS0_dEv13rocblas_fill_17rocblas_diagonal_iiT2_lPT3_llS6_llPT4_lli.num_named_barrier, 0
	.set _ZL23rocblas_trmm_lTx_kernelILi32ELb0EdPKdS0_dEv13rocblas_fill_17rocblas_diagonal_iiT2_lPT3_llS6_llPT4_lli.private_seg_size, 0
	.set _ZL23rocblas_trmm_lTx_kernelILi32ELb0EdPKdS0_dEv13rocblas_fill_17rocblas_diagonal_iiT2_lPT3_llS6_llPT4_lli.uses_vcc, 1
	.set _ZL23rocblas_trmm_lTx_kernelILi32ELb0EdPKdS0_dEv13rocblas_fill_17rocblas_diagonal_iiT2_lPT3_llS6_llPT4_lli.uses_flat_scratch, 0
	.set _ZL23rocblas_trmm_lTx_kernelILi32ELb0EdPKdS0_dEv13rocblas_fill_17rocblas_diagonal_iiT2_lPT3_llS6_llPT4_lli.has_dyn_sized_stack, 0
	.set _ZL23rocblas_trmm_lTx_kernelILi32ELb0EdPKdS0_dEv13rocblas_fill_17rocblas_diagonal_iiT2_lPT3_llS6_llPT4_lli.has_recursion, 0
	.set _ZL23rocblas_trmm_lTx_kernelILi32ELb0EdPKdS0_dEv13rocblas_fill_17rocblas_diagonal_iiT2_lPT3_llS6_llPT4_lli.has_indirect_call, 0
	.section	.AMDGPU.csdata,"",@progbits
; Kernel info:
; codeLenInByte = 1228
; TotalNumSgprs: 32
; NumVgprs: 34
; NumAgprs: 0
; TotalNumVgprs: 34
; ScratchSize: 0
; MemoryBound: 0
; FloatMode: 240
; IeeeMode: 1
; LDSByteSize: 16384 bytes/workgroup (compile time only)
; SGPRBlocks: 3
; VGPRBlocks: 4
; NumSGPRsForWavesPerEU: 32
; NumVGPRsForWavesPerEU: 34
; AccumOffset: 36
; Occupancy: 8
; WaveLimiterHint : 0
; COMPUTE_PGM_RSRC2:SCRATCH_EN: 0
; COMPUTE_PGM_RSRC2:USER_SGPR: 2
; COMPUTE_PGM_RSRC2:TRAP_HANDLER: 0
; COMPUTE_PGM_RSRC2:TGID_X_EN: 1
; COMPUTE_PGM_RSRC2:TGID_Y_EN: 0
; COMPUTE_PGM_RSRC2:TGID_Z_EN: 1
; COMPUTE_PGM_RSRC2:TIDIG_COMP_CNT: 1
; COMPUTE_PGM_RSRC3_GFX90A:ACCUM_OFFSET: 8
; COMPUTE_PGM_RSRC3_GFX90A:TG_SPLIT: 0
	.section	.text._ZL23rocblas_trmm_lTx_kernelILi32ELb0EddKddEv13rocblas_fill_17rocblas_diagonal_iiT2_lPT3_llS5_llPT4_lli,"axG",@progbits,_ZL23rocblas_trmm_lTx_kernelILi32ELb0EddKddEv13rocblas_fill_17rocblas_diagonal_iiT2_lPT3_llS5_llPT4_lli,comdat
	.globl	_ZL23rocblas_trmm_lTx_kernelILi32ELb0EddKddEv13rocblas_fill_17rocblas_diagonal_iiT2_lPT3_llS5_llPT4_lli ; -- Begin function _ZL23rocblas_trmm_lTx_kernelILi32ELb0EddKddEv13rocblas_fill_17rocblas_diagonal_iiT2_lPT3_llS5_llPT4_lli
	.p2align	8
	.type	_ZL23rocblas_trmm_lTx_kernelILi32ELb0EddKddEv13rocblas_fill_17rocblas_diagonal_iiT2_lPT3_llS5_llPT4_lli,@function
_ZL23rocblas_trmm_lTx_kernelILi32ELb0EddKddEv13rocblas_fill_17rocblas_diagonal_iiT2_lPT3_llS5_llPT4_lli: ; @_ZL23rocblas_trmm_lTx_kernelILi32ELb0EddKddEv13rocblas_fill_17rocblas_diagonal_iiT2_lPT3_llS5_llPT4_lli
; %bb.0:
	s_load_dwordx2 s[6:7], s[0:1], 0x10
	s_waitcnt lgkmcnt(0)
	v_cmp_eq_f64_e64 s[4:5], s[6:7], 0
	s_and_b64 vcc, exec, s[4:5]
	s_cbranch_vccnz .LBB63_15
; %bb.1:
	s_load_dwordx4 s[24:27], s[0:1], 0x0
	s_load_dwordx16 s[8:23], s[0:1], 0x20
	v_bfe_u32 v4, v0, 10, 10
	s_mov_b32 s4, 0
	v_and_b32_e32 v5, 0x3ff, v0
	v_lshlrev_b32_e32 v2, 5, v4
	s_mov_b32 s5, s4
	v_add_lshl_u32 v3, v2, v5, 3
	v_mov_b64_e32 v[0:1], s[4:5]
	s_waitcnt lgkmcnt(0)
	v_cmp_gt_i32_e64 s[4:5], s26, v4
	v_cmp_gt_i32_e32 vcc, s26, v5
	ds_write2st64_b64 v3, v[0:1], v[0:1] offset1:16
	s_and_b64 s[28:29], s[4:5], vcc
	v_lshlrev_b32_e32 v0, 3, v5
	s_waitcnt lgkmcnt(0)
	s_barrier
	s_and_saveexec_b64 s[4:5], s[28:29]
	s_cbranch_execz .LBB63_3
; %bb.2:
	s_mul_i32 s13, s13, s3
	s_mul_hi_u32 s26, s12, s3
	s_add_i32 s13, s26, s13
	s_mul_i32 s12, s12, s3
	s_lshl_b64 s[12:13], s[12:13], 3
	s_add_u32 s8, s8, s12
	s_addc_u32 s9, s9, s13
	v_mad_u64_u32 v[6:7], s[12:13], s10, v4, 0
	v_mov_b32_e32 v8, v7
	v_mad_u64_u32 v[8:9], s[10:11], s11, v4, v[8:9]
	v_mov_b32_e32 v7, v8
	v_lshl_add_u64 v[6:7], v[6:7], 3, s[8:9]
	v_mov_b32_e32 v1, 0
	v_lshl_add_u64 v[6:7], v[6:7], 0, v[0:1]
	global_load_dwordx2 v[6:7], v[6:7], off
	v_lshlrev_b32_e32 v1, 3, v4
	v_lshl_add_u32 v1, v5, 8, v1
	s_waitcnt vmcnt(0)
	ds_write_b64 v1, v[6:7]
.LBB63_3:
	s_or_b64 exec, exec, s[4:5]
	s_add_i32 s4, s27, -1
	s_ashr_i32 s5, s4, 31
	s_lshr_b32 s5, s5, 27
	s_add_i32 s4, s4, s5
	s_ashr_i32 s5, s4, 5
	s_andn2_b32 s4, s4, 31
	s_sub_i32 s4, s27, s4
	s_cmp_ge_i32 s2, s5
	s_cselect_b32 s4, s4, 32
	s_lshl_b32 s2, s2, 5
	v_cmp_gt_i32_e64 s[4:5], s4, v4
	s_ashr_i32 s12, s2, 31
	s_and_b64 s[4:5], vcc, s[4:5]
	s_and_saveexec_b64 s[8:9], s[4:5]
	s_cbranch_execz .LBB63_5
; %bb.4:
	s_mul_i32 s10, s19, s3
	s_mul_hi_u32 s11, s18, s3
	s_add_i32 s11, s11, s10
	s_mul_i32 s10, s18, s3
	s_lshl_b64 s[10:11], s[10:11], 3
	s_add_u32 s13, s14, s10
	s_addc_u32 s14, s15, s11
	s_mul_i32 s10, s16, s12
	s_mul_hi_u32 s11, s16, s2
	s_add_i32 s10, s11, s10
	s_mul_i32 s11, s17, s2
	s_add_i32 s11, s10, s11
	s_mul_i32 s10, s16, s2
	s_lshl_b64 s[10:11], s[10:11], 3
	s_add_u32 s10, s13, s10
	s_addc_u32 s11, s14, s11
	v_mad_u64_u32 v[6:7], s[14:15], s16, v4, 0
	v_mov_b32_e32 v8, v7
	v_mad_u64_u32 v[8:9], s[14:15], s17, v4, v[8:9]
	v_mov_b32_e32 v7, v8
	v_lshl_add_u64 v[6:7], v[6:7], 3, s[10:11]
	v_mov_b32_e32 v1, 0
	v_lshl_add_u64 v[6:7], v[6:7], 0, v[0:1]
	global_load_dwordx2 v[6:7], v[6:7], off
	v_add_u32_e32 v1, 0x2000, v3
	s_waitcnt vmcnt(0)
	ds_write_b64 v1, v[6:7]
.LBB63_5:
	s_or_b64 exec, exec, s[8:9]
	s_cmpk_eq_i32 s25, 0x84
	s_cselect_b64 s[8:9], -1, 0
	v_cmp_eq_u32_e32 vcc, v4, v5
	s_and_b64 s[10:11], vcc, s[8:9]
	s_and_saveexec_b64 s[8:9], s[10:11]
; %bb.6:
	v_mov_b32_e32 v6, 0
	v_mov_b32_e32 v7, 0x3ff00000
	ds_write_b64 v3, v[6:7]
; %bb.7:
	s_or_b64 exec, exec, s[8:9]
	s_cmpk_lg_i32 s24, 0x7a
	s_waitcnt lgkmcnt(0)
	s_barrier
	s_cbranch_scc0 .LBB63_9
; %bb.8:
	v_cmp_lt_u32_e32 vcc, v5, v4
	s_and_b64 s[8:9], vcc, exec
	s_cbranch_execz .LBB63_10
	s_branch .LBB63_11
.LBB63_9:
	s_mov_b64 s[8:9], 0
.LBB63_10:
	v_cmp_gt_u32_e32 vcc, v5, v4
	s_andn2_b64 s[8:9], s[8:9], exec
	s_and_b64 s[10:11], vcc, exec
	s_or_b64 s[8:9], s[8:9], s[10:11]
.LBB63_11:
	s_and_saveexec_b64 s[10:11], s[8:9]
; %bb.12:
	v_mov_b32_e32 v6, 0
	v_mov_b32_e32 v7, v6
	ds_write_b64 v3, v[6:7]
; %bb.13:
	s_or_b64 exec, exec, s[10:11]
	s_waitcnt lgkmcnt(0)
	s_barrier
	s_and_saveexec_b64 s[8:9], s[4:5]
	s_cbranch_execz .LBB63_15
; %bb.14:
	ds_read2_b64 v[6:9], v0 offset1:32
	v_lshlrev_b32_e32 v1, 3, v2
	ds_read_b128 v[10:13], v1 offset:8192
	ds_read_b128 v[14:17], v1 offset:8208
	ds_read2_b64 v[18:21], v0 offset0:64 offset1:96
	ds_read_b128 v[22:25], v1 offset:8224
	ds_read_b128 v[26:29], v1 offset:8240
	ds_read2_b64 v[30:33], v0 offset0:128 offset1:160
	v_add_u32_e32 v5, 0x800, v0
	s_load_dwordx2 s[0:1], s[0:1], 0x60
	s_waitcnt lgkmcnt(0)
	v_fma_f64 v[2:3], v[6:7], v[10:11], 0
	v_fmac_f64_e32 v[2:3], v[8:9], v[12:13]
	ds_read2_b64 v[6:9], v0 offset0:192 offset1:224
	v_fmac_f64_e32 v[2:3], v[18:19], v[14:15]
	v_fmac_f64_e32 v[2:3], v[20:21], v[16:17]
	;; [unrolled: 1-line block ×4, first 2 shown]
	ds_read2_b64 v[10:13], v5 offset1:32
	ds_read_b128 v[14:17], v1 offset:8256
	s_waitcnt lgkmcnt(2)
	v_fmac_f64_e32 v[2:3], v[6:7], v[26:27]
	v_fmac_f64_e32 v[2:3], v[8:9], v[28:29]
	ds_read2_b64 v[6:9], v5 offset0:64 offset1:96
	ds_read_b128 v[18:21], v1 offset:8272
	ds_read2_b64 v[22:25], v5 offset0:128 offset1:160
	ds_read_b128 v[26:29], v1 offset:8288
	s_waitcnt lgkmcnt(4)
	v_fmac_f64_e32 v[2:3], v[10:11], v[14:15]
	v_fmac_f64_e32 v[2:3], v[12:13], v[16:17]
	ds_read2_b64 v[10:13], v5 offset0:192 offset1:224
	s_waitcnt lgkmcnt(3)
	v_fmac_f64_e32 v[2:3], v[6:7], v[18:19]
	v_fmac_f64_e32 v[2:3], v[8:9], v[20:21]
	ds_read_b128 v[6:9], v1 offset:8304
	s_waitcnt lgkmcnt(2)
	v_fmac_f64_e32 v[2:3], v[22:23], v[26:27]
	v_add_u32_e32 v5, 0x1000, v0
	v_fmac_f64_e32 v[2:3], v[24:25], v[28:29]
	ds_read2_b64 v[14:17], v5 offset1:32
	ds_read_b128 v[18:21], v1 offset:8320
	s_waitcnt lgkmcnt(2)
	v_fmac_f64_e32 v[2:3], v[10:11], v[6:7]
	v_fmac_f64_e32 v[2:3], v[12:13], v[8:9]
	ds_read2_b64 v[6:9], v5 offset0:64 offset1:96
	ds_read_b128 v[10:13], v1 offset:8336
	ds_read2_b64 v[22:25], v5 offset0:128 offset1:160
	ds_read_b128 v[26:29], v1 offset:8352
	s_waitcnt lgkmcnt(4)
	v_fmac_f64_e32 v[2:3], v[14:15], v[18:19]
	v_fmac_f64_e32 v[2:3], v[16:17], v[20:21]
	s_mul_i32 s1, s1, s3
	s_waitcnt lgkmcnt(2)
	v_fmac_f64_e32 v[2:3], v[6:7], v[10:11]
	v_fmac_f64_e32 v[2:3], v[8:9], v[12:13]
	ds_read_b128 v[6:9], v1 offset:8368
	ds_read2_b64 v[10:13], v5 offset0:192 offset1:224
	s_waitcnt lgkmcnt(2)
	v_fmac_f64_e32 v[2:3], v[22:23], v[26:27]
	v_add_u32_e32 v5, 0x1800, v0
	ds_read2_b64 v[14:17], v5 offset1:32
	ds_read_b128 v[18:21], v1 offset:8384
	v_fmac_f64_e32 v[2:3], v[24:25], v[28:29]
	s_mul_hi_u32 s8, s0, s3
	s_waitcnt lgkmcnt(2)
	v_fmac_f64_e32 v[2:3], v[10:11], v[6:7]
	s_mul_i32 s0, s0, s3
	s_add_i32 s1, s8, s1
	v_fmac_f64_e32 v[2:3], v[12:13], v[8:9]
	ds_read_b128 v[6:9], v1 offset:8400
	s_lshl_b64 s[0:1], s[0:1], 3
	s_mul_i32 s4, s22, s12
	s_mul_hi_u32 s5, s22, s2
	s_add_u32 s3, s20, s0
	s_addc_u32 s8, s21, s1
	s_add_i32 s0, s5, s4
	s_mul_i32 s1, s23, s2
	s_waitcnt lgkmcnt(1)
	v_fmac_f64_e32 v[2:3], v[14:15], v[18:19]
	s_add_i32 s1, s0, s1
	s_mul_i32 s0, s22, s2
	v_fmac_f64_e32 v[2:3], v[16:17], v[20:21]
	ds_read2_b64 v[10:13], v5 offset0:64 offset1:96
	ds_read2_b64 v[14:17], v5 offset0:128 offset1:160
	ds_read_b128 v[18:21], v1 offset:8416
	ds_read2_b64 v[22:25], v5 offset0:192 offset1:224
	ds_read_b128 v[26:29], v1 offset:8432
	s_lshl_b64 s[0:1], s[0:1], 3
	s_waitcnt lgkmcnt(4)
	v_fmac_f64_e32 v[2:3], v[10:11], v[6:7]
	s_add_u32 s0, s3, s0
	v_fmac_f64_e32 v[2:3], v[12:13], v[8:9]
	v_mad_u64_u32 v[6:7], s[2:3], s22, v4, 0
	s_waitcnt lgkmcnt(2)
	v_fmac_f64_e32 v[2:3], v[14:15], v[18:19]
	v_mov_b32_e32 v8, v7
	v_fmac_f64_e32 v[2:3], v[16:17], v[20:21]
	v_mad_u64_u32 v[4:5], s[2:3], s23, v4, v[8:9]
	s_addc_u32 s1, s8, s1
	s_waitcnt lgkmcnt(0)
	v_fmac_f64_e32 v[2:3], v[22:23], v[26:27]
	v_mov_b32_e32 v7, v4
	v_fmac_f64_e32 v[2:3], v[24:25], v[28:29]
	v_lshl_add_u64 v[4:5], v[6:7], 3, s[0:1]
	v_mov_b32_e32 v1, 0
	v_mul_f64 v[2:3], s[6:7], v[2:3]
	v_lshl_add_u64 v[0:1], v[4:5], 0, v[0:1]
	global_store_dwordx2 v[0:1], v[2:3], off
.LBB63_15:
	s_endpgm
	.section	.rodata,"a",@progbits
	.p2align	6, 0x0
	.amdhsa_kernel _ZL23rocblas_trmm_lTx_kernelILi32ELb0EddKddEv13rocblas_fill_17rocblas_diagonal_iiT2_lPT3_llS5_llPT4_lli
		.amdhsa_group_segment_fixed_size 16384
		.amdhsa_private_segment_fixed_size 0
		.amdhsa_kernarg_size 108
		.amdhsa_user_sgpr_count 2
		.amdhsa_user_sgpr_dispatch_ptr 0
		.amdhsa_user_sgpr_queue_ptr 0
		.amdhsa_user_sgpr_kernarg_segment_ptr 1
		.amdhsa_user_sgpr_dispatch_id 0
		.amdhsa_user_sgpr_kernarg_preload_length 0
		.amdhsa_user_sgpr_kernarg_preload_offset 0
		.amdhsa_user_sgpr_private_segment_size 0
		.amdhsa_uses_dynamic_stack 0
		.amdhsa_enable_private_segment 0
		.amdhsa_system_sgpr_workgroup_id_x 1
		.amdhsa_system_sgpr_workgroup_id_y 0
		.amdhsa_system_sgpr_workgroup_id_z 1
		.amdhsa_system_sgpr_workgroup_info 0
		.amdhsa_system_vgpr_workitem_id 1
		.amdhsa_next_free_vgpr 34
		.amdhsa_next_free_sgpr 30
		.amdhsa_accum_offset 36
		.amdhsa_reserve_vcc 1
		.amdhsa_float_round_mode_32 0
		.amdhsa_float_round_mode_16_64 0
		.amdhsa_float_denorm_mode_32 3
		.amdhsa_float_denorm_mode_16_64 3
		.amdhsa_dx10_clamp 1
		.amdhsa_ieee_mode 1
		.amdhsa_fp16_overflow 0
		.amdhsa_tg_split 0
		.amdhsa_exception_fp_ieee_invalid_op 0
		.amdhsa_exception_fp_denorm_src 0
		.amdhsa_exception_fp_ieee_div_zero 0
		.amdhsa_exception_fp_ieee_overflow 0
		.amdhsa_exception_fp_ieee_underflow 0
		.amdhsa_exception_fp_ieee_inexact 0
		.amdhsa_exception_int_div_zero 0
	.end_amdhsa_kernel
	.section	.text._ZL23rocblas_trmm_lTx_kernelILi32ELb0EddKddEv13rocblas_fill_17rocblas_diagonal_iiT2_lPT3_llS5_llPT4_lli,"axG",@progbits,_ZL23rocblas_trmm_lTx_kernelILi32ELb0EddKddEv13rocblas_fill_17rocblas_diagonal_iiT2_lPT3_llS5_llPT4_lli,comdat
.Lfunc_end63:
	.size	_ZL23rocblas_trmm_lTx_kernelILi32ELb0EddKddEv13rocblas_fill_17rocblas_diagonal_iiT2_lPT3_llS5_llPT4_lli, .Lfunc_end63-_ZL23rocblas_trmm_lTx_kernelILi32ELb0EddKddEv13rocblas_fill_17rocblas_diagonal_iiT2_lPT3_llS5_llPT4_lli
                                        ; -- End function
	.set _ZL23rocblas_trmm_lTx_kernelILi32ELb0EddKddEv13rocblas_fill_17rocblas_diagonal_iiT2_lPT3_llS5_llPT4_lli.num_vgpr, 34
	.set _ZL23rocblas_trmm_lTx_kernelILi32ELb0EddKddEv13rocblas_fill_17rocblas_diagonal_iiT2_lPT3_llS5_llPT4_lli.num_agpr, 0
	.set _ZL23rocblas_trmm_lTx_kernelILi32ELb0EddKddEv13rocblas_fill_17rocblas_diagonal_iiT2_lPT3_llS5_llPT4_lli.numbered_sgpr, 30
	.set _ZL23rocblas_trmm_lTx_kernelILi32ELb0EddKddEv13rocblas_fill_17rocblas_diagonal_iiT2_lPT3_llS5_llPT4_lli.num_named_barrier, 0
	.set _ZL23rocblas_trmm_lTx_kernelILi32ELb0EddKddEv13rocblas_fill_17rocblas_diagonal_iiT2_lPT3_llS5_llPT4_lli.private_seg_size, 0
	.set _ZL23rocblas_trmm_lTx_kernelILi32ELb0EddKddEv13rocblas_fill_17rocblas_diagonal_iiT2_lPT3_llS5_llPT4_lli.uses_vcc, 1
	.set _ZL23rocblas_trmm_lTx_kernelILi32ELb0EddKddEv13rocblas_fill_17rocblas_diagonal_iiT2_lPT3_llS5_llPT4_lli.uses_flat_scratch, 0
	.set _ZL23rocblas_trmm_lTx_kernelILi32ELb0EddKddEv13rocblas_fill_17rocblas_diagonal_iiT2_lPT3_llS5_llPT4_lli.has_dyn_sized_stack, 0
	.set _ZL23rocblas_trmm_lTx_kernelILi32ELb0EddKddEv13rocblas_fill_17rocblas_diagonal_iiT2_lPT3_llS5_llPT4_lli.has_recursion, 0
	.set _ZL23rocblas_trmm_lTx_kernelILi32ELb0EddKddEv13rocblas_fill_17rocblas_diagonal_iiT2_lPT3_llS5_llPT4_lli.has_indirect_call, 0
	.section	.AMDGPU.csdata,"",@progbits
; Kernel info:
; codeLenInByte = 1188
; TotalNumSgprs: 36
; NumVgprs: 34
; NumAgprs: 0
; TotalNumVgprs: 34
; ScratchSize: 0
; MemoryBound: 0
; FloatMode: 240
; IeeeMode: 1
; LDSByteSize: 16384 bytes/workgroup (compile time only)
; SGPRBlocks: 4
; VGPRBlocks: 4
; NumSGPRsForWavesPerEU: 36
; NumVGPRsForWavesPerEU: 34
; AccumOffset: 36
; Occupancy: 8
; WaveLimiterHint : 0
; COMPUTE_PGM_RSRC2:SCRATCH_EN: 0
; COMPUTE_PGM_RSRC2:USER_SGPR: 2
; COMPUTE_PGM_RSRC2:TRAP_HANDLER: 0
; COMPUTE_PGM_RSRC2:TGID_X_EN: 1
; COMPUTE_PGM_RSRC2:TGID_Y_EN: 0
; COMPUTE_PGM_RSRC2:TGID_Z_EN: 1
; COMPUTE_PGM_RSRC2:TIDIG_COMP_CNT: 1
; COMPUTE_PGM_RSRC3_GFX90A:ACCUM_OFFSET: 8
; COMPUTE_PGM_RSRC3_GFX90A:TG_SPLIT: 0
	.section	.text._ZL23rocblas_trmm_lTx_kernelILi32ELb1EdPKdS0_dEv13rocblas_fill_17rocblas_diagonal_iiT2_lPT3_llS6_llPT4_lli,"axG",@progbits,_ZL23rocblas_trmm_lTx_kernelILi32ELb1EdPKdS0_dEv13rocblas_fill_17rocblas_diagonal_iiT2_lPT3_llS6_llPT4_lli,comdat
	.globl	_ZL23rocblas_trmm_lTx_kernelILi32ELb1EdPKdS0_dEv13rocblas_fill_17rocblas_diagonal_iiT2_lPT3_llS6_llPT4_lli ; -- Begin function _ZL23rocblas_trmm_lTx_kernelILi32ELb1EdPKdS0_dEv13rocblas_fill_17rocblas_diagonal_iiT2_lPT3_llS6_llPT4_lli
	.p2align	8
	.type	_ZL23rocblas_trmm_lTx_kernelILi32ELb1EdPKdS0_dEv13rocblas_fill_17rocblas_diagonal_iiT2_lPT3_llS6_llPT4_lli,@function
_ZL23rocblas_trmm_lTx_kernelILi32ELb1EdPKdS0_dEv13rocblas_fill_17rocblas_diagonal_iiT2_lPT3_llS6_llPT4_lli: ; @_ZL23rocblas_trmm_lTx_kernelILi32ELb1EdPKdS0_dEv13rocblas_fill_17rocblas_diagonal_iiT2_lPT3_llS6_llPT4_lli
; %bb.0:
	s_load_dwordx16 s[4:19], s[0:1], 0x10
	s_waitcnt lgkmcnt(0)
	s_mul_i32 s7, s7, s3
	s_mul_hi_u32 s20, s6, s3
	s_add_i32 s7, s20, s7
	s_mul_i32 s6, s6, s3
	s_lshl_b64 s[6:7], s[6:7], 3
	s_add_u32 s4, s4, s6
	s_addc_u32 s5, s5, s7
	s_load_dwordx2 s[24:25], s[4:5], 0x0
	s_waitcnt lgkmcnt(0)
	v_cmp_eq_f64_e64 s[4:5], s[24:25], 0
	s_and_b64 vcc, exec, s[4:5]
	s_cbranch_vccnz .LBB64_15
; %bb.1:
	s_load_dwordx4 s[20:23], s[0:1], 0x0
	s_mov_b32 s4, 0
	v_bfe_u32 v4, v0, 10, 10
	v_and_b32_e32 v5, 0x3ff, v0
	v_lshlrev_b32_e32 v2, 5, v4
	s_mov_b32 s5, s4
	v_add_lshl_u32 v3, v2, v5, 3
	v_mov_b64_e32 v[0:1], s[4:5]
	s_waitcnt lgkmcnt(0)
	v_cmp_gt_i32_e64 s[4:5], s22, v4
	v_cmp_gt_i32_e32 vcc, s22, v5
	ds_write2st64_b64 v3, v[0:1], v[0:1] offset1:16
	s_and_b64 s[6:7], s[4:5], vcc
	v_lshlrev_b32_e32 v0, 3, v5
	s_waitcnt lgkmcnt(0)
	s_barrier
	s_and_saveexec_b64 s[4:5], s[6:7]
	s_cbranch_execz .LBB64_3
; %bb.2:
	s_mul_i32 s6, s13, s3
	s_mul_hi_u32 s7, s12, s3
	s_add_i32 s7, s7, s6
	s_mul_i32 s6, s12, s3
	s_lshl_b64 s[6:7], s[6:7], 3
	s_add_u32 s6, s8, s6
	s_addc_u32 s7, s9, s7
	v_mad_u64_u32 v[6:7], s[8:9], s10, v4, 0
	v_mov_b32_e32 v8, v7
	v_mad_u64_u32 v[8:9], s[8:9], s11, v4, v[8:9]
	v_mov_b32_e32 v7, v8
	v_lshl_add_u64 v[6:7], v[6:7], 3, s[6:7]
	v_mov_b32_e32 v1, 0
	v_lshl_add_u64 v[6:7], v[6:7], 0, v[0:1]
	global_load_dwordx2 v[6:7], v[6:7], off
	v_lshlrev_b32_e32 v1, 3, v4
	v_lshl_add_u32 v1, v5, 8, v1
	s_waitcnt vmcnt(0)
	ds_write_b64 v1, v[6:7]
.LBB64_3:
	s_or_b64 exec, exec, s[4:5]
	s_add_i32 s4, s23, -1
	s_ashr_i32 s5, s4, 31
	s_lshr_b32 s5, s5, 27
	s_add_i32 s4, s4, s5
	s_ashr_i32 s5, s4, 5
	s_andn2_b32 s4, s4, 31
	s_sub_i32 s4, s23, s4
	s_cmp_ge_i32 s2, s5
	s_cselect_b32 s4, s4, 32
	s_lshl_b32 s2, s2, 5
	v_cmp_gt_i32_e64 s[4:5], s4, v4
	s_ashr_i32 s10, s2, 31
	s_and_b64 s[4:5], vcc, s[4:5]
	s_and_saveexec_b64 s[6:7], s[4:5]
	s_cbranch_execz .LBB64_5
; %bb.4:
	s_mul_i32 s8, s19, s3
	s_mul_hi_u32 s9, s18, s3
	s_add_i32 s9, s9, s8
	s_mul_i32 s8, s18, s3
	s_lshl_b64 s[8:9], s[8:9], 3
	s_add_u32 s11, s14, s8
	s_addc_u32 s12, s15, s9
	s_mul_i32 s8, s16, s10
	s_mul_hi_u32 s9, s16, s2
	s_add_i32 s8, s9, s8
	s_mul_i32 s9, s17, s2
	s_add_i32 s9, s8, s9
	s_mul_i32 s8, s16, s2
	s_lshl_b64 s[8:9], s[8:9], 3
	s_add_u32 s8, s11, s8
	s_addc_u32 s9, s12, s9
	v_mad_u64_u32 v[6:7], s[12:13], s16, v4, 0
	v_mov_b32_e32 v8, v7
	v_mad_u64_u32 v[8:9], s[12:13], s17, v4, v[8:9]
	v_mov_b32_e32 v7, v8
	v_lshl_add_u64 v[6:7], v[6:7], 3, s[8:9]
	v_mov_b32_e32 v1, 0
	v_lshl_add_u64 v[6:7], v[6:7], 0, v[0:1]
	global_load_dwordx2 v[6:7], v[6:7], off
	v_add_u32_e32 v1, 0x2000, v3
	s_waitcnt vmcnt(0)
	ds_write_b64 v1, v[6:7]
.LBB64_5:
	s_or_b64 exec, exec, s[6:7]
	s_cmpk_eq_i32 s21, 0x84
	s_cselect_b64 s[6:7], -1, 0
	v_cmp_eq_u32_e32 vcc, v4, v5
	s_and_b64 s[8:9], vcc, s[6:7]
	s_and_saveexec_b64 s[6:7], s[8:9]
; %bb.6:
	v_mov_b32_e32 v6, 0
	v_mov_b32_e32 v7, 0x3ff00000
	ds_write_b64 v3, v[6:7]
; %bb.7:
	s_or_b64 exec, exec, s[6:7]
	s_cmpk_lg_i32 s20, 0x7a
	s_waitcnt lgkmcnt(0)
	s_barrier
	s_cbranch_scc0 .LBB64_9
; %bb.8:
	v_cmp_lt_u32_e32 vcc, v5, v4
	s_and_b64 s[6:7], vcc, exec
	s_cbranch_execz .LBB64_10
	s_branch .LBB64_11
.LBB64_9:
	s_mov_b64 s[6:7], 0
.LBB64_10:
	v_cmp_gt_u32_e32 vcc, v5, v4
	s_andn2_b64 s[6:7], s[6:7], exec
	s_and_b64 s[8:9], vcc, exec
	s_or_b64 s[6:7], s[6:7], s[8:9]
.LBB64_11:
	s_and_saveexec_b64 s[8:9], s[6:7]
; %bb.12:
	v_mov_b32_e32 v6, 0
	v_mov_b32_e32 v7, v6
	ds_write_b64 v3, v[6:7]
; %bb.13:
	s_or_b64 exec, exec, s[8:9]
	s_waitcnt lgkmcnt(0)
	s_barrier
	s_and_saveexec_b64 s[6:7], s[4:5]
	s_cbranch_execz .LBB64_15
; %bb.14:
	s_load_dwordx2 s[8:9], s[0:1], 0x60
	s_load_dwordx4 s[4:7], s[0:1], 0x50
	ds_read2_b64 v[6:9], v0 offset1:32
	v_lshlrev_b32_e32 v1, 3, v2
	ds_read_b128 v[10:13], v1 offset:8192
	ds_read_b128 v[14:17], v1 offset:8208
	ds_read2_b64 v[18:21], v0 offset0:64 offset1:96
	ds_read_b128 v[22:25], v1 offset:8224
	ds_read_b128 v[26:29], v1 offset:8240
	ds_read2_b64 v[30:33], v0 offset0:128 offset1:160
	v_add_u32_e32 v5, 0x800, v0
	s_waitcnt lgkmcnt(0)
	s_mul_i32 s1, s9, s3
	v_fma_f64 v[2:3], v[6:7], v[10:11], 0
	v_fmac_f64_e32 v[2:3], v[8:9], v[12:13]
	ds_read2_b64 v[6:9], v0 offset0:192 offset1:224
	v_fmac_f64_e32 v[2:3], v[18:19], v[14:15]
	v_fmac_f64_e32 v[2:3], v[20:21], v[16:17]
	;; [unrolled: 1-line block ×4, first 2 shown]
	ds_read2_b64 v[10:13], v5 offset1:32
	ds_read_b128 v[14:17], v1 offset:8256
	s_waitcnt lgkmcnt(2)
	v_fmac_f64_e32 v[2:3], v[6:7], v[26:27]
	v_fmac_f64_e32 v[2:3], v[8:9], v[28:29]
	ds_read2_b64 v[6:9], v5 offset0:64 offset1:96
	ds_read_b128 v[18:21], v1 offset:8272
	ds_read2_b64 v[22:25], v5 offset0:128 offset1:160
	ds_read_b128 v[26:29], v1 offset:8288
	s_waitcnt lgkmcnt(4)
	v_fmac_f64_e32 v[2:3], v[10:11], v[14:15]
	v_fmac_f64_e32 v[2:3], v[12:13], v[16:17]
	ds_read2_b64 v[10:13], v5 offset0:192 offset1:224
	s_waitcnt lgkmcnt(3)
	v_fmac_f64_e32 v[2:3], v[6:7], v[18:19]
	v_fmac_f64_e32 v[2:3], v[8:9], v[20:21]
	ds_read_b128 v[6:9], v1 offset:8304
	s_waitcnt lgkmcnt(2)
	v_fmac_f64_e32 v[2:3], v[22:23], v[26:27]
	v_add_u32_e32 v5, 0x1000, v0
	v_fmac_f64_e32 v[2:3], v[24:25], v[28:29]
	ds_read2_b64 v[14:17], v5 offset1:32
	ds_read_b128 v[18:21], v1 offset:8320
	s_waitcnt lgkmcnt(2)
	v_fmac_f64_e32 v[2:3], v[10:11], v[6:7]
	v_fmac_f64_e32 v[2:3], v[12:13], v[8:9]
	ds_read2_b64 v[6:9], v5 offset0:64 offset1:96
	ds_read_b128 v[10:13], v1 offset:8336
	ds_read2_b64 v[22:25], v5 offset0:128 offset1:160
	ds_read_b128 v[26:29], v1 offset:8352
	s_waitcnt lgkmcnt(4)
	v_fmac_f64_e32 v[2:3], v[14:15], v[18:19]
	v_fmac_f64_e32 v[2:3], v[16:17], v[20:21]
	s_mul_hi_u32 s9, s8, s3
	s_waitcnt lgkmcnt(2)
	v_fmac_f64_e32 v[2:3], v[6:7], v[10:11]
	v_fmac_f64_e32 v[2:3], v[8:9], v[12:13]
	ds_read_b128 v[6:9], v1 offset:8368
	ds_read2_b64 v[10:13], v5 offset0:192 offset1:224
	s_waitcnt lgkmcnt(2)
	v_fmac_f64_e32 v[2:3], v[22:23], v[26:27]
	v_add_u32_e32 v5, 0x1800, v0
	ds_read2_b64 v[14:17], v5 offset1:32
	ds_read_b128 v[18:21], v1 offset:8384
	v_fmac_f64_e32 v[2:3], v[24:25], v[28:29]
	s_waitcnt lgkmcnt(2)
	v_fmac_f64_e32 v[2:3], v[10:11], v[6:7]
	v_fmac_f64_e32 v[2:3], v[12:13], v[8:9]
	ds_read_b128 v[6:9], v1 offset:8400
	s_mul_i32 s0, s8, s3
	s_add_i32 s1, s9, s1
	s_lshl_b64 s[0:1], s[0:1], 3
	s_waitcnt lgkmcnt(1)
	v_fmac_f64_e32 v[2:3], v[14:15], v[18:19]
	s_mul_i32 s3, s6, s10
	s_add_u32 s4, s4, s0
	s_mul_hi_u32 s0, s6, s2
	v_fmac_f64_e32 v[2:3], v[16:17], v[20:21]
	ds_read2_b64 v[10:13], v5 offset0:64 offset1:96
	ds_read2_b64 v[14:17], v5 offset0:128 offset1:160
	ds_read_b128 v[18:21], v1 offset:8416
	ds_read2_b64 v[22:25], v5 offset0:192 offset1:224
	ds_read_b128 v[26:29], v1 offset:8432
	s_addc_u32 s5, s5, s1
	s_add_i32 s0, s0, s3
	s_mul_i32 s1, s7, s2
	s_waitcnt lgkmcnt(4)
	v_fmac_f64_e32 v[2:3], v[10:11], v[6:7]
	s_add_i32 s1, s0, s1
	s_mul_i32 s0, s6, s2
	v_fmac_f64_e32 v[2:3], v[12:13], v[8:9]
	v_mad_u64_u32 v[6:7], s[2:3], s6, v4, 0
	s_lshl_b64 s[0:1], s[0:1], 3
	s_waitcnt lgkmcnt(2)
	v_fmac_f64_e32 v[2:3], v[14:15], v[18:19]
	v_mov_b32_e32 v8, v7
	s_add_u32 s0, s4, s0
	v_fmac_f64_e32 v[2:3], v[16:17], v[20:21]
	v_mad_u64_u32 v[4:5], s[2:3], s7, v4, v[8:9]
	s_addc_u32 s1, s5, s1
	s_waitcnt lgkmcnt(0)
	v_fmac_f64_e32 v[2:3], v[22:23], v[26:27]
	v_mov_b32_e32 v7, v4
	v_fmac_f64_e32 v[2:3], v[24:25], v[28:29]
	v_lshl_add_u64 v[4:5], v[6:7], 3, s[0:1]
	v_mov_b32_e32 v1, 0
	v_mul_f64 v[2:3], s[24:25], v[2:3]
	v_lshl_add_u64 v[0:1], v[4:5], 0, v[0:1]
	global_store_dwordx2 v[0:1], v[2:3], off
.LBB64_15:
	s_endpgm
	.section	.rodata,"a",@progbits
	.p2align	6, 0x0
	.amdhsa_kernel _ZL23rocblas_trmm_lTx_kernelILi32ELb1EdPKdS0_dEv13rocblas_fill_17rocblas_diagonal_iiT2_lPT3_llS6_llPT4_lli
		.amdhsa_group_segment_fixed_size 16384
		.amdhsa_private_segment_fixed_size 0
		.amdhsa_kernarg_size 108
		.amdhsa_user_sgpr_count 2
		.amdhsa_user_sgpr_dispatch_ptr 0
		.amdhsa_user_sgpr_queue_ptr 0
		.amdhsa_user_sgpr_kernarg_segment_ptr 1
		.amdhsa_user_sgpr_dispatch_id 0
		.amdhsa_user_sgpr_kernarg_preload_length 0
		.amdhsa_user_sgpr_kernarg_preload_offset 0
		.amdhsa_user_sgpr_private_segment_size 0
		.amdhsa_uses_dynamic_stack 0
		.amdhsa_enable_private_segment 0
		.amdhsa_system_sgpr_workgroup_id_x 1
		.amdhsa_system_sgpr_workgroup_id_y 0
		.amdhsa_system_sgpr_workgroup_id_z 1
		.amdhsa_system_sgpr_workgroup_info 0
		.amdhsa_system_vgpr_workitem_id 1
		.amdhsa_next_free_vgpr 34
		.amdhsa_next_free_sgpr 26
		.amdhsa_accum_offset 36
		.amdhsa_reserve_vcc 1
		.amdhsa_float_round_mode_32 0
		.amdhsa_float_round_mode_16_64 0
		.amdhsa_float_denorm_mode_32 3
		.amdhsa_float_denorm_mode_16_64 3
		.amdhsa_dx10_clamp 1
		.amdhsa_ieee_mode 1
		.amdhsa_fp16_overflow 0
		.amdhsa_tg_split 0
		.amdhsa_exception_fp_ieee_invalid_op 0
		.amdhsa_exception_fp_denorm_src 0
		.amdhsa_exception_fp_ieee_div_zero 0
		.amdhsa_exception_fp_ieee_overflow 0
		.amdhsa_exception_fp_ieee_underflow 0
		.amdhsa_exception_fp_ieee_inexact 0
		.amdhsa_exception_int_div_zero 0
	.end_amdhsa_kernel
	.section	.text._ZL23rocblas_trmm_lTx_kernelILi32ELb1EdPKdS0_dEv13rocblas_fill_17rocblas_diagonal_iiT2_lPT3_llS6_llPT4_lli,"axG",@progbits,_ZL23rocblas_trmm_lTx_kernelILi32ELb1EdPKdS0_dEv13rocblas_fill_17rocblas_diagonal_iiT2_lPT3_llS6_llPT4_lli,comdat
.Lfunc_end64:
	.size	_ZL23rocblas_trmm_lTx_kernelILi32ELb1EdPKdS0_dEv13rocblas_fill_17rocblas_diagonal_iiT2_lPT3_llS6_llPT4_lli, .Lfunc_end64-_ZL23rocblas_trmm_lTx_kernelILi32ELb1EdPKdS0_dEv13rocblas_fill_17rocblas_diagonal_iiT2_lPT3_llS6_llPT4_lli
                                        ; -- End function
	.set _ZL23rocblas_trmm_lTx_kernelILi32ELb1EdPKdS0_dEv13rocblas_fill_17rocblas_diagonal_iiT2_lPT3_llS6_llPT4_lli.num_vgpr, 34
	.set _ZL23rocblas_trmm_lTx_kernelILi32ELb1EdPKdS0_dEv13rocblas_fill_17rocblas_diagonal_iiT2_lPT3_llS6_llPT4_lli.num_agpr, 0
	.set _ZL23rocblas_trmm_lTx_kernelILi32ELb1EdPKdS0_dEv13rocblas_fill_17rocblas_diagonal_iiT2_lPT3_llS6_llPT4_lli.numbered_sgpr, 26
	.set _ZL23rocblas_trmm_lTx_kernelILi32ELb1EdPKdS0_dEv13rocblas_fill_17rocblas_diagonal_iiT2_lPT3_llS6_llPT4_lli.num_named_barrier, 0
	.set _ZL23rocblas_trmm_lTx_kernelILi32ELb1EdPKdS0_dEv13rocblas_fill_17rocblas_diagonal_iiT2_lPT3_llS6_llPT4_lli.private_seg_size, 0
	.set _ZL23rocblas_trmm_lTx_kernelILi32ELb1EdPKdS0_dEv13rocblas_fill_17rocblas_diagonal_iiT2_lPT3_llS6_llPT4_lli.uses_vcc, 1
	.set _ZL23rocblas_trmm_lTx_kernelILi32ELb1EdPKdS0_dEv13rocblas_fill_17rocblas_diagonal_iiT2_lPT3_llS6_llPT4_lli.uses_flat_scratch, 0
	.set _ZL23rocblas_trmm_lTx_kernelILi32ELb1EdPKdS0_dEv13rocblas_fill_17rocblas_diagonal_iiT2_lPT3_llS6_llPT4_lli.has_dyn_sized_stack, 0
	.set _ZL23rocblas_trmm_lTx_kernelILi32ELb1EdPKdS0_dEv13rocblas_fill_17rocblas_diagonal_iiT2_lPT3_llS6_llPT4_lli.has_recursion, 0
	.set _ZL23rocblas_trmm_lTx_kernelILi32ELb1EdPKdS0_dEv13rocblas_fill_17rocblas_diagonal_iiT2_lPT3_llS6_llPT4_lli.has_indirect_call, 0
	.section	.AMDGPU.csdata,"",@progbits
; Kernel info:
; codeLenInByte = 1228
; TotalNumSgprs: 32
; NumVgprs: 34
; NumAgprs: 0
; TotalNumVgprs: 34
; ScratchSize: 0
; MemoryBound: 0
; FloatMode: 240
; IeeeMode: 1
; LDSByteSize: 16384 bytes/workgroup (compile time only)
; SGPRBlocks: 3
; VGPRBlocks: 4
; NumSGPRsForWavesPerEU: 32
; NumVGPRsForWavesPerEU: 34
; AccumOffset: 36
; Occupancy: 8
; WaveLimiterHint : 0
; COMPUTE_PGM_RSRC2:SCRATCH_EN: 0
; COMPUTE_PGM_RSRC2:USER_SGPR: 2
; COMPUTE_PGM_RSRC2:TRAP_HANDLER: 0
; COMPUTE_PGM_RSRC2:TGID_X_EN: 1
; COMPUTE_PGM_RSRC2:TGID_Y_EN: 0
; COMPUTE_PGM_RSRC2:TGID_Z_EN: 1
; COMPUTE_PGM_RSRC2:TIDIG_COMP_CNT: 1
; COMPUTE_PGM_RSRC3_GFX90A:ACCUM_OFFSET: 8
; COMPUTE_PGM_RSRC3_GFX90A:TG_SPLIT: 0
	.section	.text._ZL23rocblas_trmm_lTx_kernelILi32ELb1EddKddEv13rocblas_fill_17rocblas_diagonal_iiT2_lPT3_llS5_llPT4_lli,"axG",@progbits,_ZL23rocblas_trmm_lTx_kernelILi32ELb1EddKddEv13rocblas_fill_17rocblas_diagonal_iiT2_lPT3_llS5_llPT4_lli,comdat
	.globl	_ZL23rocblas_trmm_lTx_kernelILi32ELb1EddKddEv13rocblas_fill_17rocblas_diagonal_iiT2_lPT3_llS5_llPT4_lli ; -- Begin function _ZL23rocblas_trmm_lTx_kernelILi32ELb1EddKddEv13rocblas_fill_17rocblas_diagonal_iiT2_lPT3_llS5_llPT4_lli
	.p2align	8
	.type	_ZL23rocblas_trmm_lTx_kernelILi32ELb1EddKddEv13rocblas_fill_17rocblas_diagonal_iiT2_lPT3_llS5_llPT4_lli,@function
_ZL23rocblas_trmm_lTx_kernelILi32ELb1EddKddEv13rocblas_fill_17rocblas_diagonal_iiT2_lPT3_llS5_llPT4_lli: ; @_ZL23rocblas_trmm_lTx_kernelILi32ELb1EddKddEv13rocblas_fill_17rocblas_diagonal_iiT2_lPT3_llS5_llPT4_lli
; %bb.0:
	s_load_dwordx2 s[6:7], s[0:1], 0x10
	s_waitcnt lgkmcnt(0)
	v_cmp_eq_f64_e64 s[4:5], s[6:7], 0
	s_and_b64 vcc, exec, s[4:5]
	s_cbranch_vccnz .LBB65_15
; %bb.1:
	s_load_dwordx4 s[24:27], s[0:1], 0x0
	s_load_dwordx16 s[8:23], s[0:1], 0x20
	v_bfe_u32 v4, v0, 10, 10
	s_mov_b32 s4, 0
	v_and_b32_e32 v5, 0x3ff, v0
	v_lshlrev_b32_e32 v2, 5, v4
	s_mov_b32 s5, s4
	v_add_lshl_u32 v3, v2, v5, 3
	v_mov_b64_e32 v[0:1], s[4:5]
	s_waitcnt lgkmcnt(0)
	v_cmp_gt_i32_e64 s[4:5], s26, v4
	v_cmp_gt_i32_e32 vcc, s26, v5
	ds_write2st64_b64 v3, v[0:1], v[0:1] offset1:16
	s_and_b64 s[28:29], s[4:5], vcc
	v_lshlrev_b32_e32 v0, 3, v5
	s_waitcnt lgkmcnt(0)
	s_barrier
	s_and_saveexec_b64 s[4:5], s[28:29]
	s_cbranch_execz .LBB65_3
; %bb.2:
	s_mul_i32 s13, s13, s3
	s_mul_hi_u32 s26, s12, s3
	s_add_i32 s13, s26, s13
	s_mul_i32 s12, s12, s3
	s_lshl_b64 s[12:13], s[12:13], 3
	s_add_u32 s8, s8, s12
	s_addc_u32 s9, s9, s13
	v_mad_u64_u32 v[6:7], s[12:13], s10, v4, 0
	v_mov_b32_e32 v8, v7
	v_mad_u64_u32 v[8:9], s[10:11], s11, v4, v[8:9]
	v_mov_b32_e32 v7, v8
	v_lshl_add_u64 v[6:7], v[6:7], 3, s[8:9]
	v_mov_b32_e32 v1, 0
	v_lshl_add_u64 v[6:7], v[6:7], 0, v[0:1]
	global_load_dwordx2 v[6:7], v[6:7], off
	v_lshlrev_b32_e32 v1, 3, v4
	v_lshl_add_u32 v1, v5, 8, v1
	s_waitcnt vmcnt(0)
	ds_write_b64 v1, v[6:7]
.LBB65_3:
	s_or_b64 exec, exec, s[4:5]
	s_add_i32 s4, s27, -1
	s_ashr_i32 s5, s4, 31
	s_lshr_b32 s5, s5, 27
	s_add_i32 s4, s4, s5
	s_ashr_i32 s5, s4, 5
	s_andn2_b32 s4, s4, 31
	s_sub_i32 s4, s27, s4
	s_cmp_ge_i32 s2, s5
	s_cselect_b32 s4, s4, 32
	s_lshl_b32 s2, s2, 5
	v_cmp_gt_i32_e64 s[4:5], s4, v4
	s_ashr_i32 s12, s2, 31
	s_and_b64 s[4:5], vcc, s[4:5]
	s_and_saveexec_b64 s[8:9], s[4:5]
	s_cbranch_execz .LBB65_5
; %bb.4:
	s_mul_i32 s10, s19, s3
	s_mul_hi_u32 s11, s18, s3
	s_add_i32 s11, s11, s10
	s_mul_i32 s10, s18, s3
	s_lshl_b64 s[10:11], s[10:11], 3
	s_add_u32 s13, s14, s10
	s_addc_u32 s14, s15, s11
	s_mul_i32 s10, s16, s12
	s_mul_hi_u32 s11, s16, s2
	s_add_i32 s10, s11, s10
	s_mul_i32 s11, s17, s2
	s_add_i32 s11, s10, s11
	s_mul_i32 s10, s16, s2
	s_lshl_b64 s[10:11], s[10:11], 3
	s_add_u32 s10, s13, s10
	s_addc_u32 s11, s14, s11
	v_mad_u64_u32 v[6:7], s[14:15], s16, v4, 0
	v_mov_b32_e32 v8, v7
	v_mad_u64_u32 v[8:9], s[14:15], s17, v4, v[8:9]
	v_mov_b32_e32 v7, v8
	v_lshl_add_u64 v[6:7], v[6:7], 3, s[10:11]
	v_mov_b32_e32 v1, 0
	v_lshl_add_u64 v[6:7], v[6:7], 0, v[0:1]
	global_load_dwordx2 v[6:7], v[6:7], off
	v_add_u32_e32 v1, 0x2000, v3
	s_waitcnt vmcnt(0)
	ds_write_b64 v1, v[6:7]
.LBB65_5:
	s_or_b64 exec, exec, s[8:9]
	s_cmpk_eq_i32 s25, 0x84
	s_cselect_b64 s[8:9], -1, 0
	v_cmp_eq_u32_e32 vcc, v4, v5
	s_and_b64 s[10:11], vcc, s[8:9]
	s_and_saveexec_b64 s[8:9], s[10:11]
; %bb.6:
	v_mov_b32_e32 v6, 0
	v_mov_b32_e32 v7, 0x3ff00000
	ds_write_b64 v3, v[6:7]
; %bb.7:
	s_or_b64 exec, exec, s[8:9]
	s_cmpk_lg_i32 s24, 0x7a
	s_waitcnt lgkmcnt(0)
	s_barrier
	s_cbranch_scc0 .LBB65_9
; %bb.8:
	v_cmp_lt_u32_e32 vcc, v5, v4
	s_and_b64 s[8:9], vcc, exec
	s_cbranch_execz .LBB65_10
	s_branch .LBB65_11
.LBB65_9:
	s_mov_b64 s[8:9], 0
.LBB65_10:
	v_cmp_gt_u32_e32 vcc, v5, v4
	s_andn2_b64 s[8:9], s[8:9], exec
	s_and_b64 s[10:11], vcc, exec
	s_or_b64 s[8:9], s[8:9], s[10:11]
.LBB65_11:
	s_and_saveexec_b64 s[10:11], s[8:9]
; %bb.12:
	v_mov_b32_e32 v6, 0
	v_mov_b32_e32 v7, v6
	ds_write_b64 v3, v[6:7]
; %bb.13:
	s_or_b64 exec, exec, s[10:11]
	s_waitcnt lgkmcnt(0)
	s_barrier
	s_and_saveexec_b64 s[8:9], s[4:5]
	s_cbranch_execz .LBB65_15
; %bb.14:
	ds_read2_b64 v[6:9], v0 offset1:32
	v_lshlrev_b32_e32 v1, 3, v2
	ds_read_b128 v[10:13], v1 offset:8192
	ds_read_b128 v[14:17], v1 offset:8208
	ds_read2_b64 v[18:21], v0 offset0:64 offset1:96
	ds_read_b128 v[22:25], v1 offset:8224
	ds_read_b128 v[26:29], v1 offset:8240
	ds_read2_b64 v[30:33], v0 offset0:128 offset1:160
	v_add_u32_e32 v5, 0x800, v0
	s_load_dwordx2 s[0:1], s[0:1], 0x60
	s_waitcnt lgkmcnt(0)
	v_fma_f64 v[2:3], v[6:7], v[10:11], 0
	v_fmac_f64_e32 v[2:3], v[8:9], v[12:13]
	ds_read2_b64 v[6:9], v0 offset0:192 offset1:224
	v_fmac_f64_e32 v[2:3], v[18:19], v[14:15]
	v_fmac_f64_e32 v[2:3], v[20:21], v[16:17]
	;; [unrolled: 1-line block ×4, first 2 shown]
	ds_read2_b64 v[10:13], v5 offset1:32
	ds_read_b128 v[14:17], v1 offset:8256
	s_waitcnt lgkmcnt(2)
	v_fmac_f64_e32 v[2:3], v[6:7], v[26:27]
	v_fmac_f64_e32 v[2:3], v[8:9], v[28:29]
	ds_read2_b64 v[6:9], v5 offset0:64 offset1:96
	ds_read_b128 v[18:21], v1 offset:8272
	ds_read2_b64 v[22:25], v5 offset0:128 offset1:160
	ds_read_b128 v[26:29], v1 offset:8288
	s_waitcnt lgkmcnt(4)
	v_fmac_f64_e32 v[2:3], v[10:11], v[14:15]
	v_fmac_f64_e32 v[2:3], v[12:13], v[16:17]
	ds_read2_b64 v[10:13], v5 offset0:192 offset1:224
	s_waitcnt lgkmcnt(3)
	v_fmac_f64_e32 v[2:3], v[6:7], v[18:19]
	v_fmac_f64_e32 v[2:3], v[8:9], v[20:21]
	ds_read_b128 v[6:9], v1 offset:8304
	s_waitcnt lgkmcnt(2)
	v_fmac_f64_e32 v[2:3], v[22:23], v[26:27]
	v_add_u32_e32 v5, 0x1000, v0
	v_fmac_f64_e32 v[2:3], v[24:25], v[28:29]
	ds_read2_b64 v[14:17], v5 offset1:32
	ds_read_b128 v[18:21], v1 offset:8320
	s_waitcnt lgkmcnt(2)
	v_fmac_f64_e32 v[2:3], v[10:11], v[6:7]
	v_fmac_f64_e32 v[2:3], v[12:13], v[8:9]
	ds_read2_b64 v[6:9], v5 offset0:64 offset1:96
	ds_read_b128 v[10:13], v1 offset:8336
	ds_read2_b64 v[22:25], v5 offset0:128 offset1:160
	ds_read_b128 v[26:29], v1 offset:8352
	s_waitcnt lgkmcnt(4)
	v_fmac_f64_e32 v[2:3], v[14:15], v[18:19]
	v_fmac_f64_e32 v[2:3], v[16:17], v[20:21]
	s_mul_i32 s1, s1, s3
	s_waitcnt lgkmcnt(2)
	v_fmac_f64_e32 v[2:3], v[6:7], v[10:11]
	v_fmac_f64_e32 v[2:3], v[8:9], v[12:13]
	ds_read_b128 v[6:9], v1 offset:8368
	ds_read2_b64 v[10:13], v5 offset0:192 offset1:224
	s_waitcnt lgkmcnt(2)
	v_fmac_f64_e32 v[2:3], v[22:23], v[26:27]
	v_add_u32_e32 v5, 0x1800, v0
	ds_read2_b64 v[14:17], v5 offset1:32
	ds_read_b128 v[18:21], v1 offset:8384
	v_fmac_f64_e32 v[2:3], v[24:25], v[28:29]
	s_mul_hi_u32 s8, s0, s3
	s_waitcnt lgkmcnt(2)
	v_fmac_f64_e32 v[2:3], v[10:11], v[6:7]
	s_mul_i32 s0, s0, s3
	s_add_i32 s1, s8, s1
	v_fmac_f64_e32 v[2:3], v[12:13], v[8:9]
	ds_read_b128 v[6:9], v1 offset:8400
	s_lshl_b64 s[0:1], s[0:1], 3
	s_mul_i32 s4, s22, s12
	s_mul_hi_u32 s5, s22, s2
	s_add_u32 s3, s20, s0
	s_addc_u32 s8, s21, s1
	s_add_i32 s0, s5, s4
	s_mul_i32 s1, s23, s2
	s_waitcnt lgkmcnt(1)
	v_fmac_f64_e32 v[2:3], v[14:15], v[18:19]
	s_add_i32 s1, s0, s1
	s_mul_i32 s0, s22, s2
	v_fmac_f64_e32 v[2:3], v[16:17], v[20:21]
	ds_read2_b64 v[10:13], v5 offset0:64 offset1:96
	ds_read2_b64 v[14:17], v5 offset0:128 offset1:160
	ds_read_b128 v[18:21], v1 offset:8416
	ds_read2_b64 v[22:25], v5 offset0:192 offset1:224
	ds_read_b128 v[26:29], v1 offset:8432
	s_lshl_b64 s[0:1], s[0:1], 3
	s_waitcnt lgkmcnt(4)
	v_fmac_f64_e32 v[2:3], v[10:11], v[6:7]
	s_add_u32 s0, s3, s0
	v_fmac_f64_e32 v[2:3], v[12:13], v[8:9]
	v_mad_u64_u32 v[6:7], s[2:3], s22, v4, 0
	s_waitcnt lgkmcnt(2)
	v_fmac_f64_e32 v[2:3], v[14:15], v[18:19]
	v_mov_b32_e32 v8, v7
	v_fmac_f64_e32 v[2:3], v[16:17], v[20:21]
	v_mad_u64_u32 v[4:5], s[2:3], s23, v4, v[8:9]
	s_addc_u32 s1, s8, s1
	s_waitcnt lgkmcnt(0)
	v_fmac_f64_e32 v[2:3], v[22:23], v[26:27]
	v_mov_b32_e32 v7, v4
	v_fmac_f64_e32 v[2:3], v[24:25], v[28:29]
	v_lshl_add_u64 v[4:5], v[6:7], 3, s[0:1]
	v_mov_b32_e32 v1, 0
	v_mul_f64 v[2:3], s[6:7], v[2:3]
	v_lshl_add_u64 v[0:1], v[4:5], 0, v[0:1]
	global_store_dwordx2 v[0:1], v[2:3], off
.LBB65_15:
	s_endpgm
	.section	.rodata,"a",@progbits
	.p2align	6, 0x0
	.amdhsa_kernel _ZL23rocblas_trmm_lTx_kernelILi32ELb1EddKddEv13rocblas_fill_17rocblas_diagonal_iiT2_lPT3_llS5_llPT4_lli
		.amdhsa_group_segment_fixed_size 16384
		.amdhsa_private_segment_fixed_size 0
		.amdhsa_kernarg_size 108
		.amdhsa_user_sgpr_count 2
		.amdhsa_user_sgpr_dispatch_ptr 0
		.amdhsa_user_sgpr_queue_ptr 0
		.amdhsa_user_sgpr_kernarg_segment_ptr 1
		.amdhsa_user_sgpr_dispatch_id 0
		.amdhsa_user_sgpr_kernarg_preload_length 0
		.amdhsa_user_sgpr_kernarg_preload_offset 0
		.amdhsa_user_sgpr_private_segment_size 0
		.amdhsa_uses_dynamic_stack 0
		.amdhsa_enable_private_segment 0
		.amdhsa_system_sgpr_workgroup_id_x 1
		.amdhsa_system_sgpr_workgroup_id_y 0
		.amdhsa_system_sgpr_workgroup_id_z 1
		.amdhsa_system_sgpr_workgroup_info 0
		.amdhsa_system_vgpr_workitem_id 1
		.amdhsa_next_free_vgpr 34
		.amdhsa_next_free_sgpr 30
		.amdhsa_accum_offset 36
		.amdhsa_reserve_vcc 1
		.amdhsa_float_round_mode_32 0
		.amdhsa_float_round_mode_16_64 0
		.amdhsa_float_denorm_mode_32 3
		.amdhsa_float_denorm_mode_16_64 3
		.amdhsa_dx10_clamp 1
		.amdhsa_ieee_mode 1
		.amdhsa_fp16_overflow 0
		.amdhsa_tg_split 0
		.amdhsa_exception_fp_ieee_invalid_op 0
		.amdhsa_exception_fp_denorm_src 0
		.amdhsa_exception_fp_ieee_div_zero 0
		.amdhsa_exception_fp_ieee_overflow 0
		.amdhsa_exception_fp_ieee_underflow 0
		.amdhsa_exception_fp_ieee_inexact 0
		.amdhsa_exception_int_div_zero 0
	.end_amdhsa_kernel
	.section	.text._ZL23rocblas_trmm_lTx_kernelILi32ELb1EddKddEv13rocblas_fill_17rocblas_diagonal_iiT2_lPT3_llS5_llPT4_lli,"axG",@progbits,_ZL23rocblas_trmm_lTx_kernelILi32ELb1EddKddEv13rocblas_fill_17rocblas_diagonal_iiT2_lPT3_llS5_llPT4_lli,comdat
.Lfunc_end65:
	.size	_ZL23rocblas_trmm_lTx_kernelILi32ELb1EddKddEv13rocblas_fill_17rocblas_diagonal_iiT2_lPT3_llS5_llPT4_lli, .Lfunc_end65-_ZL23rocblas_trmm_lTx_kernelILi32ELb1EddKddEv13rocblas_fill_17rocblas_diagonal_iiT2_lPT3_llS5_llPT4_lli
                                        ; -- End function
	.set _ZL23rocblas_trmm_lTx_kernelILi32ELb1EddKddEv13rocblas_fill_17rocblas_diagonal_iiT2_lPT3_llS5_llPT4_lli.num_vgpr, 34
	.set _ZL23rocblas_trmm_lTx_kernelILi32ELb1EddKddEv13rocblas_fill_17rocblas_diagonal_iiT2_lPT3_llS5_llPT4_lli.num_agpr, 0
	.set _ZL23rocblas_trmm_lTx_kernelILi32ELb1EddKddEv13rocblas_fill_17rocblas_diagonal_iiT2_lPT3_llS5_llPT4_lli.numbered_sgpr, 30
	.set _ZL23rocblas_trmm_lTx_kernelILi32ELb1EddKddEv13rocblas_fill_17rocblas_diagonal_iiT2_lPT3_llS5_llPT4_lli.num_named_barrier, 0
	.set _ZL23rocblas_trmm_lTx_kernelILi32ELb1EddKddEv13rocblas_fill_17rocblas_diagonal_iiT2_lPT3_llS5_llPT4_lli.private_seg_size, 0
	.set _ZL23rocblas_trmm_lTx_kernelILi32ELb1EddKddEv13rocblas_fill_17rocblas_diagonal_iiT2_lPT3_llS5_llPT4_lli.uses_vcc, 1
	.set _ZL23rocblas_trmm_lTx_kernelILi32ELb1EddKddEv13rocblas_fill_17rocblas_diagonal_iiT2_lPT3_llS5_llPT4_lli.uses_flat_scratch, 0
	.set _ZL23rocblas_trmm_lTx_kernelILi32ELb1EddKddEv13rocblas_fill_17rocblas_diagonal_iiT2_lPT3_llS5_llPT4_lli.has_dyn_sized_stack, 0
	.set _ZL23rocblas_trmm_lTx_kernelILi32ELb1EddKddEv13rocblas_fill_17rocblas_diagonal_iiT2_lPT3_llS5_llPT4_lli.has_recursion, 0
	.set _ZL23rocblas_trmm_lTx_kernelILi32ELb1EddKddEv13rocblas_fill_17rocblas_diagonal_iiT2_lPT3_llS5_llPT4_lli.has_indirect_call, 0
	.section	.AMDGPU.csdata,"",@progbits
; Kernel info:
; codeLenInByte = 1188
; TotalNumSgprs: 36
; NumVgprs: 34
; NumAgprs: 0
; TotalNumVgprs: 34
; ScratchSize: 0
; MemoryBound: 0
; FloatMode: 240
; IeeeMode: 1
; LDSByteSize: 16384 bytes/workgroup (compile time only)
; SGPRBlocks: 4
; VGPRBlocks: 4
; NumSGPRsForWavesPerEU: 36
; NumVGPRsForWavesPerEU: 34
; AccumOffset: 36
; Occupancy: 8
; WaveLimiterHint : 0
; COMPUTE_PGM_RSRC2:SCRATCH_EN: 0
; COMPUTE_PGM_RSRC2:USER_SGPR: 2
; COMPUTE_PGM_RSRC2:TRAP_HANDLER: 0
; COMPUTE_PGM_RSRC2:TGID_X_EN: 1
; COMPUTE_PGM_RSRC2:TGID_Y_EN: 0
; COMPUTE_PGM_RSRC2:TGID_Z_EN: 1
; COMPUTE_PGM_RSRC2:TIDIG_COMP_CNT: 1
; COMPUTE_PGM_RSRC3_GFX90A:ACCUM_OFFSET: 8
; COMPUTE_PGM_RSRC3_GFX90A:TG_SPLIT: 0
	.section	.text._ZL23rocblas_trmm_rNx_kernelILi32EdPKdS0_dEv13rocblas_fill_17rocblas_diagonal_iiT1_lPT2_llS6_llPT3_lli,"axG",@progbits,_ZL23rocblas_trmm_rNx_kernelILi32EdPKdS0_dEv13rocblas_fill_17rocblas_diagonal_iiT1_lPT2_llS6_llPT3_lli,comdat
	.globl	_ZL23rocblas_trmm_rNx_kernelILi32EdPKdS0_dEv13rocblas_fill_17rocblas_diagonal_iiT1_lPT2_llS6_llPT3_lli ; -- Begin function _ZL23rocblas_trmm_rNx_kernelILi32EdPKdS0_dEv13rocblas_fill_17rocblas_diagonal_iiT1_lPT2_llS6_llPT3_lli
	.p2align	8
	.type	_ZL23rocblas_trmm_rNx_kernelILi32EdPKdS0_dEv13rocblas_fill_17rocblas_diagonal_iiT1_lPT2_llS6_llPT3_lli,@function
_ZL23rocblas_trmm_rNx_kernelILi32EdPKdS0_dEv13rocblas_fill_17rocblas_diagonal_iiT1_lPT2_llS6_llPT3_lli: ; @_ZL23rocblas_trmm_rNx_kernelILi32EdPKdS0_dEv13rocblas_fill_17rocblas_diagonal_iiT1_lPT2_llS6_llPT3_lli
; %bb.0:
	s_load_dwordx16 s[4:19], s[0:1], 0x10
	s_waitcnt lgkmcnt(0)
	s_mul_i32 s7, s7, s3
	s_mul_hi_u32 s20, s6, s3
	s_add_i32 s7, s20, s7
	s_mul_i32 s6, s6, s3
	s_lshl_b64 s[6:7], s[6:7], 3
	s_add_u32 s4, s4, s6
	s_addc_u32 s5, s5, s7
	s_load_dwordx2 s[24:25], s[4:5], 0x0
	s_waitcnt lgkmcnt(0)
	v_cmp_eq_f64_e64 s[4:5], s[24:25], 0
	s_and_b64 vcc, exec, s[4:5]
	s_cbranch_vccnz .LBB66_15
; %bb.1:
	s_load_dwordx4 s[20:23], s[0:1], 0x0
	s_mov_b32 s4, 0
	v_bfe_u32 v4, v0, 10, 10
	v_and_b32_e32 v5, 0x3ff, v0
	v_lshlrev_b32_e32 v2, 5, v4
	s_mov_b32 s5, s4
	v_add_lshl_u32 v3, v2, v5, 3
	v_mov_b64_e32 v[0:1], s[4:5]
	s_waitcnt lgkmcnt(0)
	v_cmp_gt_i32_e32 vcc, s23, v4
	v_cmp_gt_i32_e64 s[4:5], s23, v5
	ds_write2st64_b64 v3, v[0:1], v[0:1] offset1:16
	s_and_b64 s[6:7], vcc, s[4:5]
	v_lshlrev_b32_e32 v0, 3, v5
	s_and_saveexec_b64 s[4:5], s[6:7]
	s_cbranch_execz .LBB66_3
; %bb.2:
	s_mul_i32 s6, s13, s3
	s_mul_hi_u32 s7, s12, s3
	s_add_i32 s7, s7, s6
	s_mul_i32 s6, s12, s3
	s_lshl_b64 s[6:7], s[6:7], 3
	s_add_u32 s6, s8, s6
	s_addc_u32 s7, s9, s7
	v_mad_u64_u32 v[6:7], s[8:9], s10, v4, 0
	v_mov_b32_e32 v8, v7
	v_mad_u64_u32 v[8:9], s[8:9], s11, v4, v[8:9]
	v_mov_b32_e32 v7, v8
	v_lshl_add_u64 v[6:7], v[6:7], 3, s[6:7]
	v_mov_b32_e32 v1, 0
	v_lshl_add_u64 v[6:7], v[6:7], 0, v[0:1]
	global_load_dwordx2 v[6:7], v[6:7], off
	s_waitcnt vmcnt(0)
	ds_write_b64 v3, v[6:7]
.LBB66_3:
	s_or_b64 exec, exec, s[4:5]
	s_add_i32 s4, s22, -1
	s_ashr_i32 s5, s4, 31
	s_lshr_b32 s5, s5, 27
	s_add_i32 s4, s4, s5
	s_ashr_i32 s5, s4, 5
	s_andn2_b32 s4, s4, 31
	s_sub_i32 s4, s22, s4
	s_cmp_ge_i32 s2, s5
	s_cselect_b32 s4, s4, 32
	s_lshl_b32 s8, s2, 5
	v_cmp_gt_i32_e64 s[4:5], s4, v5
	s_ashr_i32 s9, s8, 31
	s_and_b64 s[4:5], vcc, s[4:5]
	s_and_saveexec_b64 s[6:7], s[4:5]
	s_cbranch_execz .LBB66_5
; %bb.4:
	s_mul_i32 s2, s19, s3
	s_mul_hi_u32 s10, s18, s3
	s_add_i32 s11, s10, s2
	s_mul_i32 s10, s18, s3
	s_lshl_b64 s[10:11], s[10:11], 3
	s_add_u32 s2, s14, s10
	s_addc_u32 s12, s15, s11
	s_lshl_b64 s[10:11], s[8:9], 3
	s_add_u32 s10, s2, s10
	s_addc_u32 s11, s12, s11
	v_mad_u64_u32 v[6:7], s[12:13], s16, v4, 0
	v_mov_b32_e32 v8, v7
	v_mad_u64_u32 v[8:9], s[12:13], s17, v4, v[8:9]
	v_mov_b32_e32 v7, v8
	v_lshl_add_u64 v[6:7], v[6:7], 3, s[10:11]
	v_mov_b32_e32 v1, 0
	v_lshl_add_u64 v[6:7], v[6:7], 0, v[0:1]
	global_load_dwordx2 v[6:7], v[6:7], off
	v_add_u32_e32 v1, 0x2000, v3
	s_waitcnt vmcnt(0)
	ds_write_b64 v1, v[6:7]
.LBB66_5:
	s_or_b64 exec, exec, s[6:7]
	s_cmpk_eq_i32 s21, 0x84
	s_cselect_b64 s[6:7], -1, 0
	v_cmp_eq_u32_e32 vcc, v4, v5
	s_and_b64 s[10:11], vcc, s[6:7]
	s_and_saveexec_b64 s[6:7], s[10:11]
; %bb.6:
	v_mov_b32_e32 v6, 0
	v_mov_b32_e32 v7, 0x3ff00000
	ds_write_b64 v3, v[6:7]
; %bb.7:
	s_or_b64 exec, exec, s[6:7]
	s_cmpk_lg_i32 s20, 0x79
	s_cbranch_scc0 .LBB66_9
; %bb.8:
	v_cmp_lt_u32_e32 vcc, v5, v4
	s_and_b64 s[6:7], vcc, exec
	s_cbranch_execz .LBB66_10
	s_branch .LBB66_11
.LBB66_9:
	s_mov_b64 s[6:7], 0
.LBB66_10:
	v_cmp_gt_u32_e32 vcc, v5, v4
	s_andn2_b64 s[6:7], s[6:7], exec
	s_and_b64 s[10:11], vcc, exec
	s_or_b64 s[6:7], s[6:7], s[10:11]
.LBB66_11:
	s_and_saveexec_b64 s[10:11], s[6:7]
; %bb.12:
	v_mov_b32_e32 v6, 0
	v_mov_b32_e32 v7, v6
	ds_write_b64 v3, v[6:7]
; %bb.13:
	s_or_b64 exec, exec, s[10:11]
	s_waitcnt lgkmcnt(0)
	s_barrier
	s_and_saveexec_b64 s[6:7], s[4:5]
	s_cbranch_execz .LBB66_15
; %bb.14:
	v_add_u32_e32 v1, 0x2000, v0
	s_load_dwordx2 s[10:11], s[0:1], 0x60
	s_load_dwordx4 s[4:7], s[0:1], 0x50
	ds_read2_b64 v[6:9], v1 offset1:32
	v_lshlrev_b32_e32 v5, 3, v2
	ds_read_b128 v[10:13], v5
	ds_read_b128 v[14:17], v5 offset:16
	ds_read2_b64 v[18:21], v1 offset0:64 offset1:96
	ds_read_b128 v[22:25], v5 offset:32
	ds_read_b128 v[26:29], v5 offset:48
	ds_read2_b64 v[30:33], v1 offset0:128 offset1:160
	s_waitcnt lgkmcnt(0)
	s_mul_i32 s1, s11, s3
	s_mul_hi_u32 s2, s10, s3
	v_fma_f64 v[2:3], v[6:7], v[10:11], 0
	v_fmac_f64_e32 v[2:3], v[8:9], v[12:13]
	ds_read2_b64 v[6:9], v1 offset0:192 offset1:224
	v_fmac_f64_e32 v[2:3], v[18:19], v[14:15]
	v_fmac_f64_e32 v[2:3], v[20:21], v[16:17]
	;; [unrolled: 1-line block ×3, first 2 shown]
	v_add_u32_e32 v1, 0x2800, v0
	v_fmac_f64_e32 v[2:3], v[32:33], v[24:25]
	ds_read2_b64 v[10:13], v1 offset1:32
	ds_read_b128 v[14:17], v5 offset:64
	s_waitcnt lgkmcnt(2)
	v_fmac_f64_e32 v[2:3], v[6:7], v[26:27]
	v_fmac_f64_e32 v[2:3], v[8:9], v[28:29]
	ds_read2_b64 v[6:9], v1 offset0:64 offset1:96
	ds_read_b128 v[18:21], v5 offset:80
	ds_read2_b64 v[22:25], v1 offset0:128 offset1:160
	ds_read_b128 v[26:29], v5 offset:96
	s_waitcnt lgkmcnt(4)
	v_fmac_f64_e32 v[2:3], v[10:11], v[14:15]
	v_fmac_f64_e32 v[2:3], v[12:13], v[16:17]
	ds_read2_b64 v[10:13], v1 offset0:192 offset1:224
	s_waitcnt lgkmcnt(3)
	v_fmac_f64_e32 v[2:3], v[6:7], v[18:19]
	v_fmac_f64_e32 v[2:3], v[8:9], v[20:21]
	ds_read_b128 v[6:9], v5 offset:112
	s_waitcnt lgkmcnt(2)
	v_fmac_f64_e32 v[2:3], v[22:23], v[26:27]
	v_add_u32_e32 v1, 0x3000, v0
	v_fmac_f64_e32 v[2:3], v[24:25], v[28:29]
	ds_read2_b64 v[14:17], v1 offset1:32
	ds_read_b128 v[18:21], v5 offset:128
	s_waitcnt lgkmcnt(2)
	v_fmac_f64_e32 v[2:3], v[10:11], v[6:7]
	v_fmac_f64_e32 v[2:3], v[12:13], v[8:9]
	ds_read2_b64 v[6:9], v1 offset0:64 offset1:96
	ds_read_b128 v[10:13], v5 offset:144
	ds_read2_b64 v[22:25], v1 offset0:128 offset1:160
	ds_read_b128 v[26:29], v5 offset:160
	s_waitcnt lgkmcnt(4)
	v_fmac_f64_e32 v[2:3], v[14:15], v[18:19]
	v_fmac_f64_e32 v[2:3], v[16:17], v[20:21]
	s_mul_i32 s0, s10, s3
	s_waitcnt lgkmcnt(2)
	v_fmac_f64_e32 v[2:3], v[6:7], v[10:11]
	v_fmac_f64_e32 v[2:3], v[8:9], v[12:13]
	ds_read_b128 v[6:9], v5 offset:176
	ds_read2_b64 v[10:13], v1 offset0:192 offset1:224
	s_waitcnt lgkmcnt(2)
	v_fmac_f64_e32 v[2:3], v[22:23], v[26:27]
	v_add_u32_e32 v1, 0x3800, v0
	ds_read2_b64 v[14:17], v1 offset1:32
	ds_read_b128 v[18:21], v5 offset:192
	v_fmac_f64_e32 v[2:3], v[24:25], v[28:29]
	s_waitcnt lgkmcnt(2)
	v_fmac_f64_e32 v[2:3], v[10:11], v[6:7]
	v_fmac_f64_e32 v[2:3], v[12:13], v[8:9]
	ds_read_b128 v[6:9], v5 offset:208
	s_add_i32 s1, s2, s1
	s_lshl_b64 s[0:1], s[0:1], 3
	s_add_u32 s2, s4, s0
	s_waitcnt lgkmcnt(1)
	v_fmac_f64_e32 v[2:3], v[14:15], v[18:19]
	s_addc_u32 s3, s5, s1
	s_lshl_b64 s[0:1], s[8:9], 3
	v_fmac_f64_e32 v[2:3], v[16:17], v[20:21]
	ds_read2_b64 v[10:13], v1 offset0:64 offset1:96
	ds_read2_b64 v[14:17], v1 offset0:128 offset1:160
	ds_read_b128 v[18:21], v5 offset:224
	ds_read2_b64 v[22:25], v1 offset0:192 offset1:224
	ds_read_b128 v[26:29], v5 offset:240
	s_add_u32 s0, s2, s0
	s_waitcnt lgkmcnt(4)
	v_fmac_f64_e32 v[2:3], v[10:11], v[6:7]
	s_addc_u32 s1, s3, s1
	v_fmac_f64_e32 v[2:3], v[12:13], v[8:9]
	v_mad_u64_u32 v[6:7], s[2:3], s6, v4, 0
	s_waitcnt lgkmcnt(2)
	v_fmac_f64_e32 v[2:3], v[14:15], v[18:19]
	v_mov_b32_e32 v8, v7
	v_fmac_f64_e32 v[2:3], v[16:17], v[20:21]
	v_mad_u64_u32 v[4:5], s[2:3], s7, v4, v[8:9]
	s_waitcnt lgkmcnt(0)
	v_fmac_f64_e32 v[2:3], v[22:23], v[26:27]
	v_mov_b32_e32 v7, v4
	v_fmac_f64_e32 v[2:3], v[24:25], v[28:29]
	v_lshl_add_u64 v[4:5], v[6:7], 3, s[0:1]
	v_mov_b32_e32 v1, 0
	v_mul_f64 v[2:3], s[24:25], v[2:3]
	v_lshl_add_u64 v[0:1], v[4:5], 0, v[0:1]
	global_store_dwordx2 v[0:1], v[2:3], off
.LBB66_15:
	s_endpgm
	.section	.rodata,"a",@progbits
	.p2align	6, 0x0
	.amdhsa_kernel _ZL23rocblas_trmm_rNx_kernelILi32EdPKdS0_dEv13rocblas_fill_17rocblas_diagonal_iiT1_lPT2_llS6_llPT3_lli
		.amdhsa_group_segment_fixed_size 16384
		.amdhsa_private_segment_fixed_size 0
		.amdhsa_kernarg_size 108
		.amdhsa_user_sgpr_count 2
		.amdhsa_user_sgpr_dispatch_ptr 0
		.amdhsa_user_sgpr_queue_ptr 0
		.amdhsa_user_sgpr_kernarg_segment_ptr 1
		.amdhsa_user_sgpr_dispatch_id 0
		.amdhsa_user_sgpr_kernarg_preload_length 0
		.amdhsa_user_sgpr_kernarg_preload_offset 0
		.amdhsa_user_sgpr_private_segment_size 0
		.amdhsa_uses_dynamic_stack 0
		.amdhsa_enable_private_segment 0
		.amdhsa_system_sgpr_workgroup_id_x 1
		.amdhsa_system_sgpr_workgroup_id_y 0
		.amdhsa_system_sgpr_workgroup_id_z 1
		.amdhsa_system_sgpr_workgroup_info 0
		.amdhsa_system_vgpr_workitem_id 1
		.amdhsa_next_free_vgpr 34
		.amdhsa_next_free_sgpr 26
		.amdhsa_accum_offset 36
		.amdhsa_reserve_vcc 1
		.amdhsa_float_round_mode_32 0
		.amdhsa_float_round_mode_16_64 0
		.amdhsa_float_denorm_mode_32 3
		.amdhsa_float_denorm_mode_16_64 3
		.amdhsa_dx10_clamp 1
		.amdhsa_ieee_mode 1
		.amdhsa_fp16_overflow 0
		.amdhsa_tg_split 0
		.amdhsa_exception_fp_ieee_invalid_op 0
		.amdhsa_exception_fp_denorm_src 0
		.amdhsa_exception_fp_ieee_div_zero 0
		.amdhsa_exception_fp_ieee_overflow 0
		.amdhsa_exception_fp_ieee_underflow 0
		.amdhsa_exception_fp_ieee_inexact 0
		.amdhsa_exception_int_div_zero 0
	.end_amdhsa_kernel
	.section	.text._ZL23rocblas_trmm_rNx_kernelILi32EdPKdS0_dEv13rocblas_fill_17rocblas_diagonal_iiT1_lPT2_llS6_llPT3_lli,"axG",@progbits,_ZL23rocblas_trmm_rNx_kernelILi32EdPKdS0_dEv13rocblas_fill_17rocblas_diagonal_iiT1_lPT2_llS6_llPT3_lli,comdat
.Lfunc_end66:
	.size	_ZL23rocblas_trmm_rNx_kernelILi32EdPKdS0_dEv13rocblas_fill_17rocblas_diagonal_iiT1_lPT2_llS6_llPT3_lli, .Lfunc_end66-_ZL23rocblas_trmm_rNx_kernelILi32EdPKdS0_dEv13rocblas_fill_17rocblas_diagonal_iiT1_lPT2_llS6_llPT3_lli
                                        ; -- End function
	.set _ZL23rocblas_trmm_rNx_kernelILi32EdPKdS0_dEv13rocblas_fill_17rocblas_diagonal_iiT1_lPT2_llS6_llPT3_lli.num_vgpr, 34
	.set _ZL23rocblas_trmm_rNx_kernelILi32EdPKdS0_dEv13rocblas_fill_17rocblas_diagonal_iiT1_lPT2_llS6_llPT3_lli.num_agpr, 0
	.set _ZL23rocblas_trmm_rNx_kernelILi32EdPKdS0_dEv13rocblas_fill_17rocblas_diagonal_iiT1_lPT2_llS6_llPT3_lli.numbered_sgpr, 26
	.set _ZL23rocblas_trmm_rNx_kernelILi32EdPKdS0_dEv13rocblas_fill_17rocblas_diagonal_iiT1_lPT2_llS6_llPT3_lli.num_named_barrier, 0
	.set _ZL23rocblas_trmm_rNx_kernelILi32EdPKdS0_dEv13rocblas_fill_17rocblas_diagonal_iiT1_lPT2_llS6_llPT3_lli.private_seg_size, 0
	.set _ZL23rocblas_trmm_rNx_kernelILi32EdPKdS0_dEv13rocblas_fill_17rocblas_diagonal_iiT1_lPT2_llS6_llPT3_lli.uses_vcc, 1
	.set _ZL23rocblas_trmm_rNx_kernelILi32EdPKdS0_dEv13rocblas_fill_17rocblas_diagonal_iiT1_lPT2_llS6_llPT3_lli.uses_flat_scratch, 0
	.set _ZL23rocblas_trmm_rNx_kernelILi32EdPKdS0_dEv13rocblas_fill_17rocblas_diagonal_iiT1_lPT2_llS6_llPT3_lli.has_dyn_sized_stack, 0
	.set _ZL23rocblas_trmm_rNx_kernelILi32EdPKdS0_dEv13rocblas_fill_17rocblas_diagonal_iiT1_lPT2_llS6_llPT3_lli.has_recursion, 0
	.set _ZL23rocblas_trmm_rNx_kernelILi32EdPKdS0_dEv13rocblas_fill_17rocblas_diagonal_iiT1_lPT2_llS6_llPT3_lli.has_indirect_call, 0
	.section	.AMDGPU.csdata,"",@progbits
; Kernel info:
; codeLenInByte = 1160
; TotalNumSgprs: 32
; NumVgprs: 34
; NumAgprs: 0
; TotalNumVgprs: 34
; ScratchSize: 0
; MemoryBound: 0
; FloatMode: 240
; IeeeMode: 1
; LDSByteSize: 16384 bytes/workgroup (compile time only)
; SGPRBlocks: 3
; VGPRBlocks: 4
; NumSGPRsForWavesPerEU: 32
; NumVGPRsForWavesPerEU: 34
; AccumOffset: 36
; Occupancy: 8
; WaveLimiterHint : 0
; COMPUTE_PGM_RSRC2:SCRATCH_EN: 0
; COMPUTE_PGM_RSRC2:USER_SGPR: 2
; COMPUTE_PGM_RSRC2:TRAP_HANDLER: 0
; COMPUTE_PGM_RSRC2:TGID_X_EN: 1
; COMPUTE_PGM_RSRC2:TGID_Y_EN: 0
; COMPUTE_PGM_RSRC2:TGID_Z_EN: 1
; COMPUTE_PGM_RSRC2:TIDIG_COMP_CNT: 1
; COMPUTE_PGM_RSRC3_GFX90A:ACCUM_OFFSET: 8
; COMPUTE_PGM_RSRC3_GFX90A:TG_SPLIT: 0
	.section	.text._ZL23rocblas_trmm_rNx_kernelILi32EddKddEv13rocblas_fill_17rocblas_diagonal_iiT1_lPT2_llS5_llPT3_lli,"axG",@progbits,_ZL23rocblas_trmm_rNx_kernelILi32EddKddEv13rocblas_fill_17rocblas_diagonal_iiT1_lPT2_llS5_llPT3_lli,comdat
	.globl	_ZL23rocblas_trmm_rNx_kernelILi32EddKddEv13rocblas_fill_17rocblas_diagonal_iiT1_lPT2_llS5_llPT3_lli ; -- Begin function _ZL23rocblas_trmm_rNx_kernelILi32EddKddEv13rocblas_fill_17rocblas_diagonal_iiT1_lPT2_llS5_llPT3_lli
	.p2align	8
	.type	_ZL23rocblas_trmm_rNx_kernelILi32EddKddEv13rocblas_fill_17rocblas_diagonal_iiT1_lPT2_llS5_llPT3_lli,@function
_ZL23rocblas_trmm_rNx_kernelILi32EddKddEv13rocblas_fill_17rocblas_diagonal_iiT1_lPT2_llS5_llPT3_lli: ; @_ZL23rocblas_trmm_rNx_kernelILi32EddKddEv13rocblas_fill_17rocblas_diagonal_iiT1_lPT2_llS5_llPT3_lli
; %bb.0:
	s_load_dwordx2 s[6:7], s[0:1], 0x10
	s_waitcnt lgkmcnt(0)
	v_cmp_eq_f64_e64 s[4:5], s[6:7], 0
	s_and_b64 vcc, exec, s[4:5]
	s_cbranch_vccnz .LBB67_15
; %bb.1:
	s_load_dwordx4 s[24:27], s[0:1], 0x0
	s_load_dwordx16 s[8:23], s[0:1], 0x20
	v_bfe_u32 v4, v0, 10, 10
	s_mov_b32 s4, 0
	v_and_b32_e32 v5, 0x3ff, v0
	v_lshlrev_b32_e32 v2, 5, v4
	s_mov_b32 s5, s4
	v_add_lshl_u32 v3, v2, v5, 3
	v_mov_b64_e32 v[0:1], s[4:5]
	s_waitcnt lgkmcnt(0)
	v_cmp_gt_i32_e32 vcc, s27, v4
	v_cmp_gt_i32_e64 s[4:5], s27, v5
	ds_write2st64_b64 v3, v[0:1], v[0:1] offset1:16
	s_and_b64 s[28:29], vcc, s[4:5]
	v_lshlrev_b32_e32 v0, 3, v5
	s_and_saveexec_b64 s[4:5], s[28:29]
	s_cbranch_execz .LBB67_3
; %bb.2:
	s_mul_i32 s13, s13, s3
	s_mul_hi_u32 s27, s12, s3
	s_add_i32 s13, s27, s13
	s_mul_i32 s12, s12, s3
	s_lshl_b64 s[12:13], s[12:13], 3
	s_add_u32 s8, s8, s12
	s_addc_u32 s9, s9, s13
	v_mad_u64_u32 v[6:7], s[12:13], s10, v4, 0
	v_mov_b32_e32 v8, v7
	v_mad_u64_u32 v[8:9], s[10:11], s11, v4, v[8:9]
	v_mov_b32_e32 v7, v8
	v_lshl_add_u64 v[6:7], v[6:7], 3, s[8:9]
	v_mov_b32_e32 v1, 0
	v_lshl_add_u64 v[6:7], v[6:7], 0, v[0:1]
	global_load_dwordx2 v[6:7], v[6:7], off
	s_waitcnt vmcnt(0)
	ds_write_b64 v3, v[6:7]
.LBB67_3:
	s_or_b64 exec, exec, s[4:5]
	s_add_i32 s4, s26, -1
	s_ashr_i32 s5, s4, 31
	s_lshr_b32 s5, s5, 27
	s_add_i32 s4, s4, s5
	s_ashr_i32 s5, s4, 5
	s_andn2_b32 s4, s4, 31
	s_sub_i32 s4, s26, s4
	s_cmp_ge_i32 s2, s5
	s_cselect_b32 s4, s4, 32
	s_lshl_b32 s8, s2, 5
	v_cmp_gt_i32_e64 s[4:5], s4, v5
	s_ashr_i32 s9, s8, 31
	s_and_b64 s[4:5], vcc, s[4:5]
	s_and_saveexec_b64 s[10:11], s[4:5]
	s_cbranch_execz .LBB67_5
; %bb.4:
	s_mul_i32 s2, s19, s3
	s_mul_hi_u32 s12, s18, s3
	s_add_i32 s13, s12, s2
	s_mul_i32 s12, s18, s3
	s_lshl_b64 s[12:13], s[12:13], 3
	s_add_u32 s2, s14, s12
	s_addc_u32 s14, s15, s13
	s_lshl_b64 s[12:13], s[8:9], 3
	s_add_u32 s12, s2, s12
	s_addc_u32 s13, s14, s13
	v_mad_u64_u32 v[6:7], s[14:15], s16, v4, 0
	v_mov_b32_e32 v8, v7
	v_mad_u64_u32 v[8:9], s[14:15], s17, v4, v[8:9]
	v_mov_b32_e32 v7, v8
	v_lshl_add_u64 v[6:7], v[6:7], 3, s[12:13]
	v_mov_b32_e32 v1, 0
	v_lshl_add_u64 v[6:7], v[6:7], 0, v[0:1]
	global_load_dwordx2 v[6:7], v[6:7], off
	v_add_u32_e32 v1, 0x2000, v3
	s_waitcnt vmcnt(0)
	ds_write_b64 v1, v[6:7]
.LBB67_5:
	s_or_b64 exec, exec, s[10:11]
	s_cmpk_eq_i32 s25, 0x84
	s_cselect_b64 s[10:11], -1, 0
	v_cmp_eq_u32_e32 vcc, v4, v5
	s_and_b64 s[12:13], vcc, s[10:11]
	s_and_saveexec_b64 s[10:11], s[12:13]
; %bb.6:
	v_mov_b32_e32 v6, 0
	v_mov_b32_e32 v7, 0x3ff00000
	ds_write_b64 v3, v[6:7]
; %bb.7:
	s_or_b64 exec, exec, s[10:11]
	s_cmpk_lg_i32 s24, 0x79
	s_cbranch_scc0 .LBB67_9
; %bb.8:
	v_cmp_lt_u32_e32 vcc, v5, v4
	s_and_b64 s[10:11], vcc, exec
	s_cbranch_execz .LBB67_10
	s_branch .LBB67_11
.LBB67_9:
	s_mov_b64 s[10:11], 0
.LBB67_10:
	v_cmp_gt_u32_e32 vcc, v5, v4
	s_andn2_b64 s[10:11], s[10:11], exec
	s_and_b64 s[12:13], vcc, exec
	s_or_b64 s[10:11], s[10:11], s[12:13]
.LBB67_11:
	s_and_saveexec_b64 s[12:13], s[10:11]
; %bb.12:
	v_mov_b32_e32 v6, 0
	v_mov_b32_e32 v7, v6
	ds_write_b64 v3, v[6:7]
; %bb.13:
	s_or_b64 exec, exec, s[12:13]
	s_waitcnt lgkmcnt(0)
	s_barrier
	s_and_saveexec_b64 s[10:11], s[4:5]
	s_cbranch_execz .LBB67_15
; %bb.14:
	v_add_u32_e32 v1, 0x2000, v0
	ds_read2_b64 v[6:9], v1 offset1:32
	v_lshlrev_b32_e32 v5, 3, v2
	ds_read_b128 v[10:13], v5
	ds_read_b128 v[14:17], v5 offset:16
	ds_read2_b64 v[18:21], v1 offset0:64 offset1:96
	ds_read_b128 v[22:25], v5 offset:32
	ds_read_b128 v[26:29], v5 offset:48
	ds_read2_b64 v[30:33], v1 offset0:128 offset1:160
	s_load_dwordx2 s[0:1], s[0:1], 0x60
	s_waitcnt lgkmcnt(0)
	v_fma_f64 v[2:3], v[6:7], v[10:11], 0
	v_fmac_f64_e32 v[2:3], v[8:9], v[12:13]
	ds_read2_b64 v[6:9], v1 offset0:192 offset1:224
	v_fmac_f64_e32 v[2:3], v[18:19], v[14:15]
	v_fmac_f64_e32 v[2:3], v[20:21], v[16:17]
	;; [unrolled: 1-line block ×3, first 2 shown]
	v_add_u32_e32 v1, 0x2800, v0
	v_fmac_f64_e32 v[2:3], v[32:33], v[24:25]
	ds_read2_b64 v[10:13], v1 offset1:32
	ds_read_b128 v[14:17], v5 offset:64
	s_waitcnt lgkmcnt(2)
	v_fmac_f64_e32 v[2:3], v[6:7], v[26:27]
	v_fmac_f64_e32 v[2:3], v[8:9], v[28:29]
	ds_read2_b64 v[6:9], v1 offset0:64 offset1:96
	ds_read_b128 v[18:21], v5 offset:80
	ds_read2_b64 v[22:25], v1 offset0:128 offset1:160
	ds_read_b128 v[26:29], v5 offset:96
	s_waitcnt lgkmcnt(4)
	v_fmac_f64_e32 v[2:3], v[10:11], v[14:15]
	v_fmac_f64_e32 v[2:3], v[12:13], v[16:17]
	ds_read2_b64 v[10:13], v1 offset0:192 offset1:224
	s_waitcnt lgkmcnt(3)
	v_fmac_f64_e32 v[2:3], v[6:7], v[18:19]
	v_fmac_f64_e32 v[2:3], v[8:9], v[20:21]
	ds_read_b128 v[6:9], v5 offset:112
	s_waitcnt lgkmcnt(2)
	v_fmac_f64_e32 v[2:3], v[22:23], v[26:27]
	v_add_u32_e32 v1, 0x3000, v0
	v_fmac_f64_e32 v[2:3], v[24:25], v[28:29]
	ds_read2_b64 v[14:17], v1 offset1:32
	ds_read_b128 v[18:21], v5 offset:128
	s_waitcnt lgkmcnt(2)
	v_fmac_f64_e32 v[2:3], v[10:11], v[6:7]
	v_fmac_f64_e32 v[2:3], v[12:13], v[8:9]
	ds_read2_b64 v[6:9], v1 offset0:64 offset1:96
	ds_read_b128 v[10:13], v5 offset:144
	ds_read2_b64 v[22:25], v1 offset0:128 offset1:160
	ds_read_b128 v[26:29], v5 offset:160
	s_waitcnt lgkmcnt(4)
	v_fmac_f64_e32 v[2:3], v[14:15], v[18:19]
	v_fmac_f64_e32 v[2:3], v[16:17], v[20:21]
	s_mul_i32 s1, s1, s3
	s_waitcnt lgkmcnt(2)
	v_fmac_f64_e32 v[2:3], v[6:7], v[10:11]
	v_fmac_f64_e32 v[2:3], v[8:9], v[12:13]
	ds_read_b128 v[6:9], v5 offset:176
	ds_read2_b64 v[10:13], v1 offset0:192 offset1:224
	s_waitcnt lgkmcnt(2)
	v_fmac_f64_e32 v[2:3], v[22:23], v[26:27]
	v_add_u32_e32 v1, 0x3800, v0
	ds_read2_b64 v[14:17], v1 offset1:32
	ds_read_b128 v[18:21], v5 offset:192
	v_fmac_f64_e32 v[2:3], v[24:25], v[28:29]
	s_waitcnt lgkmcnt(2)
	v_fmac_f64_e32 v[2:3], v[10:11], v[6:7]
	s_mul_hi_u32 s2, s0, s3
	v_fmac_f64_e32 v[2:3], v[12:13], v[8:9]
	ds_read_b128 v[6:9], v5 offset:208
	s_mul_i32 s0, s0, s3
	s_add_i32 s1, s2, s1
	s_lshl_b64 s[0:1], s[0:1], 3
	s_add_u32 s2, s20, s0
	s_waitcnt lgkmcnt(1)
	v_fmac_f64_e32 v[2:3], v[14:15], v[18:19]
	s_addc_u32 s3, s21, s1
	s_lshl_b64 s[0:1], s[8:9], 3
	v_fmac_f64_e32 v[2:3], v[16:17], v[20:21]
	ds_read2_b64 v[10:13], v1 offset0:64 offset1:96
	ds_read2_b64 v[14:17], v1 offset0:128 offset1:160
	ds_read_b128 v[18:21], v5 offset:224
	ds_read2_b64 v[22:25], v1 offset0:192 offset1:224
	ds_read_b128 v[26:29], v5 offset:240
	s_add_u32 s0, s2, s0
	s_waitcnt lgkmcnt(4)
	v_fmac_f64_e32 v[2:3], v[10:11], v[6:7]
	s_addc_u32 s1, s3, s1
	v_fmac_f64_e32 v[2:3], v[12:13], v[8:9]
	v_mad_u64_u32 v[6:7], s[2:3], s22, v4, 0
	s_waitcnt lgkmcnt(2)
	v_fmac_f64_e32 v[2:3], v[14:15], v[18:19]
	v_mov_b32_e32 v8, v7
	v_fmac_f64_e32 v[2:3], v[16:17], v[20:21]
	v_mad_u64_u32 v[4:5], s[2:3], s23, v4, v[8:9]
	s_waitcnt lgkmcnt(0)
	v_fmac_f64_e32 v[2:3], v[22:23], v[26:27]
	v_mov_b32_e32 v7, v4
	v_fmac_f64_e32 v[2:3], v[24:25], v[28:29]
	v_lshl_add_u64 v[4:5], v[6:7], 3, s[0:1]
	v_mov_b32_e32 v1, 0
	v_mul_f64 v[2:3], s[6:7], v[2:3]
	v_lshl_add_u64 v[0:1], v[4:5], 0, v[0:1]
	global_store_dwordx2 v[0:1], v[2:3], off
.LBB67_15:
	s_endpgm
	.section	.rodata,"a",@progbits
	.p2align	6, 0x0
	.amdhsa_kernel _ZL23rocblas_trmm_rNx_kernelILi32EddKddEv13rocblas_fill_17rocblas_diagonal_iiT1_lPT2_llS5_llPT3_lli
		.amdhsa_group_segment_fixed_size 16384
		.amdhsa_private_segment_fixed_size 0
		.amdhsa_kernarg_size 108
		.amdhsa_user_sgpr_count 2
		.amdhsa_user_sgpr_dispatch_ptr 0
		.amdhsa_user_sgpr_queue_ptr 0
		.amdhsa_user_sgpr_kernarg_segment_ptr 1
		.amdhsa_user_sgpr_dispatch_id 0
		.amdhsa_user_sgpr_kernarg_preload_length 0
		.amdhsa_user_sgpr_kernarg_preload_offset 0
		.amdhsa_user_sgpr_private_segment_size 0
		.amdhsa_uses_dynamic_stack 0
		.amdhsa_enable_private_segment 0
		.amdhsa_system_sgpr_workgroup_id_x 1
		.amdhsa_system_sgpr_workgroup_id_y 0
		.amdhsa_system_sgpr_workgroup_id_z 1
		.amdhsa_system_sgpr_workgroup_info 0
		.amdhsa_system_vgpr_workitem_id 1
		.amdhsa_next_free_vgpr 34
		.amdhsa_next_free_sgpr 30
		.amdhsa_accum_offset 36
		.amdhsa_reserve_vcc 1
		.amdhsa_float_round_mode_32 0
		.amdhsa_float_round_mode_16_64 0
		.amdhsa_float_denorm_mode_32 3
		.amdhsa_float_denorm_mode_16_64 3
		.amdhsa_dx10_clamp 1
		.amdhsa_ieee_mode 1
		.amdhsa_fp16_overflow 0
		.amdhsa_tg_split 0
		.amdhsa_exception_fp_ieee_invalid_op 0
		.amdhsa_exception_fp_denorm_src 0
		.amdhsa_exception_fp_ieee_div_zero 0
		.amdhsa_exception_fp_ieee_overflow 0
		.amdhsa_exception_fp_ieee_underflow 0
		.amdhsa_exception_fp_ieee_inexact 0
		.amdhsa_exception_int_div_zero 0
	.end_amdhsa_kernel
	.section	.text._ZL23rocblas_trmm_rNx_kernelILi32EddKddEv13rocblas_fill_17rocblas_diagonal_iiT1_lPT2_llS5_llPT3_lli,"axG",@progbits,_ZL23rocblas_trmm_rNx_kernelILi32EddKddEv13rocblas_fill_17rocblas_diagonal_iiT1_lPT2_llS5_llPT3_lli,comdat
.Lfunc_end67:
	.size	_ZL23rocblas_trmm_rNx_kernelILi32EddKddEv13rocblas_fill_17rocblas_diagonal_iiT1_lPT2_llS5_llPT3_lli, .Lfunc_end67-_ZL23rocblas_trmm_rNx_kernelILi32EddKddEv13rocblas_fill_17rocblas_diagonal_iiT1_lPT2_llS5_llPT3_lli
                                        ; -- End function
	.set _ZL23rocblas_trmm_rNx_kernelILi32EddKddEv13rocblas_fill_17rocblas_diagonal_iiT1_lPT2_llS5_llPT3_lli.num_vgpr, 34
	.set _ZL23rocblas_trmm_rNx_kernelILi32EddKddEv13rocblas_fill_17rocblas_diagonal_iiT1_lPT2_llS5_llPT3_lli.num_agpr, 0
	.set _ZL23rocblas_trmm_rNx_kernelILi32EddKddEv13rocblas_fill_17rocblas_diagonal_iiT1_lPT2_llS5_llPT3_lli.numbered_sgpr, 30
	.set _ZL23rocblas_trmm_rNx_kernelILi32EddKddEv13rocblas_fill_17rocblas_diagonal_iiT1_lPT2_llS5_llPT3_lli.num_named_barrier, 0
	.set _ZL23rocblas_trmm_rNx_kernelILi32EddKddEv13rocblas_fill_17rocblas_diagonal_iiT1_lPT2_llS5_llPT3_lli.private_seg_size, 0
	.set _ZL23rocblas_trmm_rNx_kernelILi32EddKddEv13rocblas_fill_17rocblas_diagonal_iiT1_lPT2_llS5_llPT3_lli.uses_vcc, 1
	.set _ZL23rocblas_trmm_rNx_kernelILi32EddKddEv13rocblas_fill_17rocblas_diagonal_iiT1_lPT2_llS5_llPT3_lli.uses_flat_scratch, 0
	.set _ZL23rocblas_trmm_rNx_kernelILi32EddKddEv13rocblas_fill_17rocblas_diagonal_iiT1_lPT2_llS5_llPT3_lli.has_dyn_sized_stack, 0
	.set _ZL23rocblas_trmm_rNx_kernelILi32EddKddEv13rocblas_fill_17rocblas_diagonal_iiT1_lPT2_llS5_llPT3_lli.has_recursion, 0
	.set _ZL23rocblas_trmm_rNx_kernelILi32EddKddEv13rocblas_fill_17rocblas_diagonal_iiT1_lPT2_llS5_llPT3_lli.has_indirect_call, 0
	.section	.AMDGPU.csdata,"",@progbits
; Kernel info:
; codeLenInByte = 1120
; TotalNumSgprs: 36
; NumVgprs: 34
; NumAgprs: 0
; TotalNumVgprs: 34
; ScratchSize: 0
; MemoryBound: 0
; FloatMode: 240
; IeeeMode: 1
; LDSByteSize: 16384 bytes/workgroup (compile time only)
; SGPRBlocks: 4
; VGPRBlocks: 4
; NumSGPRsForWavesPerEU: 36
; NumVGPRsForWavesPerEU: 34
; AccumOffset: 36
; Occupancy: 8
; WaveLimiterHint : 0
; COMPUTE_PGM_RSRC2:SCRATCH_EN: 0
; COMPUTE_PGM_RSRC2:USER_SGPR: 2
; COMPUTE_PGM_RSRC2:TRAP_HANDLER: 0
; COMPUTE_PGM_RSRC2:TGID_X_EN: 1
; COMPUTE_PGM_RSRC2:TGID_Y_EN: 0
; COMPUTE_PGM_RSRC2:TGID_Z_EN: 1
; COMPUTE_PGM_RSRC2:TIDIG_COMP_CNT: 1
; COMPUTE_PGM_RSRC3_GFX90A:ACCUM_OFFSET: 8
; COMPUTE_PGM_RSRC3_GFX90A:TG_SPLIT: 0
	.section	.text._ZL23rocblas_trmm_rTx_kernelILi32ELb0EdPKdS0_dEv13rocblas_fill_17rocblas_diagonal_iiT2_lPT3_llS6_llPT4_lli,"axG",@progbits,_ZL23rocblas_trmm_rTx_kernelILi32ELb0EdPKdS0_dEv13rocblas_fill_17rocblas_diagonal_iiT2_lPT3_llS6_llPT4_lli,comdat
	.globl	_ZL23rocblas_trmm_rTx_kernelILi32ELb0EdPKdS0_dEv13rocblas_fill_17rocblas_diagonal_iiT2_lPT3_llS6_llPT4_lli ; -- Begin function _ZL23rocblas_trmm_rTx_kernelILi32ELb0EdPKdS0_dEv13rocblas_fill_17rocblas_diagonal_iiT2_lPT3_llS6_llPT4_lli
	.p2align	8
	.type	_ZL23rocblas_trmm_rTx_kernelILi32ELb0EdPKdS0_dEv13rocblas_fill_17rocblas_diagonal_iiT2_lPT3_llS6_llPT4_lli,@function
_ZL23rocblas_trmm_rTx_kernelILi32ELb0EdPKdS0_dEv13rocblas_fill_17rocblas_diagonal_iiT2_lPT3_llS6_llPT4_lli: ; @_ZL23rocblas_trmm_rTx_kernelILi32ELb0EdPKdS0_dEv13rocblas_fill_17rocblas_diagonal_iiT2_lPT3_llS6_llPT4_lli
; %bb.0:
	s_load_dwordx16 s[4:19], s[0:1], 0x10
	s_waitcnt lgkmcnt(0)
	s_mul_i32 s7, s7, s3
	s_mul_hi_u32 s20, s6, s3
	s_add_i32 s7, s20, s7
	s_mul_i32 s6, s6, s3
	s_lshl_b64 s[6:7], s[6:7], 3
	s_add_u32 s4, s4, s6
	s_addc_u32 s5, s5, s7
	s_load_dwordx2 s[24:25], s[4:5], 0x0
	s_waitcnt lgkmcnt(0)
	v_cmp_eq_f64_e64 s[4:5], s[24:25], 0
	s_and_b64 vcc, exec, s[4:5]
	s_cbranch_vccnz .LBB68_15
; %bb.1:
	s_load_dwordx4 s[20:23], s[0:1], 0x0
	s_mov_b32 s4, 0
	v_bfe_u32 v2, v0, 10, 10
	v_and_b32_e32 v4, 0x3ff, v0
	v_lshlrev_b32_e32 v0, 5, v2
	s_mov_b32 s5, s4
	v_add_lshl_u32 v3, v0, v4, 3
	v_mov_b64_e32 v[0:1], s[4:5]
	s_waitcnt lgkmcnt(0)
	v_cmp_gt_i32_e32 vcc, s23, v2
	v_cmp_gt_i32_e64 s[4:5], s23, v4
	ds_write2st64_b64 v3, v[0:1], v[0:1] offset1:16
	s_and_b64 s[6:7], vcc, s[4:5]
	v_lshlrev_b32_e32 v0, 3, v4
	s_and_saveexec_b64 s[4:5], s[6:7]
	s_cbranch_execz .LBB68_3
; %bb.2:
	s_mul_i32 s6, s13, s3
	s_mul_hi_u32 s7, s12, s3
	s_add_i32 s7, s7, s6
	s_mul_i32 s6, s12, s3
	s_lshl_b64 s[6:7], s[6:7], 3
	s_add_u32 s6, s8, s6
	s_addc_u32 s7, s9, s7
	v_mad_u64_u32 v[6:7], s[8:9], s10, v2, 0
	v_mov_b32_e32 v8, v7
	v_mad_u64_u32 v[8:9], s[8:9], s11, v2, v[8:9]
	v_mov_b32_e32 v7, v8
	v_lshl_add_u64 v[6:7], v[6:7], 3, s[6:7]
	v_mov_b32_e32 v1, 0
	v_lshl_add_u64 v[6:7], v[6:7], 0, v[0:1]
	global_load_dwordx2 v[6:7], v[6:7], off
	s_waitcnt vmcnt(0)
	ds_write_b64 v3, v[6:7]
.LBB68_3:
	s_or_b64 exec, exec, s[4:5]
	s_add_i32 s4, s22, -1
	s_ashr_i32 s5, s4, 31
	s_lshr_b32 s5, s5, 27
	s_add_i32 s4, s4, s5
	s_ashr_i32 s5, s4, 5
	s_andn2_b32 s4, s4, 31
	s_sub_i32 s4, s22, s4
	s_cmp_ge_i32 s2, s5
	s_cselect_b32 s4, s4, 32
	s_lshl_b32 s8, s2, 5
	v_cmp_gt_i32_e64 s[4:5], s4, v4
	s_ashr_i32 s9, s8, 31
	s_and_b64 s[4:5], vcc, s[4:5]
	s_and_saveexec_b64 s[6:7], s[4:5]
	s_cbranch_execz .LBB68_5
; %bb.4:
	s_mul_i32 s2, s19, s3
	s_mul_hi_u32 s10, s18, s3
	s_add_i32 s11, s10, s2
	s_mul_i32 s10, s18, s3
	s_lshl_b64 s[10:11], s[10:11], 3
	s_add_u32 s2, s14, s10
	s_addc_u32 s12, s15, s11
	s_lshl_b64 s[10:11], s[8:9], 3
	s_add_u32 s10, s2, s10
	s_addc_u32 s11, s12, s11
	v_mad_u64_u32 v[6:7], s[12:13], s16, v2, 0
	v_mov_b32_e32 v8, v7
	v_mad_u64_u32 v[8:9], s[12:13], s17, v2, v[8:9]
	v_mov_b32_e32 v7, v8
	v_lshl_add_u64 v[6:7], v[6:7], 3, s[10:11]
	v_mov_b32_e32 v1, 0
	v_lshl_add_u64 v[6:7], v[6:7], 0, v[0:1]
	global_load_dwordx2 v[6:7], v[6:7], off
	v_add_u32_e32 v1, 0x2000, v3
	s_waitcnt vmcnt(0)
	ds_write_b64 v1, v[6:7]
.LBB68_5:
	s_or_b64 exec, exec, s[6:7]
	s_cmpk_eq_i32 s21, 0x84
	s_cselect_b64 s[6:7], -1, 0
	v_cmp_eq_u32_e32 vcc, v2, v4
	s_and_b64 s[10:11], vcc, s[6:7]
	s_and_saveexec_b64 s[6:7], s[10:11]
; %bb.6:
	v_mov_b32_e32 v6, 0
	v_mov_b32_e32 v7, 0x3ff00000
	ds_write_b64 v3, v[6:7]
; %bb.7:
	s_or_b64 exec, exec, s[6:7]
	s_cmpk_lg_i32 s20, 0x79
	s_cbranch_scc0 .LBB68_9
; %bb.8:
	v_cmp_lt_u32_e32 vcc, v4, v2
	s_and_b64 s[6:7], vcc, exec
	s_cbranch_execz .LBB68_10
	s_branch .LBB68_11
.LBB68_9:
	s_mov_b64 s[6:7], 0
.LBB68_10:
	v_cmp_gt_u32_e32 vcc, v4, v2
	s_andn2_b64 s[6:7], s[6:7], exec
	s_and_b64 s[10:11], vcc, exec
	s_or_b64 s[6:7], s[6:7], s[10:11]
.LBB68_11:
	s_and_saveexec_b64 s[10:11], s[6:7]
; %bb.12:
	v_mov_b32_e32 v4, 0
	v_mov_b32_e32 v5, v4
	ds_write_b64 v3, v[4:5]
; %bb.13:
	s_or_b64 exec, exec, s[10:11]
	s_waitcnt lgkmcnt(0)
	s_barrier
	s_and_saveexec_b64 s[6:7], s[4:5]
	s_cbranch_execz .LBB68_15
; %bb.14:
	v_add_u32_e32 v1, 0x2000, v0
	v_lshlrev_b32_e32 v3, 3, v2
	s_load_dwordx2 s[10:11], s[0:1], 0x60
	s_load_dwordx4 s[4:7], s[0:1], 0x50
	ds_read2_b64 v[4:7], v1 offset1:32
	ds_read2_b64 v[8:11], v3 offset1:32
	v_add_u32_e32 v30, 0x800, v3
	s_waitcnt lgkmcnt(0)
	s_mul_i32 s1, s11, s3
	s_mul_hi_u32 s2, s10, s3
	s_mul_i32 s0, s10, s3
	v_fma_f64 v[28:29], v[4:5], v[8:9], 0
	v_fmac_f64_e32 v[28:29], v[6:7], v[10:11]
	ds_read2_b64 v[4:7], v1 offset0:64 offset1:96
	ds_read2_b64 v[8:11], v3 offset0:64 offset1:96
	;; [unrolled: 1-line block ×6, first 2 shown]
	s_waitcnt lgkmcnt(4)
	v_fmac_f64_e32 v[28:29], v[4:5], v[8:9]
	v_add_u32_e32 v1, 0x2800, v0
	v_fmac_f64_e32 v[28:29], v[6:7], v[10:11]
	ds_read2_b64 v[4:7], v1 offset1:32
	s_waitcnt lgkmcnt(3)
	v_fmac_f64_e32 v[28:29], v[12:13], v[16:17]
	v_fmac_f64_e32 v[28:29], v[14:15], v[18:19]
	s_waitcnt lgkmcnt(1)
	v_fmac_f64_e32 v[28:29], v[20:21], v[24:25]
	v_fmac_f64_e32 v[28:29], v[22:23], v[26:27]
	ds_read2_b64 v[8:11], v30 offset1:32
	ds_read2_b64 v[12:15], v1 offset0:64 offset1:96
	ds_read2_b64 v[16:19], v30 offset0:64 offset1:96
	;; [unrolled: 1-line block ×4, first 2 shown]
	s_waitcnt lgkmcnt(4)
	v_fmac_f64_e32 v[28:29], v[4:5], v[8:9]
	v_fmac_f64_e32 v[28:29], v[6:7], v[10:11]
	ds_read2_b64 v[4:7], v1 offset0:192 offset1:224
	ds_read2_b64 v[8:11], v30 offset0:192 offset1:224
	s_waitcnt lgkmcnt(4)
	v_fmac_f64_e32 v[28:29], v[12:13], v[16:17]
	v_add_u32_e32 v1, 0x3000, v0
	v_fmac_f64_e32 v[28:29], v[14:15], v[18:19]
	ds_read2_b64 v[12:15], v1 offset1:32
	s_waitcnt lgkmcnt(3)
	v_fmac_f64_e32 v[28:29], v[20:21], v[24:25]
	v_add_u32_e32 v30, 0x1000, v3
	v_fmac_f64_e32 v[28:29], v[22:23], v[26:27]
	ds_read2_b64 v[16:19], v30 offset1:32
	ds_read2_b64 v[20:23], v1 offset0:64 offset1:96
	ds_read2_b64 v[24:27], v30 offset0:64 offset1:96
	s_waitcnt lgkmcnt(4)
	v_fmac_f64_e32 v[28:29], v[4:5], v[8:9]
	v_fmac_f64_e32 v[28:29], v[6:7], v[10:11]
	s_waitcnt lgkmcnt(2)
	v_fmac_f64_e32 v[28:29], v[12:13], v[16:17]
	v_fmac_f64_e32 v[28:29], v[14:15], v[18:19]
	ds_read2_b64 v[4:7], v1 offset0:128 offset1:160
	ds_read2_b64 v[8:11], v30 offset0:128 offset1:160
	;; [unrolled: 1-line block ×4, first 2 shown]
	s_waitcnt lgkmcnt(4)
	v_fmac_f64_e32 v[28:29], v[20:21], v[24:25]
	v_add_u32_e32 v1, 0x3800, v0
	v_add_u32_e32 v3, 0x1800, v3
	v_fmac_f64_e32 v[28:29], v[22:23], v[26:27]
	ds_read2_b64 v[20:23], v1 offset1:32
	ds_read2_b64 v[24:27], v3 offset1:32
	s_waitcnt lgkmcnt(4)
	v_fmac_f64_e32 v[28:29], v[4:5], v[8:9]
	v_fmac_f64_e32 v[28:29], v[6:7], v[10:11]
	s_add_i32 s1, s2, s1
	s_waitcnt lgkmcnt(2)
	v_fmac_f64_e32 v[28:29], v[12:13], v[16:17]
	s_lshl_b64 s[0:1], s[0:1], 3
	v_fmac_f64_e32 v[28:29], v[14:15], v[18:19]
	s_add_u32 s2, s4, s0
	s_waitcnt lgkmcnt(0)
	v_fmac_f64_e32 v[28:29], v[20:21], v[24:25]
	s_addc_u32 s3, s5, s1
	s_lshl_b64 s[0:1], s[8:9], 3
	v_fmac_f64_e32 v[28:29], v[22:23], v[26:27]
	ds_read2_b64 v[4:7], v1 offset0:64 offset1:96
	ds_read2_b64 v[8:11], v3 offset0:64 offset1:96
	;; [unrolled: 1-line block ×6, first 2 shown]
	s_add_u32 s0, s2, s0
	s_waitcnt lgkmcnt(4)
	v_fmac_f64_e32 v[28:29], v[4:5], v[8:9]
	s_addc_u32 s1, s3, s1
	v_fmac_f64_e32 v[28:29], v[6:7], v[10:11]
	v_mad_u64_u32 v[6:7], s[2:3], s6, v2, 0
	s_waitcnt lgkmcnt(2)
	v_fmac_f64_e32 v[28:29], v[12:13], v[16:17]
	v_mov_b32_e32 v8, v7
	v_fmac_f64_e32 v[28:29], v[14:15], v[18:19]
	v_mad_u64_u32 v[2:3], s[2:3], s7, v2, v[8:9]
	s_waitcnt lgkmcnt(0)
	v_fmac_f64_e32 v[28:29], v[20:21], v[24:25]
	v_mov_b32_e32 v7, v2
	v_fmac_f64_e32 v[28:29], v[22:23], v[26:27]
	v_lshl_add_u64 v[2:3], v[6:7], 3, s[0:1]
	v_mov_b32_e32 v1, 0
	v_mul_f64 v[4:5], s[24:25], v[28:29]
	v_lshl_add_u64 v[0:1], v[2:3], 0, v[0:1]
	global_store_dwordx2 v[0:1], v[4:5], off
.LBB68_15:
	s_endpgm
	.section	.rodata,"a",@progbits
	.p2align	6, 0x0
	.amdhsa_kernel _ZL23rocblas_trmm_rTx_kernelILi32ELb0EdPKdS0_dEv13rocblas_fill_17rocblas_diagonal_iiT2_lPT3_llS6_llPT4_lli
		.amdhsa_group_segment_fixed_size 16384
		.amdhsa_private_segment_fixed_size 0
		.amdhsa_kernarg_size 108
		.amdhsa_user_sgpr_count 2
		.amdhsa_user_sgpr_dispatch_ptr 0
		.amdhsa_user_sgpr_queue_ptr 0
		.amdhsa_user_sgpr_kernarg_segment_ptr 1
		.amdhsa_user_sgpr_dispatch_id 0
		.amdhsa_user_sgpr_kernarg_preload_length 0
		.amdhsa_user_sgpr_kernarg_preload_offset 0
		.amdhsa_user_sgpr_private_segment_size 0
		.amdhsa_uses_dynamic_stack 0
		.amdhsa_enable_private_segment 0
		.amdhsa_system_sgpr_workgroup_id_x 1
		.amdhsa_system_sgpr_workgroup_id_y 0
		.amdhsa_system_sgpr_workgroup_id_z 1
		.amdhsa_system_sgpr_workgroup_info 0
		.amdhsa_system_vgpr_workitem_id 1
		.amdhsa_next_free_vgpr 31
		.amdhsa_next_free_sgpr 26
		.amdhsa_accum_offset 32
		.amdhsa_reserve_vcc 1
		.amdhsa_float_round_mode_32 0
		.amdhsa_float_round_mode_16_64 0
		.amdhsa_float_denorm_mode_32 3
		.amdhsa_float_denorm_mode_16_64 3
		.amdhsa_dx10_clamp 1
		.amdhsa_ieee_mode 1
		.amdhsa_fp16_overflow 0
		.amdhsa_tg_split 0
		.amdhsa_exception_fp_ieee_invalid_op 0
		.amdhsa_exception_fp_denorm_src 0
		.amdhsa_exception_fp_ieee_div_zero 0
		.amdhsa_exception_fp_ieee_overflow 0
		.amdhsa_exception_fp_ieee_underflow 0
		.amdhsa_exception_fp_ieee_inexact 0
		.amdhsa_exception_int_div_zero 0
	.end_amdhsa_kernel
	.section	.text._ZL23rocblas_trmm_rTx_kernelILi32ELb0EdPKdS0_dEv13rocblas_fill_17rocblas_diagonal_iiT2_lPT3_llS6_llPT4_lli,"axG",@progbits,_ZL23rocblas_trmm_rTx_kernelILi32ELb0EdPKdS0_dEv13rocblas_fill_17rocblas_diagonal_iiT2_lPT3_llS6_llPT4_lli,comdat
.Lfunc_end68:
	.size	_ZL23rocblas_trmm_rTx_kernelILi32ELb0EdPKdS0_dEv13rocblas_fill_17rocblas_diagonal_iiT2_lPT3_llS6_llPT4_lli, .Lfunc_end68-_ZL23rocblas_trmm_rTx_kernelILi32ELb0EdPKdS0_dEv13rocblas_fill_17rocblas_diagonal_iiT2_lPT3_llS6_llPT4_lli
                                        ; -- End function
	.set _ZL23rocblas_trmm_rTx_kernelILi32ELb0EdPKdS0_dEv13rocblas_fill_17rocblas_diagonal_iiT2_lPT3_llS6_llPT4_lli.num_vgpr, 31
	.set _ZL23rocblas_trmm_rTx_kernelILi32ELb0EdPKdS0_dEv13rocblas_fill_17rocblas_diagonal_iiT2_lPT3_llS6_llPT4_lli.num_agpr, 0
	.set _ZL23rocblas_trmm_rTx_kernelILi32ELb0EdPKdS0_dEv13rocblas_fill_17rocblas_diagonal_iiT2_lPT3_llS6_llPT4_lli.numbered_sgpr, 26
	.set _ZL23rocblas_trmm_rTx_kernelILi32ELb0EdPKdS0_dEv13rocblas_fill_17rocblas_diagonal_iiT2_lPT3_llS6_llPT4_lli.num_named_barrier, 0
	.set _ZL23rocblas_trmm_rTx_kernelILi32ELb0EdPKdS0_dEv13rocblas_fill_17rocblas_diagonal_iiT2_lPT3_llS6_llPT4_lli.private_seg_size, 0
	.set _ZL23rocblas_trmm_rTx_kernelILi32ELb0EdPKdS0_dEv13rocblas_fill_17rocblas_diagonal_iiT2_lPT3_llS6_llPT4_lli.uses_vcc, 1
	.set _ZL23rocblas_trmm_rTx_kernelILi32ELb0EdPKdS0_dEv13rocblas_fill_17rocblas_diagonal_iiT2_lPT3_llS6_llPT4_lli.uses_flat_scratch, 0
	.set _ZL23rocblas_trmm_rTx_kernelILi32ELb0EdPKdS0_dEv13rocblas_fill_17rocblas_diagonal_iiT2_lPT3_llS6_llPT4_lli.has_dyn_sized_stack, 0
	.set _ZL23rocblas_trmm_rTx_kernelILi32ELb0EdPKdS0_dEv13rocblas_fill_17rocblas_diagonal_iiT2_lPT3_llS6_llPT4_lli.has_recursion, 0
	.set _ZL23rocblas_trmm_rTx_kernelILi32ELb0EdPKdS0_dEv13rocblas_fill_17rocblas_diagonal_iiT2_lPT3_llS6_llPT4_lli.has_indirect_call, 0
	.section	.AMDGPU.csdata,"",@progbits
; Kernel info:
; codeLenInByte = 1192
; TotalNumSgprs: 32
; NumVgprs: 31
; NumAgprs: 0
; TotalNumVgprs: 31
; ScratchSize: 0
; MemoryBound: 0
; FloatMode: 240
; IeeeMode: 1
; LDSByteSize: 16384 bytes/workgroup (compile time only)
; SGPRBlocks: 3
; VGPRBlocks: 3
; NumSGPRsForWavesPerEU: 32
; NumVGPRsForWavesPerEU: 31
; AccumOffset: 32
; Occupancy: 8
; WaveLimiterHint : 0
; COMPUTE_PGM_RSRC2:SCRATCH_EN: 0
; COMPUTE_PGM_RSRC2:USER_SGPR: 2
; COMPUTE_PGM_RSRC2:TRAP_HANDLER: 0
; COMPUTE_PGM_RSRC2:TGID_X_EN: 1
; COMPUTE_PGM_RSRC2:TGID_Y_EN: 0
; COMPUTE_PGM_RSRC2:TGID_Z_EN: 1
; COMPUTE_PGM_RSRC2:TIDIG_COMP_CNT: 1
; COMPUTE_PGM_RSRC3_GFX90A:ACCUM_OFFSET: 7
; COMPUTE_PGM_RSRC3_GFX90A:TG_SPLIT: 0
	.section	.text._ZL23rocblas_trmm_rTx_kernelILi32ELb0EddKddEv13rocblas_fill_17rocblas_diagonal_iiT2_lPT3_llS5_llPT4_lli,"axG",@progbits,_ZL23rocblas_trmm_rTx_kernelILi32ELb0EddKddEv13rocblas_fill_17rocblas_diagonal_iiT2_lPT3_llS5_llPT4_lli,comdat
	.globl	_ZL23rocblas_trmm_rTx_kernelILi32ELb0EddKddEv13rocblas_fill_17rocblas_diagonal_iiT2_lPT3_llS5_llPT4_lli ; -- Begin function _ZL23rocblas_trmm_rTx_kernelILi32ELb0EddKddEv13rocblas_fill_17rocblas_diagonal_iiT2_lPT3_llS5_llPT4_lli
	.p2align	8
	.type	_ZL23rocblas_trmm_rTx_kernelILi32ELb0EddKddEv13rocblas_fill_17rocblas_diagonal_iiT2_lPT3_llS5_llPT4_lli,@function
_ZL23rocblas_trmm_rTx_kernelILi32ELb0EddKddEv13rocblas_fill_17rocblas_diagonal_iiT2_lPT3_llS5_llPT4_lli: ; @_ZL23rocblas_trmm_rTx_kernelILi32ELb0EddKddEv13rocblas_fill_17rocblas_diagonal_iiT2_lPT3_llS5_llPT4_lli
; %bb.0:
	s_load_dwordx2 s[6:7], s[0:1], 0x10
	s_waitcnt lgkmcnt(0)
	v_cmp_eq_f64_e64 s[4:5], s[6:7], 0
	s_and_b64 vcc, exec, s[4:5]
	s_cbranch_vccnz .LBB69_15
; %bb.1:
	s_load_dwordx4 s[24:27], s[0:1], 0x0
	s_load_dwordx16 s[8:23], s[0:1], 0x20
	v_bfe_u32 v2, v0, 10, 10
	s_mov_b32 s4, 0
	v_and_b32_e32 v4, 0x3ff, v0
	v_lshlrev_b32_e32 v0, 5, v2
	s_mov_b32 s5, s4
	v_add_lshl_u32 v3, v0, v4, 3
	v_mov_b64_e32 v[0:1], s[4:5]
	s_waitcnt lgkmcnt(0)
	v_cmp_gt_i32_e32 vcc, s27, v2
	v_cmp_gt_i32_e64 s[4:5], s27, v4
	ds_write2st64_b64 v3, v[0:1], v[0:1] offset1:16
	s_and_b64 s[28:29], vcc, s[4:5]
	v_lshlrev_b32_e32 v0, 3, v4
	s_and_saveexec_b64 s[4:5], s[28:29]
	s_cbranch_execz .LBB69_3
; %bb.2:
	s_mul_i32 s13, s13, s3
	s_mul_hi_u32 s27, s12, s3
	s_add_i32 s13, s27, s13
	s_mul_i32 s12, s12, s3
	s_lshl_b64 s[12:13], s[12:13], 3
	s_add_u32 s8, s8, s12
	s_addc_u32 s9, s9, s13
	v_mad_u64_u32 v[6:7], s[12:13], s10, v2, 0
	v_mov_b32_e32 v8, v7
	v_mad_u64_u32 v[8:9], s[10:11], s11, v2, v[8:9]
	v_mov_b32_e32 v7, v8
	v_lshl_add_u64 v[6:7], v[6:7], 3, s[8:9]
	v_mov_b32_e32 v1, 0
	v_lshl_add_u64 v[6:7], v[6:7], 0, v[0:1]
	global_load_dwordx2 v[6:7], v[6:7], off
	s_waitcnt vmcnt(0)
	ds_write_b64 v3, v[6:7]
.LBB69_3:
	s_or_b64 exec, exec, s[4:5]
	s_add_i32 s4, s26, -1
	s_ashr_i32 s5, s4, 31
	s_lshr_b32 s5, s5, 27
	s_add_i32 s4, s4, s5
	s_ashr_i32 s5, s4, 5
	s_andn2_b32 s4, s4, 31
	s_sub_i32 s4, s26, s4
	s_cmp_ge_i32 s2, s5
	s_cselect_b32 s4, s4, 32
	s_lshl_b32 s8, s2, 5
	v_cmp_gt_i32_e64 s[4:5], s4, v4
	s_ashr_i32 s9, s8, 31
	s_and_b64 s[4:5], vcc, s[4:5]
	s_and_saveexec_b64 s[10:11], s[4:5]
	s_cbranch_execz .LBB69_5
; %bb.4:
	s_mul_i32 s2, s19, s3
	s_mul_hi_u32 s12, s18, s3
	s_add_i32 s13, s12, s2
	s_mul_i32 s12, s18, s3
	s_lshl_b64 s[12:13], s[12:13], 3
	s_add_u32 s2, s14, s12
	s_addc_u32 s14, s15, s13
	s_lshl_b64 s[12:13], s[8:9], 3
	s_add_u32 s12, s2, s12
	s_addc_u32 s13, s14, s13
	v_mad_u64_u32 v[6:7], s[14:15], s16, v2, 0
	v_mov_b32_e32 v8, v7
	v_mad_u64_u32 v[8:9], s[14:15], s17, v2, v[8:9]
	v_mov_b32_e32 v7, v8
	v_lshl_add_u64 v[6:7], v[6:7], 3, s[12:13]
	v_mov_b32_e32 v1, 0
	v_lshl_add_u64 v[6:7], v[6:7], 0, v[0:1]
	global_load_dwordx2 v[6:7], v[6:7], off
	v_add_u32_e32 v1, 0x2000, v3
	s_waitcnt vmcnt(0)
	ds_write_b64 v1, v[6:7]
.LBB69_5:
	s_or_b64 exec, exec, s[10:11]
	s_cmpk_eq_i32 s25, 0x84
	s_cselect_b64 s[10:11], -1, 0
	v_cmp_eq_u32_e32 vcc, v2, v4
	s_and_b64 s[12:13], vcc, s[10:11]
	s_and_saveexec_b64 s[10:11], s[12:13]
; %bb.6:
	v_mov_b32_e32 v6, 0
	v_mov_b32_e32 v7, 0x3ff00000
	ds_write_b64 v3, v[6:7]
; %bb.7:
	s_or_b64 exec, exec, s[10:11]
	s_cmpk_lg_i32 s24, 0x79
	s_cbranch_scc0 .LBB69_9
; %bb.8:
	v_cmp_lt_u32_e32 vcc, v4, v2
	s_and_b64 s[10:11], vcc, exec
	s_cbranch_execz .LBB69_10
	s_branch .LBB69_11
.LBB69_9:
	s_mov_b64 s[10:11], 0
.LBB69_10:
	v_cmp_gt_u32_e32 vcc, v4, v2
	s_andn2_b64 s[10:11], s[10:11], exec
	s_and_b64 s[12:13], vcc, exec
	s_or_b64 s[10:11], s[10:11], s[12:13]
.LBB69_11:
	s_and_saveexec_b64 s[12:13], s[10:11]
; %bb.12:
	v_mov_b32_e32 v4, 0
	v_mov_b32_e32 v5, v4
	ds_write_b64 v3, v[4:5]
; %bb.13:
	s_or_b64 exec, exec, s[12:13]
	s_waitcnt lgkmcnt(0)
	s_barrier
	s_and_saveexec_b64 s[10:11], s[4:5]
	s_cbranch_execz .LBB69_15
; %bb.14:
	v_add_u32_e32 v1, 0x2000, v0
	v_lshlrev_b32_e32 v3, 3, v2
	ds_read2_b64 v[4:7], v1 offset1:32
	ds_read2_b64 v[8:11], v3 offset1:32
	v_add_u32_e32 v30, 0x800, v3
	s_load_dwordx2 s[0:1], s[0:1], 0x60
	s_waitcnt lgkmcnt(0)
	v_fma_f64 v[28:29], v[4:5], v[8:9], 0
	v_fmac_f64_e32 v[28:29], v[6:7], v[10:11]
	ds_read2_b64 v[4:7], v1 offset0:64 offset1:96
	ds_read2_b64 v[8:11], v3 offset0:64 offset1:96
	;; [unrolled: 1-line block ×6, first 2 shown]
	s_waitcnt lgkmcnt(4)
	v_fmac_f64_e32 v[28:29], v[4:5], v[8:9]
	v_add_u32_e32 v1, 0x2800, v0
	v_fmac_f64_e32 v[28:29], v[6:7], v[10:11]
	ds_read2_b64 v[4:7], v1 offset1:32
	s_waitcnt lgkmcnt(3)
	v_fmac_f64_e32 v[28:29], v[12:13], v[16:17]
	v_fmac_f64_e32 v[28:29], v[14:15], v[18:19]
	s_waitcnt lgkmcnt(1)
	v_fmac_f64_e32 v[28:29], v[20:21], v[24:25]
	v_fmac_f64_e32 v[28:29], v[22:23], v[26:27]
	ds_read2_b64 v[8:11], v30 offset1:32
	ds_read2_b64 v[12:15], v1 offset0:64 offset1:96
	ds_read2_b64 v[16:19], v30 offset0:64 offset1:96
	;; [unrolled: 1-line block ×4, first 2 shown]
	s_waitcnt lgkmcnt(4)
	v_fmac_f64_e32 v[28:29], v[4:5], v[8:9]
	v_fmac_f64_e32 v[28:29], v[6:7], v[10:11]
	ds_read2_b64 v[4:7], v1 offset0:192 offset1:224
	ds_read2_b64 v[8:11], v30 offset0:192 offset1:224
	s_waitcnt lgkmcnt(4)
	v_fmac_f64_e32 v[28:29], v[12:13], v[16:17]
	v_add_u32_e32 v1, 0x3000, v0
	v_fmac_f64_e32 v[28:29], v[14:15], v[18:19]
	ds_read2_b64 v[12:15], v1 offset1:32
	s_waitcnt lgkmcnt(3)
	v_fmac_f64_e32 v[28:29], v[20:21], v[24:25]
	v_add_u32_e32 v30, 0x1000, v3
	v_fmac_f64_e32 v[28:29], v[22:23], v[26:27]
	ds_read2_b64 v[16:19], v30 offset1:32
	ds_read2_b64 v[20:23], v1 offset0:64 offset1:96
	ds_read2_b64 v[24:27], v30 offset0:64 offset1:96
	s_waitcnt lgkmcnt(4)
	v_fmac_f64_e32 v[28:29], v[4:5], v[8:9]
	v_fmac_f64_e32 v[28:29], v[6:7], v[10:11]
	s_waitcnt lgkmcnt(2)
	v_fmac_f64_e32 v[28:29], v[12:13], v[16:17]
	v_fmac_f64_e32 v[28:29], v[14:15], v[18:19]
	ds_read2_b64 v[4:7], v1 offset0:128 offset1:160
	ds_read2_b64 v[8:11], v30 offset0:128 offset1:160
	;; [unrolled: 1-line block ×4, first 2 shown]
	s_waitcnt lgkmcnt(4)
	v_fmac_f64_e32 v[28:29], v[20:21], v[24:25]
	v_add_u32_e32 v1, 0x3800, v0
	v_add_u32_e32 v3, 0x1800, v3
	v_fmac_f64_e32 v[28:29], v[22:23], v[26:27]
	ds_read2_b64 v[20:23], v1 offset1:32
	ds_read2_b64 v[24:27], v3 offset1:32
	s_waitcnt lgkmcnt(4)
	v_fmac_f64_e32 v[28:29], v[4:5], v[8:9]
	s_mul_i32 s1, s1, s3
	s_mul_hi_u32 s2, s0, s3
	v_fmac_f64_e32 v[28:29], v[6:7], v[10:11]
	s_mul_i32 s0, s0, s3
	s_add_i32 s1, s2, s1
	s_waitcnt lgkmcnt(2)
	v_fmac_f64_e32 v[28:29], v[12:13], v[16:17]
	s_lshl_b64 s[0:1], s[0:1], 3
	v_fmac_f64_e32 v[28:29], v[14:15], v[18:19]
	s_add_u32 s2, s20, s0
	s_waitcnt lgkmcnt(0)
	v_fmac_f64_e32 v[28:29], v[20:21], v[24:25]
	s_addc_u32 s3, s21, s1
	s_lshl_b64 s[0:1], s[8:9], 3
	v_fmac_f64_e32 v[28:29], v[22:23], v[26:27]
	ds_read2_b64 v[4:7], v1 offset0:64 offset1:96
	ds_read2_b64 v[8:11], v3 offset0:64 offset1:96
	ds_read2_b64 v[12:15], v1 offset0:128 offset1:160
	ds_read2_b64 v[16:19], v3 offset0:128 offset1:160
	ds_read2_b64 v[20:23], v1 offset0:192 offset1:224
	ds_read2_b64 v[24:27], v3 offset0:192 offset1:224
	s_add_u32 s0, s2, s0
	s_waitcnt lgkmcnt(4)
	v_fmac_f64_e32 v[28:29], v[4:5], v[8:9]
	s_addc_u32 s1, s3, s1
	v_fmac_f64_e32 v[28:29], v[6:7], v[10:11]
	v_mad_u64_u32 v[6:7], s[2:3], s22, v2, 0
	s_waitcnt lgkmcnt(2)
	v_fmac_f64_e32 v[28:29], v[12:13], v[16:17]
	v_mov_b32_e32 v8, v7
	v_fmac_f64_e32 v[28:29], v[14:15], v[18:19]
	v_mad_u64_u32 v[2:3], s[2:3], s23, v2, v[8:9]
	s_waitcnt lgkmcnt(0)
	v_fmac_f64_e32 v[28:29], v[20:21], v[24:25]
	v_mov_b32_e32 v7, v2
	v_fmac_f64_e32 v[28:29], v[22:23], v[26:27]
	v_lshl_add_u64 v[2:3], v[6:7], 3, s[0:1]
	v_mov_b32_e32 v1, 0
	v_mul_f64 v[4:5], s[6:7], v[28:29]
	v_lshl_add_u64 v[0:1], v[2:3], 0, v[0:1]
	global_store_dwordx2 v[0:1], v[4:5], off
.LBB69_15:
	s_endpgm
	.section	.rodata,"a",@progbits
	.p2align	6, 0x0
	.amdhsa_kernel _ZL23rocblas_trmm_rTx_kernelILi32ELb0EddKddEv13rocblas_fill_17rocblas_diagonal_iiT2_lPT3_llS5_llPT4_lli
		.amdhsa_group_segment_fixed_size 16384
		.amdhsa_private_segment_fixed_size 0
		.amdhsa_kernarg_size 108
		.amdhsa_user_sgpr_count 2
		.amdhsa_user_sgpr_dispatch_ptr 0
		.amdhsa_user_sgpr_queue_ptr 0
		.amdhsa_user_sgpr_kernarg_segment_ptr 1
		.amdhsa_user_sgpr_dispatch_id 0
		.amdhsa_user_sgpr_kernarg_preload_length 0
		.amdhsa_user_sgpr_kernarg_preload_offset 0
		.amdhsa_user_sgpr_private_segment_size 0
		.amdhsa_uses_dynamic_stack 0
		.amdhsa_enable_private_segment 0
		.amdhsa_system_sgpr_workgroup_id_x 1
		.amdhsa_system_sgpr_workgroup_id_y 0
		.amdhsa_system_sgpr_workgroup_id_z 1
		.amdhsa_system_sgpr_workgroup_info 0
		.amdhsa_system_vgpr_workitem_id 1
		.amdhsa_next_free_vgpr 31
		.amdhsa_next_free_sgpr 30
		.amdhsa_accum_offset 32
		.amdhsa_reserve_vcc 1
		.amdhsa_float_round_mode_32 0
		.amdhsa_float_round_mode_16_64 0
		.amdhsa_float_denorm_mode_32 3
		.amdhsa_float_denorm_mode_16_64 3
		.amdhsa_dx10_clamp 1
		.amdhsa_ieee_mode 1
		.amdhsa_fp16_overflow 0
		.amdhsa_tg_split 0
		.amdhsa_exception_fp_ieee_invalid_op 0
		.amdhsa_exception_fp_denorm_src 0
		.amdhsa_exception_fp_ieee_div_zero 0
		.amdhsa_exception_fp_ieee_overflow 0
		.amdhsa_exception_fp_ieee_underflow 0
		.amdhsa_exception_fp_ieee_inexact 0
		.amdhsa_exception_int_div_zero 0
	.end_amdhsa_kernel
	.section	.text._ZL23rocblas_trmm_rTx_kernelILi32ELb0EddKddEv13rocblas_fill_17rocblas_diagonal_iiT2_lPT3_llS5_llPT4_lli,"axG",@progbits,_ZL23rocblas_trmm_rTx_kernelILi32ELb0EddKddEv13rocblas_fill_17rocblas_diagonal_iiT2_lPT3_llS5_llPT4_lli,comdat
.Lfunc_end69:
	.size	_ZL23rocblas_trmm_rTx_kernelILi32ELb0EddKddEv13rocblas_fill_17rocblas_diagonal_iiT2_lPT3_llS5_llPT4_lli, .Lfunc_end69-_ZL23rocblas_trmm_rTx_kernelILi32ELb0EddKddEv13rocblas_fill_17rocblas_diagonal_iiT2_lPT3_llS5_llPT4_lli
                                        ; -- End function
	.set _ZL23rocblas_trmm_rTx_kernelILi32ELb0EddKddEv13rocblas_fill_17rocblas_diagonal_iiT2_lPT3_llS5_llPT4_lli.num_vgpr, 31
	.set _ZL23rocblas_trmm_rTx_kernelILi32ELb0EddKddEv13rocblas_fill_17rocblas_diagonal_iiT2_lPT3_llS5_llPT4_lli.num_agpr, 0
	.set _ZL23rocblas_trmm_rTx_kernelILi32ELb0EddKddEv13rocblas_fill_17rocblas_diagonal_iiT2_lPT3_llS5_llPT4_lli.numbered_sgpr, 30
	.set _ZL23rocblas_trmm_rTx_kernelILi32ELb0EddKddEv13rocblas_fill_17rocblas_diagonal_iiT2_lPT3_llS5_llPT4_lli.num_named_barrier, 0
	.set _ZL23rocblas_trmm_rTx_kernelILi32ELb0EddKddEv13rocblas_fill_17rocblas_diagonal_iiT2_lPT3_llS5_llPT4_lli.private_seg_size, 0
	.set _ZL23rocblas_trmm_rTx_kernelILi32ELb0EddKddEv13rocblas_fill_17rocblas_diagonal_iiT2_lPT3_llS5_llPT4_lli.uses_vcc, 1
	.set _ZL23rocblas_trmm_rTx_kernelILi32ELb0EddKddEv13rocblas_fill_17rocblas_diagonal_iiT2_lPT3_llS5_llPT4_lli.uses_flat_scratch, 0
	.set _ZL23rocblas_trmm_rTx_kernelILi32ELb0EddKddEv13rocblas_fill_17rocblas_diagonal_iiT2_lPT3_llS5_llPT4_lli.has_dyn_sized_stack, 0
	.set _ZL23rocblas_trmm_rTx_kernelILi32ELb0EddKddEv13rocblas_fill_17rocblas_diagonal_iiT2_lPT3_llS5_llPT4_lli.has_recursion, 0
	.set _ZL23rocblas_trmm_rTx_kernelILi32ELb0EddKddEv13rocblas_fill_17rocblas_diagonal_iiT2_lPT3_llS5_llPT4_lli.has_indirect_call, 0
	.section	.AMDGPU.csdata,"",@progbits
; Kernel info:
; codeLenInByte = 1152
; TotalNumSgprs: 36
; NumVgprs: 31
; NumAgprs: 0
; TotalNumVgprs: 31
; ScratchSize: 0
; MemoryBound: 0
; FloatMode: 240
; IeeeMode: 1
; LDSByteSize: 16384 bytes/workgroup (compile time only)
; SGPRBlocks: 4
; VGPRBlocks: 3
; NumSGPRsForWavesPerEU: 36
; NumVGPRsForWavesPerEU: 31
; AccumOffset: 32
; Occupancy: 8
; WaveLimiterHint : 0
; COMPUTE_PGM_RSRC2:SCRATCH_EN: 0
; COMPUTE_PGM_RSRC2:USER_SGPR: 2
; COMPUTE_PGM_RSRC2:TRAP_HANDLER: 0
; COMPUTE_PGM_RSRC2:TGID_X_EN: 1
; COMPUTE_PGM_RSRC2:TGID_Y_EN: 0
; COMPUTE_PGM_RSRC2:TGID_Z_EN: 1
; COMPUTE_PGM_RSRC2:TIDIG_COMP_CNT: 1
; COMPUTE_PGM_RSRC3_GFX90A:ACCUM_OFFSET: 7
; COMPUTE_PGM_RSRC3_GFX90A:TG_SPLIT: 0
	.section	.text._ZL23rocblas_trmm_rTx_kernelILi32ELb1EdPKdS0_dEv13rocblas_fill_17rocblas_diagonal_iiT2_lPT3_llS6_llPT4_lli,"axG",@progbits,_ZL23rocblas_trmm_rTx_kernelILi32ELb1EdPKdS0_dEv13rocblas_fill_17rocblas_diagonal_iiT2_lPT3_llS6_llPT4_lli,comdat
	.globl	_ZL23rocblas_trmm_rTx_kernelILi32ELb1EdPKdS0_dEv13rocblas_fill_17rocblas_diagonal_iiT2_lPT3_llS6_llPT4_lli ; -- Begin function _ZL23rocblas_trmm_rTx_kernelILi32ELb1EdPKdS0_dEv13rocblas_fill_17rocblas_diagonal_iiT2_lPT3_llS6_llPT4_lli
	.p2align	8
	.type	_ZL23rocblas_trmm_rTx_kernelILi32ELb1EdPKdS0_dEv13rocblas_fill_17rocblas_diagonal_iiT2_lPT3_llS6_llPT4_lli,@function
_ZL23rocblas_trmm_rTx_kernelILi32ELb1EdPKdS0_dEv13rocblas_fill_17rocblas_diagonal_iiT2_lPT3_llS6_llPT4_lli: ; @_ZL23rocblas_trmm_rTx_kernelILi32ELb1EdPKdS0_dEv13rocblas_fill_17rocblas_diagonal_iiT2_lPT3_llS6_llPT4_lli
; %bb.0:
	s_load_dwordx16 s[4:19], s[0:1], 0x10
	s_waitcnt lgkmcnt(0)
	s_mul_i32 s7, s7, s3
	s_mul_hi_u32 s20, s6, s3
	s_add_i32 s7, s20, s7
	s_mul_i32 s6, s6, s3
	s_lshl_b64 s[6:7], s[6:7], 3
	s_add_u32 s4, s4, s6
	s_addc_u32 s5, s5, s7
	s_load_dwordx2 s[24:25], s[4:5], 0x0
	s_waitcnt lgkmcnt(0)
	v_cmp_eq_f64_e64 s[4:5], s[24:25], 0
	s_and_b64 vcc, exec, s[4:5]
	s_cbranch_vccnz .LBB70_15
; %bb.1:
	s_load_dwordx4 s[20:23], s[0:1], 0x0
	s_mov_b32 s4, 0
	v_bfe_u32 v2, v0, 10, 10
	v_and_b32_e32 v4, 0x3ff, v0
	v_lshlrev_b32_e32 v0, 5, v2
	s_mov_b32 s5, s4
	v_add_lshl_u32 v3, v0, v4, 3
	v_mov_b64_e32 v[0:1], s[4:5]
	s_waitcnt lgkmcnt(0)
	v_cmp_gt_i32_e32 vcc, s23, v2
	v_cmp_gt_i32_e64 s[4:5], s23, v4
	ds_write2st64_b64 v3, v[0:1], v[0:1] offset1:16
	s_and_b64 s[6:7], vcc, s[4:5]
	v_lshlrev_b32_e32 v0, 3, v4
	s_and_saveexec_b64 s[4:5], s[6:7]
	s_cbranch_execz .LBB70_3
; %bb.2:
	s_mul_i32 s6, s13, s3
	s_mul_hi_u32 s7, s12, s3
	s_add_i32 s7, s7, s6
	s_mul_i32 s6, s12, s3
	s_lshl_b64 s[6:7], s[6:7], 3
	s_add_u32 s6, s8, s6
	s_addc_u32 s7, s9, s7
	v_mad_u64_u32 v[6:7], s[8:9], s10, v2, 0
	v_mov_b32_e32 v8, v7
	v_mad_u64_u32 v[8:9], s[8:9], s11, v2, v[8:9]
	v_mov_b32_e32 v7, v8
	v_lshl_add_u64 v[6:7], v[6:7], 3, s[6:7]
	v_mov_b32_e32 v1, 0
	v_lshl_add_u64 v[6:7], v[6:7], 0, v[0:1]
	global_load_dwordx2 v[6:7], v[6:7], off
	s_waitcnt vmcnt(0)
	ds_write_b64 v3, v[6:7]
.LBB70_3:
	s_or_b64 exec, exec, s[4:5]
	s_add_i32 s4, s22, -1
	s_ashr_i32 s5, s4, 31
	s_lshr_b32 s5, s5, 27
	s_add_i32 s4, s4, s5
	s_ashr_i32 s5, s4, 5
	s_andn2_b32 s4, s4, 31
	s_sub_i32 s4, s22, s4
	s_cmp_ge_i32 s2, s5
	s_cselect_b32 s4, s4, 32
	s_lshl_b32 s8, s2, 5
	v_cmp_gt_i32_e64 s[4:5], s4, v4
	s_ashr_i32 s9, s8, 31
	s_and_b64 s[4:5], vcc, s[4:5]
	s_and_saveexec_b64 s[6:7], s[4:5]
	s_cbranch_execz .LBB70_5
; %bb.4:
	s_mul_i32 s2, s19, s3
	s_mul_hi_u32 s10, s18, s3
	s_add_i32 s11, s10, s2
	s_mul_i32 s10, s18, s3
	s_lshl_b64 s[10:11], s[10:11], 3
	s_add_u32 s2, s14, s10
	s_addc_u32 s12, s15, s11
	s_lshl_b64 s[10:11], s[8:9], 3
	s_add_u32 s10, s2, s10
	s_addc_u32 s11, s12, s11
	v_mad_u64_u32 v[6:7], s[12:13], s16, v2, 0
	v_mov_b32_e32 v8, v7
	v_mad_u64_u32 v[8:9], s[12:13], s17, v2, v[8:9]
	v_mov_b32_e32 v7, v8
	v_lshl_add_u64 v[6:7], v[6:7], 3, s[10:11]
	v_mov_b32_e32 v1, 0
	v_lshl_add_u64 v[6:7], v[6:7], 0, v[0:1]
	global_load_dwordx2 v[6:7], v[6:7], off
	v_add_u32_e32 v1, 0x2000, v3
	s_waitcnt vmcnt(0)
	ds_write_b64 v1, v[6:7]
.LBB70_5:
	s_or_b64 exec, exec, s[6:7]
	s_cmpk_eq_i32 s21, 0x84
	s_cselect_b64 s[6:7], -1, 0
	v_cmp_eq_u32_e32 vcc, v2, v4
	s_and_b64 s[10:11], vcc, s[6:7]
	s_and_saveexec_b64 s[6:7], s[10:11]
; %bb.6:
	v_mov_b32_e32 v6, 0
	v_mov_b32_e32 v7, 0x3ff00000
	ds_write_b64 v3, v[6:7]
; %bb.7:
	s_or_b64 exec, exec, s[6:7]
	s_cmpk_lg_i32 s20, 0x79
	s_cbranch_scc0 .LBB70_9
; %bb.8:
	v_cmp_lt_u32_e32 vcc, v4, v2
	s_and_b64 s[6:7], vcc, exec
	s_cbranch_execz .LBB70_10
	s_branch .LBB70_11
.LBB70_9:
	s_mov_b64 s[6:7], 0
.LBB70_10:
	v_cmp_gt_u32_e32 vcc, v4, v2
	s_andn2_b64 s[6:7], s[6:7], exec
	s_and_b64 s[10:11], vcc, exec
	s_or_b64 s[6:7], s[6:7], s[10:11]
.LBB70_11:
	s_and_saveexec_b64 s[10:11], s[6:7]
; %bb.12:
	v_mov_b32_e32 v4, 0
	v_mov_b32_e32 v5, v4
	ds_write_b64 v3, v[4:5]
; %bb.13:
	s_or_b64 exec, exec, s[10:11]
	s_waitcnt lgkmcnt(0)
	s_barrier
	s_and_saveexec_b64 s[6:7], s[4:5]
	s_cbranch_execz .LBB70_15
; %bb.14:
	v_add_u32_e32 v1, 0x2000, v0
	v_lshlrev_b32_e32 v3, 3, v2
	s_load_dwordx2 s[10:11], s[0:1], 0x60
	s_load_dwordx4 s[4:7], s[0:1], 0x50
	ds_read2_b64 v[4:7], v1 offset1:32
	ds_read2_b64 v[8:11], v3 offset1:32
	v_add_u32_e32 v30, 0x800, v3
	s_waitcnt lgkmcnt(0)
	s_mul_i32 s1, s11, s3
	s_mul_hi_u32 s2, s10, s3
	s_mul_i32 s0, s10, s3
	v_fma_f64 v[28:29], v[4:5], v[8:9], 0
	v_fmac_f64_e32 v[28:29], v[6:7], v[10:11]
	ds_read2_b64 v[4:7], v1 offset0:64 offset1:96
	ds_read2_b64 v[8:11], v3 offset0:64 offset1:96
	;; [unrolled: 1-line block ×6, first 2 shown]
	s_waitcnt lgkmcnt(4)
	v_fmac_f64_e32 v[28:29], v[4:5], v[8:9]
	v_add_u32_e32 v1, 0x2800, v0
	v_fmac_f64_e32 v[28:29], v[6:7], v[10:11]
	ds_read2_b64 v[4:7], v1 offset1:32
	s_waitcnt lgkmcnt(3)
	v_fmac_f64_e32 v[28:29], v[12:13], v[16:17]
	v_fmac_f64_e32 v[28:29], v[14:15], v[18:19]
	s_waitcnt lgkmcnt(1)
	v_fmac_f64_e32 v[28:29], v[20:21], v[24:25]
	v_fmac_f64_e32 v[28:29], v[22:23], v[26:27]
	ds_read2_b64 v[8:11], v30 offset1:32
	ds_read2_b64 v[12:15], v1 offset0:64 offset1:96
	ds_read2_b64 v[16:19], v30 offset0:64 offset1:96
	;; [unrolled: 1-line block ×4, first 2 shown]
	s_waitcnt lgkmcnt(4)
	v_fmac_f64_e32 v[28:29], v[4:5], v[8:9]
	v_fmac_f64_e32 v[28:29], v[6:7], v[10:11]
	ds_read2_b64 v[4:7], v1 offset0:192 offset1:224
	ds_read2_b64 v[8:11], v30 offset0:192 offset1:224
	s_waitcnt lgkmcnt(4)
	v_fmac_f64_e32 v[28:29], v[12:13], v[16:17]
	v_add_u32_e32 v1, 0x3000, v0
	v_fmac_f64_e32 v[28:29], v[14:15], v[18:19]
	ds_read2_b64 v[12:15], v1 offset1:32
	s_waitcnt lgkmcnt(3)
	v_fmac_f64_e32 v[28:29], v[20:21], v[24:25]
	v_add_u32_e32 v30, 0x1000, v3
	v_fmac_f64_e32 v[28:29], v[22:23], v[26:27]
	ds_read2_b64 v[16:19], v30 offset1:32
	ds_read2_b64 v[20:23], v1 offset0:64 offset1:96
	ds_read2_b64 v[24:27], v30 offset0:64 offset1:96
	s_waitcnt lgkmcnt(4)
	v_fmac_f64_e32 v[28:29], v[4:5], v[8:9]
	v_fmac_f64_e32 v[28:29], v[6:7], v[10:11]
	s_waitcnt lgkmcnt(2)
	v_fmac_f64_e32 v[28:29], v[12:13], v[16:17]
	v_fmac_f64_e32 v[28:29], v[14:15], v[18:19]
	ds_read2_b64 v[4:7], v1 offset0:128 offset1:160
	ds_read2_b64 v[8:11], v30 offset0:128 offset1:160
	;; [unrolled: 1-line block ×4, first 2 shown]
	s_waitcnt lgkmcnt(4)
	v_fmac_f64_e32 v[28:29], v[20:21], v[24:25]
	v_add_u32_e32 v1, 0x3800, v0
	v_add_u32_e32 v3, 0x1800, v3
	v_fmac_f64_e32 v[28:29], v[22:23], v[26:27]
	ds_read2_b64 v[20:23], v1 offset1:32
	ds_read2_b64 v[24:27], v3 offset1:32
	s_waitcnt lgkmcnt(4)
	v_fmac_f64_e32 v[28:29], v[4:5], v[8:9]
	v_fmac_f64_e32 v[28:29], v[6:7], v[10:11]
	s_add_i32 s1, s2, s1
	s_waitcnt lgkmcnt(2)
	v_fmac_f64_e32 v[28:29], v[12:13], v[16:17]
	s_lshl_b64 s[0:1], s[0:1], 3
	v_fmac_f64_e32 v[28:29], v[14:15], v[18:19]
	s_add_u32 s2, s4, s0
	s_waitcnt lgkmcnt(0)
	v_fmac_f64_e32 v[28:29], v[20:21], v[24:25]
	s_addc_u32 s3, s5, s1
	s_lshl_b64 s[0:1], s[8:9], 3
	v_fmac_f64_e32 v[28:29], v[22:23], v[26:27]
	ds_read2_b64 v[4:7], v1 offset0:64 offset1:96
	ds_read2_b64 v[8:11], v3 offset0:64 offset1:96
	;; [unrolled: 1-line block ×6, first 2 shown]
	s_add_u32 s0, s2, s0
	s_waitcnt lgkmcnt(4)
	v_fmac_f64_e32 v[28:29], v[4:5], v[8:9]
	s_addc_u32 s1, s3, s1
	v_fmac_f64_e32 v[28:29], v[6:7], v[10:11]
	v_mad_u64_u32 v[6:7], s[2:3], s6, v2, 0
	s_waitcnt lgkmcnt(2)
	v_fmac_f64_e32 v[28:29], v[12:13], v[16:17]
	v_mov_b32_e32 v8, v7
	v_fmac_f64_e32 v[28:29], v[14:15], v[18:19]
	v_mad_u64_u32 v[2:3], s[2:3], s7, v2, v[8:9]
	s_waitcnt lgkmcnt(0)
	v_fmac_f64_e32 v[28:29], v[20:21], v[24:25]
	v_mov_b32_e32 v7, v2
	v_fmac_f64_e32 v[28:29], v[22:23], v[26:27]
	v_lshl_add_u64 v[2:3], v[6:7], 3, s[0:1]
	v_mov_b32_e32 v1, 0
	v_mul_f64 v[4:5], s[24:25], v[28:29]
	v_lshl_add_u64 v[0:1], v[2:3], 0, v[0:1]
	global_store_dwordx2 v[0:1], v[4:5], off
.LBB70_15:
	s_endpgm
	.section	.rodata,"a",@progbits
	.p2align	6, 0x0
	.amdhsa_kernel _ZL23rocblas_trmm_rTx_kernelILi32ELb1EdPKdS0_dEv13rocblas_fill_17rocblas_diagonal_iiT2_lPT3_llS6_llPT4_lli
		.amdhsa_group_segment_fixed_size 16384
		.amdhsa_private_segment_fixed_size 0
		.amdhsa_kernarg_size 108
		.amdhsa_user_sgpr_count 2
		.amdhsa_user_sgpr_dispatch_ptr 0
		.amdhsa_user_sgpr_queue_ptr 0
		.amdhsa_user_sgpr_kernarg_segment_ptr 1
		.amdhsa_user_sgpr_dispatch_id 0
		.amdhsa_user_sgpr_kernarg_preload_length 0
		.amdhsa_user_sgpr_kernarg_preload_offset 0
		.amdhsa_user_sgpr_private_segment_size 0
		.amdhsa_uses_dynamic_stack 0
		.amdhsa_enable_private_segment 0
		.amdhsa_system_sgpr_workgroup_id_x 1
		.amdhsa_system_sgpr_workgroup_id_y 0
		.amdhsa_system_sgpr_workgroup_id_z 1
		.amdhsa_system_sgpr_workgroup_info 0
		.amdhsa_system_vgpr_workitem_id 1
		.amdhsa_next_free_vgpr 31
		.amdhsa_next_free_sgpr 26
		.amdhsa_accum_offset 32
		.amdhsa_reserve_vcc 1
		.amdhsa_float_round_mode_32 0
		.amdhsa_float_round_mode_16_64 0
		.amdhsa_float_denorm_mode_32 3
		.amdhsa_float_denorm_mode_16_64 3
		.amdhsa_dx10_clamp 1
		.amdhsa_ieee_mode 1
		.amdhsa_fp16_overflow 0
		.amdhsa_tg_split 0
		.amdhsa_exception_fp_ieee_invalid_op 0
		.amdhsa_exception_fp_denorm_src 0
		.amdhsa_exception_fp_ieee_div_zero 0
		.amdhsa_exception_fp_ieee_overflow 0
		.amdhsa_exception_fp_ieee_underflow 0
		.amdhsa_exception_fp_ieee_inexact 0
		.amdhsa_exception_int_div_zero 0
	.end_amdhsa_kernel
	.section	.text._ZL23rocblas_trmm_rTx_kernelILi32ELb1EdPKdS0_dEv13rocblas_fill_17rocblas_diagonal_iiT2_lPT3_llS6_llPT4_lli,"axG",@progbits,_ZL23rocblas_trmm_rTx_kernelILi32ELb1EdPKdS0_dEv13rocblas_fill_17rocblas_diagonal_iiT2_lPT3_llS6_llPT4_lli,comdat
.Lfunc_end70:
	.size	_ZL23rocblas_trmm_rTx_kernelILi32ELb1EdPKdS0_dEv13rocblas_fill_17rocblas_diagonal_iiT2_lPT3_llS6_llPT4_lli, .Lfunc_end70-_ZL23rocblas_trmm_rTx_kernelILi32ELb1EdPKdS0_dEv13rocblas_fill_17rocblas_diagonal_iiT2_lPT3_llS6_llPT4_lli
                                        ; -- End function
	.set _ZL23rocblas_trmm_rTx_kernelILi32ELb1EdPKdS0_dEv13rocblas_fill_17rocblas_diagonal_iiT2_lPT3_llS6_llPT4_lli.num_vgpr, 31
	.set _ZL23rocblas_trmm_rTx_kernelILi32ELb1EdPKdS0_dEv13rocblas_fill_17rocblas_diagonal_iiT2_lPT3_llS6_llPT4_lli.num_agpr, 0
	.set _ZL23rocblas_trmm_rTx_kernelILi32ELb1EdPKdS0_dEv13rocblas_fill_17rocblas_diagonal_iiT2_lPT3_llS6_llPT4_lli.numbered_sgpr, 26
	.set _ZL23rocblas_trmm_rTx_kernelILi32ELb1EdPKdS0_dEv13rocblas_fill_17rocblas_diagonal_iiT2_lPT3_llS6_llPT4_lli.num_named_barrier, 0
	.set _ZL23rocblas_trmm_rTx_kernelILi32ELb1EdPKdS0_dEv13rocblas_fill_17rocblas_diagonal_iiT2_lPT3_llS6_llPT4_lli.private_seg_size, 0
	.set _ZL23rocblas_trmm_rTx_kernelILi32ELb1EdPKdS0_dEv13rocblas_fill_17rocblas_diagonal_iiT2_lPT3_llS6_llPT4_lli.uses_vcc, 1
	.set _ZL23rocblas_trmm_rTx_kernelILi32ELb1EdPKdS0_dEv13rocblas_fill_17rocblas_diagonal_iiT2_lPT3_llS6_llPT4_lli.uses_flat_scratch, 0
	.set _ZL23rocblas_trmm_rTx_kernelILi32ELb1EdPKdS0_dEv13rocblas_fill_17rocblas_diagonal_iiT2_lPT3_llS6_llPT4_lli.has_dyn_sized_stack, 0
	.set _ZL23rocblas_trmm_rTx_kernelILi32ELb1EdPKdS0_dEv13rocblas_fill_17rocblas_diagonal_iiT2_lPT3_llS6_llPT4_lli.has_recursion, 0
	.set _ZL23rocblas_trmm_rTx_kernelILi32ELb1EdPKdS0_dEv13rocblas_fill_17rocblas_diagonal_iiT2_lPT3_llS6_llPT4_lli.has_indirect_call, 0
	.section	.AMDGPU.csdata,"",@progbits
; Kernel info:
; codeLenInByte = 1192
; TotalNumSgprs: 32
; NumVgprs: 31
; NumAgprs: 0
; TotalNumVgprs: 31
; ScratchSize: 0
; MemoryBound: 0
; FloatMode: 240
; IeeeMode: 1
; LDSByteSize: 16384 bytes/workgroup (compile time only)
; SGPRBlocks: 3
; VGPRBlocks: 3
; NumSGPRsForWavesPerEU: 32
; NumVGPRsForWavesPerEU: 31
; AccumOffset: 32
; Occupancy: 8
; WaveLimiterHint : 0
; COMPUTE_PGM_RSRC2:SCRATCH_EN: 0
; COMPUTE_PGM_RSRC2:USER_SGPR: 2
; COMPUTE_PGM_RSRC2:TRAP_HANDLER: 0
; COMPUTE_PGM_RSRC2:TGID_X_EN: 1
; COMPUTE_PGM_RSRC2:TGID_Y_EN: 0
; COMPUTE_PGM_RSRC2:TGID_Z_EN: 1
; COMPUTE_PGM_RSRC2:TIDIG_COMP_CNT: 1
; COMPUTE_PGM_RSRC3_GFX90A:ACCUM_OFFSET: 7
; COMPUTE_PGM_RSRC3_GFX90A:TG_SPLIT: 0
	.section	.text._ZL23rocblas_trmm_rTx_kernelILi32ELb1EddKddEv13rocblas_fill_17rocblas_diagonal_iiT2_lPT3_llS5_llPT4_lli,"axG",@progbits,_ZL23rocblas_trmm_rTx_kernelILi32ELb1EddKddEv13rocblas_fill_17rocblas_diagonal_iiT2_lPT3_llS5_llPT4_lli,comdat
	.globl	_ZL23rocblas_trmm_rTx_kernelILi32ELb1EddKddEv13rocblas_fill_17rocblas_diagonal_iiT2_lPT3_llS5_llPT4_lli ; -- Begin function _ZL23rocblas_trmm_rTx_kernelILi32ELb1EddKddEv13rocblas_fill_17rocblas_diagonal_iiT2_lPT3_llS5_llPT4_lli
	.p2align	8
	.type	_ZL23rocblas_trmm_rTx_kernelILi32ELb1EddKddEv13rocblas_fill_17rocblas_diagonal_iiT2_lPT3_llS5_llPT4_lli,@function
_ZL23rocblas_trmm_rTx_kernelILi32ELb1EddKddEv13rocblas_fill_17rocblas_diagonal_iiT2_lPT3_llS5_llPT4_lli: ; @_ZL23rocblas_trmm_rTx_kernelILi32ELb1EddKddEv13rocblas_fill_17rocblas_diagonal_iiT2_lPT3_llS5_llPT4_lli
; %bb.0:
	s_load_dwordx2 s[6:7], s[0:1], 0x10
	s_waitcnt lgkmcnt(0)
	v_cmp_eq_f64_e64 s[4:5], s[6:7], 0
	s_and_b64 vcc, exec, s[4:5]
	s_cbranch_vccnz .LBB71_15
; %bb.1:
	s_load_dwordx4 s[24:27], s[0:1], 0x0
	s_load_dwordx16 s[8:23], s[0:1], 0x20
	v_bfe_u32 v2, v0, 10, 10
	s_mov_b32 s4, 0
	v_and_b32_e32 v4, 0x3ff, v0
	v_lshlrev_b32_e32 v0, 5, v2
	s_mov_b32 s5, s4
	v_add_lshl_u32 v3, v0, v4, 3
	v_mov_b64_e32 v[0:1], s[4:5]
	s_waitcnt lgkmcnt(0)
	v_cmp_gt_i32_e32 vcc, s27, v2
	v_cmp_gt_i32_e64 s[4:5], s27, v4
	ds_write2st64_b64 v3, v[0:1], v[0:1] offset1:16
	s_and_b64 s[28:29], vcc, s[4:5]
	v_lshlrev_b32_e32 v0, 3, v4
	s_and_saveexec_b64 s[4:5], s[28:29]
	s_cbranch_execz .LBB71_3
; %bb.2:
	s_mul_i32 s13, s13, s3
	s_mul_hi_u32 s27, s12, s3
	s_add_i32 s13, s27, s13
	s_mul_i32 s12, s12, s3
	s_lshl_b64 s[12:13], s[12:13], 3
	s_add_u32 s8, s8, s12
	s_addc_u32 s9, s9, s13
	v_mad_u64_u32 v[6:7], s[12:13], s10, v2, 0
	v_mov_b32_e32 v8, v7
	v_mad_u64_u32 v[8:9], s[10:11], s11, v2, v[8:9]
	v_mov_b32_e32 v7, v8
	v_lshl_add_u64 v[6:7], v[6:7], 3, s[8:9]
	v_mov_b32_e32 v1, 0
	v_lshl_add_u64 v[6:7], v[6:7], 0, v[0:1]
	global_load_dwordx2 v[6:7], v[6:7], off
	s_waitcnt vmcnt(0)
	ds_write_b64 v3, v[6:7]
.LBB71_3:
	s_or_b64 exec, exec, s[4:5]
	s_add_i32 s4, s26, -1
	s_ashr_i32 s5, s4, 31
	s_lshr_b32 s5, s5, 27
	s_add_i32 s4, s4, s5
	s_ashr_i32 s5, s4, 5
	s_andn2_b32 s4, s4, 31
	s_sub_i32 s4, s26, s4
	s_cmp_ge_i32 s2, s5
	s_cselect_b32 s4, s4, 32
	s_lshl_b32 s8, s2, 5
	v_cmp_gt_i32_e64 s[4:5], s4, v4
	s_ashr_i32 s9, s8, 31
	s_and_b64 s[4:5], vcc, s[4:5]
	s_and_saveexec_b64 s[10:11], s[4:5]
	s_cbranch_execz .LBB71_5
; %bb.4:
	s_mul_i32 s2, s19, s3
	s_mul_hi_u32 s12, s18, s3
	s_add_i32 s13, s12, s2
	s_mul_i32 s12, s18, s3
	s_lshl_b64 s[12:13], s[12:13], 3
	s_add_u32 s2, s14, s12
	s_addc_u32 s14, s15, s13
	s_lshl_b64 s[12:13], s[8:9], 3
	s_add_u32 s12, s2, s12
	s_addc_u32 s13, s14, s13
	v_mad_u64_u32 v[6:7], s[14:15], s16, v2, 0
	v_mov_b32_e32 v8, v7
	v_mad_u64_u32 v[8:9], s[14:15], s17, v2, v[8:9]
	v_mov_b32_e32 v7, v8
	v_lshl_add_u64 v[6:7], v[6:7], 3, s[12:13]
	v_mov_b32_e32 v1, 0
	v_lshl_add_u64 v[6:7], v[6:7], 0, v[0:1]
	global_load_dwordx2 v[6:7], v[6:7], off
	v_add_u32_e32 v1, 0x2000, v3
	s_waitcnt vmcnt(0)
	ds_write_b64 v1, v[6:7]
.LBB71_5:
	s_or_b64 exec, exec, s[10:11]
	s_cmpk_eq_i32 s25, 0x84
	s_cselect_b64 s[10:11], -1, 0
	v_cmp_eq_u32_e32 vcc, v2, v4
	s_and_b64 s[12:13], vcc, s[10:11]
	s_and_saveexec_b64 s[10:11], s[12:13]
; %bb.6:
	v_mov_b32_e32 v6, 0
	v_mov_b32_e32 v7, 0x3ff00000
	ds_write_b64 v3, v[6:7]
; %bb.7:
	s_or_b64 exec, exec, s[10:11]
	s_cmpk_lg_i32 s24, 0x79
	s_cbranch_scc0 .LBB71_9
; %bb.8:
	v_cmp_lt_u32_e32 vcc, v4, v2
	s_and_b64 s[10:11], vcc, exec
	s_cbranch_execz .LBB71_10
	s_branch .LBB71_11
.LBB71_9:
	s_mov_b64 s[10:11], 0
.LBB71_10:
	v_cmp_gt_u32_e32 vcc, v4, v2
	s_andn2_b64 s[10:11], s[10:11], exec
	s_and_b64 s[12:13], vcc, exec
	s_or_b64 s[10:11], s[10:11], s[12:13]
.LBB71_11:
	s_and_saveexec_b64 s[12:13], s[10:11]
; %bb.12:
	v_mov_b32_e32 v4, 0
	v_mov_b32_e32 v5, v4
	ds_write_b64 v3, v[4:5]
; %bb.13:
	s_or_b64 exec, exec, s[12:13]
	s_waitcnt lgkmcnt(0)
	s_barrier
	s_and_saveexec_b64 s[10:11], s[4:5]
	s_cbranch_execz .LBB71_15
; %bb.14:
	v_add_u32_e32 v1, 0x2000, v0
	v_lshlrev_b32_e32 v3, 3, v2
	ds_read2_b64 v[4:7], v1 offset1:32
	ds_read2_b64 v[8:11], v3 offset1:32
	v_add_u32_e32 v30, 0x800, v3
	s_load_dwordx2 s[0:1], s[0:1], 0x60
	s_waitcnt lgkmcnt(0)
	v_fma_f64 v[28:29], v[4:5], v[8:9], 0
	v_fmac_f64_e32 v[28:29], v[6:7], v[10:11]
	ds_read2_b64 v[4:7], v1 offset0:64 offset1:96
	ds_read2_b64 v[8:11], v3 offset0:64 offset1:96
	;; [unrolled: 1-line block ×6, first 2 shown]
	s_waitcnt lgkmcnt(4)
	v_fmac_f64_e32 v[28:29], v[4:5], v[8:9]
	v_add_u32_e32 v1, 0x2800, v0
	v_fmac_f64_e32 v[28:29], v[6:7], v[10:11]
	ds_read2_b64 v[4:7], v1 offset1:32
	s_waitcnt lgkmcnt(3)
	v_fmac_f64_e32 v[28:29], v[12:13], v[16:17]
	v_fmac_f64_e32 v[28:29], v[14:15], v[18:19]
	s_waitcnt lgkmcnt(1)
	v_fmac_f64_e32 v[28:29], v[20:21], v[24:25]
	v_fmac_f64_e32 v[28:29], v[22:23], v[26:27]
	ds_read2_b64 v[8:11], v30 offset1:32
	ds_read2_b64 v[12:15], v1 offset0:64 offset1:96
	ds_read2_b64 v[16:19], v30 offset0:64 offset1:96
	;; [unrolled: 1-line block ×4, first 2 shown]
	s_waitcnt lgkmcnt(4)
	v_fmac_f64_e32 v[28:29], v[4:5], v[8:9]
	v_fmac_f64_e32 v[28:29], v[6:7], v[10:11]
	ds_read2_b64 v[4:7], v1 offset0:192 offset1:224
	ds_read2_b64 v[8:11], v30 offset0:192 offset1:224
	s_waitcnt lgkmcnt(4)
	v_fmac_f64_e32 v[28:29], v[12:13], v[16:17]
	v_add_u32_e32 v1, 0x3000, v0
	v_fmac_f64_e32 v[28:29], v[14:15], v[18:19]
	ds_read2_b64 v[12:15], v1 offset1:32
	s_waitcnt lgkmcnt(3)
	v_fmac_f64_e32 v[28:29], v[20:21], v[24:25]
	v_add_u32_e32 v30, 0x1000, v3
	v_fmac_f64_e32 v[28:29], v[22:23], v[26:27]
	ds_read2_b64 v[16:19], v30 offset1:32
	ds_read2_b64 v[20:23], v1 offset0:64 offset1:96
	ds_read2_b64 v[24:27], v30 offset0:64 offset1:96
	s_waitcnt lgkmcnt(4)
	v_fmac_f64_e32 v[28:29], v[4:5], v[8:9]
	v_fmac_f64_e32 v[28:29], v[6:7], v[10:11]
	s_waitcnt lgkmcnt(2)
	v_fmac_f64_e32 v[28:29], v[12:13], v[16:17]
	v_fmac_f64_e32 v[28:29], v[14:15], v[18:19]
	ds_read2_b64 v[4:7], v1 offset0:128 offset1:160
	ds_read2_b64 v[8:11], v30 offset0:128 offset1:160
	;; [unrolled: 1-line block ×4, first 2 shown]
	s_waitcnt lgkmcnt(4)
	v_fmac_f64_e32 v[28:29], v[20:21], v[24:25]
	v_add_u32_e32 v1, 0x3800, v0
	v_add_u32_e32 v3, 0x1800, v3
	v_fmac_f64_e32 v[28:29], v[22:23], v[26:27]
	ds_read2_b64 v[20:23], v1 offset1:32
	ds_read2_b64 v[24:27], v3 offset1:32
	s_waitcnt lgkmcnt(4)
	v_fmac_f64_e32 v[28:29], v[4:5], v[8:9]
	s_mul_i32 s1, s1, s3
	s_mul_hi_u32 s2, s0, s3
	v_fmac_f64_e32 v[28:29], v[6:7], v[10:11]
	s_mul_i32 s0, s0, s3
	s_add_i32 s1, s2, s1
	s_waitcnt lgkmcnt(2)
	v_fmac_f64_e32 v[28:29], v[12:13], v[16:17]
	s_lshl_b64 s[0:1], s[0:1], 3
	v_fmac_f64_e32 v[28:29], v[14:15], v[18:19]
	s_add_u32 s2, s20, s0
	s_waitcnt lgkmcnt(0)
	v_fmac_f64_e32 v[28:29], v[20:21], v[24:25]
	s_addc_u32 s3, s21, s1
	s_lshl_b64 s[0:1], s[8:9], 3
	v_fmac_f64_e32 v[28:29], v[22:23], v[26:27]
	ds_read2_b64 v[4:7], v1 offset0:64 offset1:96
	ds_read2_b64 v[8:11], v3 offset0:64 offset1:96
	;; [unrolled: 1-line block ×6, first 2 shown]
	s_add_u32 s0, s2, s0
	s_waitcnt lgkmcnt(4)
	v_fmac_f64_e32 v[28:29], v[4:5], v[8:9]
	s_addc_u32 s1, s3, s1
	v_fmac_f64_e32 v[28:29], v[6:7], v[10:11]
	v_mad_u64_u32 v[6:7], s[2:3], s22, v2, 0
	s_waitcnt lgkmcnt(2)
	v_fmac_f64_e32 v[28:29], v[12:13], v[16:17]
	v_mov_b32_e32 v8, v7
	v_fmac_f64_e32 v[28:29], v[14:15], v[18:19]
	v_mad_u64_u32 v[2:3], s[2:3], s23, v2, v[8:9]
	s_waitcnt lgkmcnt(0)
	v_fmac_f64_e32 v[28:29], v[20:21], v[24:25]
	v_mov_b32_e32 v7, v2
	v_fmac_f64_e32 v[28:29], v[22:23], v[26:27]
	v_lshl_add_u64 v[2:3], v[6:7], 3, s[0:1]
	v_mov_b32_e32 v1, 0
	v_mul_f64 v[4:5], s[6:7], v[28:29]
	v_lshl_add_u64 v[0:1], v[2:3], 0, v[0:1]
	global_store_dwordx2 v[0:1], v[4:5], off
.LBB71_15:
	s_endpgm
	.section	.rodata,"a",@progbits
	.p2align	6, 0x0
	.amdhsa_kernel _ZL23rocblas_trmm_rTx_kernelILi32ELb1EddKddEv13rocblas_fill_17rocblas_diagonal_iiT2_lPT3_llS5_llPT4_lli
		.amdhsa_group_segment_fixed_size 16384
		.amdhsa_private_segment_fixed_size 0
		.amdhsa_kernarg_size 108
		.amdhsa_user_sgpr_count 2
		.amdhsa_user_sgpr_dispatch_ptr 0
		.amdhsa_user_sgpr_queue_ptr 0
		.amdhsa_user_sgpr_kernarg_segment_ptr 1
		.amdhsa_user_sgpr_dispatch_id 0
		.amdhsa_user_sgpr_kernarg_preload_length 0
		.amdhsa_user_sgpr_kernarg_preload_offset 0
		.amdhsa_user_sgpr_private_segment_size 0
		.amdhsa_uses_dynamic_stack 0
		.amdhsa_enable_private_segment 0
		.amdhsa_system_sgpr_workgroup_id_x 1
		.amdhsa_system_sgpr_workgroup_id_y 0
		.amdhsa_system_sgpr_workgroup_id_z 1
		.amdhsa_system_sgpr_workgroup_info 0
		.amdhsa_system_vgpr_workitem_id 1
		.amdhsa_next_free_vgpr 31
		.amdhsa_next_free_sgpr 30
		.amdhsa_accum_offset 32
		.amdhsa_reserve_vcc 1
		.amdhsa_float_round_mode_32 0
		.amdhsa_float_round_mode_16_64 0
		.amdhsa_float_denorm_mode_32 3
		.amdhsa_float_denorm_mode_16_64 3
		.amdhsa_dx10_clamp 1
		.amdhsa_ieee_mode 1
		.amdhsa_fp16_overflow 0
		.amdhsa_tg_split 0
		.amdhsa_exception_fp_ieee_invalid_op 0
		.amdhsa_exception_fp_denorm_src 0
		.amdhsa_exception_fp_ieee_div_zero 0
		.amdhsa_exception_fp_ieee_overflow 0
		.amdhsa_exception_fp_ieee_underflow 0
		.amdhsa_exception_fp_ieee_inexact 0
		.amdhsa_exception_int_div_zero 0
	.end_amdhsa_kernel
	.section	.text._ZL23rocblas_trmm_rTx_kernelILi32ELb1EddKddEv13rocblas_fill_17rocblas_diagonal_iiT2_lPT3_llS5_llPT4_lli,"axG",@progbits,_ZL23rocblas_trmm_rTx_kernelILi32ELb1EddKddEv13rocblas_fill_17rocblas_diagonal_iiT2_lPT3_llS5_llPT4_lli,comdat
.Lfunc_end71:
	.size	_ZL23rocblas_trmm_rTx_kernelILi32ELb1EddKddEv13rocblas_fill_17rocblas_diagonal_iiT2_lPT3_llS5_llPT4_lli, .Lfunc_end71-_ZL23rocblas_trmm_rTx_kernelILi32ELb1EddKddEv13rocblas_fill_17rocblas_diagonal_iiT2_lPT3_llS5_llPT4_lli
                                        ; -- End function
	.set _ZL23rocblas_trmm_rTx_kernelILi32ELb1EddKddEv13rocblas_fill_17rocblas_diagonal_iiT2_lPT3_llS5_llPT4_lli.num_vgpr, 31
	.set _ZL23rocblas_trmm_rTx_kernelILi32ELb1EddKddEv13rocblas_fill_17rocblas_diagonal_iiT2_lPT3_llS5_llPT4_lli.num_agpr, 0
	.set _ZL23rocblas_trmm_rTx_kernelILi32ELb1EddKddEv13rocblas_fill_17rocblas_diagonal_iiT2_lPT3_llS5_llPT4_lli.numbered_sgpr, 30
	.set _ZL23rocblas_trmm_rTx_kernelILi32ELb1EddKddEv13rocblas_fill_17rocblas_diagonal_iiT2_lPT3_llS5_llPT4_lli.num_named_barrier, 0
	.set _ZL23rocblas_trmm_rTx_kernelILi32ELb1EddKddEv13rocblas_fill_17rocblas_diagonal_iiT2_lPT3_llS5_llPT4_lli.private_seg_size, 0
	.set _ZL23rocblas_trmm_rTx_kernelILi32ELb1EddKddEv13rocblas_fill_17rocblas_diagonal_iiT2_lPT3_llS5_llPT4_lli.uses_vcc, 1
	.set _ZL23rocblas_trmm_rTx_kernelILi32ELb1EddKddEv13rocblas_fill_17rocblas_diagonal_iiT2_lPT3_llS5_llPT4_lli.uses_flat_scratch, 0
	.set _ZL23rocblas_trmm_rTx_kernelILi32ELb1EddKddEv13rocblas_fill_17rocblas_diagonal_iiT2_lPT3_llS5_llPT4_lli.has_dyn_sized_stack, 0
	.set _ZL23rocblas_trmm_rTx_kernelILi32ELb1EddKddEv13rocblas_fill_17rocblas_diagonal_iiT2_lPT3_llS5_llPT4_lli.has_recursion, 0
	.set _ZL23rocblas_trmm_rTx_kernelILi32ELb1EddKddEv13rocblas_fill_17rocblas_diagonal_iiT2_lPT3_llS5_llPT4_lli.has_indirect_call, 0
	.section	.AMDGPU.csdata,"",@progbits
; Kernel info:
; codeLenInByte = 1152
; TotalNumSgprs: 36
; NumVgprs: 31
; NumAgprs: 0
; TotalNumVgprs: 31
; ScratchSize: 0
; MemoryBound: 0
; FloatMode: 240
; IeeeMode: 1
; LDSByteSize: 16384 bytes/workgroup (compile time only)
; SGPRBlocks: 4
; VGPRBlocks: 3
; NumSGPRsForWavesPerEU: 36
; NumVGPRsForWavesPerEU: 31
; AccumOffset: 32
; Occupancy: 8
; WaveLimiterHint : 0
; COMPUTE_PGM_RSRC2:SCRATCH_EN: 0
; COMPUTE_PGM_RSRC2:USER_SGPR: 2
; COMPUTE_PGM_RSRC2:TRAP_HANDLER: 0
; COMPUTE_PGM_RSRC2:TGID_X_EN: 1
; COMPUTE_PGM_RSRC2:TGID_Y_EN: 0
; COMPUTE_PGM_RSRC2:TGID_Z_EN: 1
; COMPUTE_PGM_RSRC2:TIDIG_COMP_CNT: 1
; COMPUTE_PGM_RSRC3_GFX90A:ACCUM_OFFSET: 7
; COMPUTE_PGM_RSRC3_GFX90A:TG_SPLIT: 0
	.section	.text._ZL30rocblas_trmm_outofplace_kernelI19rocblas_complex_numIfELi32ELi2ELb1ELb0ELb0ELb0EPKS1_S2_S1_Ev17rocblas_diagonal_iiT6_lPT7_lllS7_lllPT8_llli,"axG",@progbits,_ZL30rocblas_trmm_outofplace_kernelI19rocblas_complex_numIfELi32ELi2ELb1ELb0ELb0ELb0EPKS1_S2_S1_Ev17rocblas_diagonal_iiT6_lPT7_lllS7_lllPT8_llli,comdat
	.globl	_ZL30rocblas_trmm_outofplace_kernelI19rocblas_complex_numIfELi32ELi2ELb1ELb0ELb0ELb0EPKS1_S2_S1_Ev17rocblas_diagonal_iiT6_lPT7_lllS7_lllPT8_llli ; -- Begin function _ZL30rocblas_trmm_outofplace_kernelI19rocblas_complex_numIfELi32ELi2ELb1ELb0ELb0ELb0EPKS1_S2_S1_Ev17rocblas_diagonal_iiT6_lPT7_lllS7_lllPT8_llli
	.p2align	8
	.type	_ZL30rocblas_trmm_outofplace_kernelI19rocblas_complex_numIfELi32ELi2ELb1ELb0ELb0ELb0EPKS1_S2_S1_Ev17rocblas_diagonal_iiT6_lPT7_lllS7_lllPT8_llli,@function
_ZL30rocblas_trmm_outofplace_kernelI19rocblas_complex_numIfELi32ELi2ELb1ELb0ELb0ELb0EPKS1_S2_S1_Ev17rocblas_diagonal_iiT6_lPT7_lllS7_lllPT8_llli: ; @_ZL30rocblas_trmm_outofplace_kernelI19rocblas_complex_numIfELi32ELi2ELb1ELb0ELb0ELb0EPKS1_S2_S1_Ev17rocblas_diagonal_iiT6_lPT7_lllS7_lllPT8_llli
; %bb.0:
	s_load_dwordx16 s[16:31], s[0:1], 0x10
	s_waitcnt lgkmcnt(0)
	s_mul_i32 s5, s19, s4
	s_mul_hi_u32 s6, s18, s4
	s_add_i32 s7, s6, s5
	s_mul_i32 s6, s18, s4
	s_lshl_b64 s[6:7], s[6:7], 3
	s_add_u32 s6, s16, s6
	s_addc_u32 s7, s17, s7
	s_load_dwordx2 s[18:19], s[6:7], 0x0
	s_waitcnt lgkmcnt(0)
	s_or_b32 s5, s18, s19
	s_bitset0_b32 s5, 31
	s_cmp_eq_u32 s5, 0
	s_cbranch_scc1 .LBB72_59
; %bb.1:
	s_load_dwordx4 s[44:47], s[0:1], 0x0
	s_waitcnt lgkmcnt(0)
	s_add_i32 s5, s46, -1
	s_ashr_i32 s6, s5, 31
	s_lshr_b32 s6, s6, 27
	s_add_i32 s5, s5, s6
	s_ashr_i32 s33, s5, 5
	s_cmp_gt_i32 s3, s33
	s_cbranch_scc1 .LBB72_59
; %bb.2:
	s_load_dwordx4 s[48:51], s[0:1], 0x70
	s_load_dwordx8 s[36:43], s[0:1], 0x50
	s_load_dword s47, s[0:1], 0x8c
	v_bfe_u32 v12, v0, 10, 10
	v_and_b32_e32 v14, 0x3ff, v0
	v_lshlrev_b32_e32 v0, 8, v12
	s_waitcnt lgkmcnt(0)
	s_mul_i32 s0, s51, s4
	s_mul_hi_u32 s1, s50, s4
	s_add_i32 s1, s1, s0
	s_mul_i32 s0, s50, s4
	s_lshl_b64 s[0:1], s[0:1], 3
	s_add_u32 s5, s40, s0
	s_addc_u32 s6, s41, s1
	s_lshl_b64 s[0:1], s[42:43], 3
	v_lshlrev_b32_e32 v18, 3, v14
	s_add_u32 s34, s5, s0
	v_add_u32_e32 v51, v18, v0
	v_add_u32_e32 v53, 0x2000, v0
	v_mov_b32_e32 v0, 0x80
	s_addc_u32 s35, s6, s1
	s_lshl_b32 s56, s2, 5
	v_lshl_add_u32 v1, v12, 3, v0
	s_cmp_gt_i32 s2, -1
	v_mad_u64_u32 v[30:31], s[8:9], s24, v1, 0
	s_cselect_b64 s[40:41], -1, 0
	s_cmpk_eq_i32 s44, 0x84
	v_mov_b32_e32 v0, v31
	s_cselect_b64 s[42:43], -1, 0
	s_ashr_i32 s51, s45, 31
	s_ashr_i32 s2, s46, 31
	s_lshl_b64 s[52:53], s[24:25], 8
	v_mad_u64_u32 v[0:1], s[8:9], s25, v1, v[0:1]
	s_add_u32 s54, s45, -16
	s_mul_i32 s5, s27, s4
	s_mul_hi_u32 s8, s26, s4
	s_addc_u32 s55, s51, -1
	s_add_i32 s9, s8, s5
	s_mul_i32 s8, s26, s4
	s_lshl_b64 s[8:9], s[8:9], 3
	s_lshl_b64 s[10:11], s[22:23], 3
	s_add_u32 s5, s8, s10
	s_addc_u32 s9, s9, s11
	v_add_u32_e32 v16, s56, v14
	s_add_u32 s8, s20, s5
	v_ashrrev_i32_e32 v17, 31, v16
	s_addc_u32 s9, s21, s9
	v_lshl_add_u64 v[32:33], v[16:17], 3, s[8:9]
	s_mul_i32 s5, s39, s4
	s_mul_hi_u32 s8, s38, s4
	s_add_i32 s5, s8, s5
	s_mul_i32 s4, s38, s4
	s_lshl_b64 s[4:5], s[4:5], 3
	s_lshl_b64 s[8:9], s[30:31], 3
	s_add_u32 s4, s4, s8
	s_addc_u32 s5, s5, s9
	s_add_u32 s20, s28, s4
	v_mov_b32_e32 v31, v0
	s_addc_u32 s21, s29, s5
	v_mad_u64_u32 v[0:1], s[4:5], s24, v12, 0
	v_mov_b32_e32 v2, v1
	v_sub_co_u32_e32 v24, vcc, v16, v12
	v_mad_u64_u32 v[2:3], s[4:5], s25, v12, v[2:3]
	v_mov_b32_e32 v13, 0
	s_mov_b32 s50, s45
	v_lshl_add_u64 v[20:21], v[16:17], 0, 16
	v_add_u32_e32 v22, 16, v16
	v_subbrev_co_u32_e32 v25, vcc, 0, v17, vcc
	v_mov_b32_e32 v1, v2
	v_mov_b32_e32 v15, v13
	v_add_u32_e32 v55, v53, v18
	v_cmp_le_i32_e64 s[0:1], s45, v16
	v_cmp_le_i64_e64 s[14:15], s[50:51], v[20:21]
	v_cmp_gt_i32_e64 s[16:17], s45, v16
	v_cmp_gt_i32_e64 s[6:7], s45, v22
	v_ashrrev_i32_e32 v23, 31, v22
	s_mov_b32 s44, s19
	s_mov_b32 s45, s18
	v_lshl_add_u64 v[26:27], v[24:25], 0, 16
	v_lshl_add_u64 v[28:29], v[24:25], 0, -16
	v_mov_b32_e32 v19, v13
	s_lshl_b64 s[22:23], s[36:37], 3
	v_lshl_add_u32 v34, s3, 5, v12
	s_lshl_b32 s57, s47, 5
	v_lshlrev_b64 v[36:37], 3, v[0:1]
	s_mov_b64 s[24:25], 0x100
	v_mov_b64_e32 v[38:39], 0x80
	v_mov_b32_e32 v66, v13
	v_mov_b32_e32 v67, v13
	v_mov_b32_e32 v40, 1.0
	v_mov_b32_e32 v41, v13
	v_add_u32_e32 v57, 0x800, v18
	v_add_u32_e32 v59, 0x1000, v18
	;; [unrolled: 1-line block ×3, first 2 shown]
	s_branch .LBB72_4
.LBB72_3:                               ;   in Loop: Header=BB72_4 Depth=1
	s_or_b64 exec, exec, s[4:5]
	s_add_i32 s3, s47, s3
	s_cmp_le_i32 s3, s33
	v_add_u32_e32 v34, s57, v34
	s_cbranch_scc0 .LBB72_59
.LBB72_4:                               ; =>This Loop Header: Depth=1
                                        ;     Child Loop BB72_7 Depth 2
	v_lshl_add_u32 v42, s3, 5, v12
	v_ashrrev_i32_e32 v43, 31, v42
	s_andn2_b64 vcc, exec, s[40:41]
	v_mov_b32_e32 v62, 0
	v_mov_b32_e32 v64, 0
	;; [unrolled: 1-line block ×8, first 2 shown]
	s_cbranch_vccnz .LBB72_51
; %bb.5:                                ;   in Loop: Header=BB72_4 Depth=1
	v_ashrrev_i32_e32 v35, 31, v34
	v_mov_b64_e32 v[0:1], s[20:21]
	v_mad_u64_u32 v[44:45], s[4:5], s22, v34, v[0:1]
	v_mul_lo_u32 v2, s23, v34
	v_mul_lo_u32 v3, s22, v35
	v_add3_u32 v45, v2, v45, v3
	v_lshl_add_u64 v[2:3], v[34:35], 3, v[38:39]
	v_mad_u64_u32 v[46:47], s[4:5], s36, v2, v[0:1]
	v_mov_b32_e32 v1, s2
	v_sub_co_u32_e32 v0, vcc, s46, v42
	v_mul_lo_u32 v3, s36, v3
	v_mul_lo_u32 v4, s37, v2
	v_subb_co_u32_e32 v1, vcc, v1, v43, vcc
	v_add3_u32 v47, v4, v47, v3
	s_mov_b64 s[26:27], 0
	v_cmp_lt_i64_e32 vcc, 0, v[0:1]
	v_cmp_lt_i64_e64 s[8:9], 16, v[0:1]
	v_mov_b32_e32 v50, 0
	v_mov_b64_e32 v[48:49], v[32:33]
	v_mov_b32_e32 v52, 0
	v_mov_b32_e32 v56, 0
	;; [unrolled: 1-line block ×7, first 2 shown]
	s_branch .LBB72_7
.LBB72_6:                               ;   in Loop: Header=BB72_7 Depth=2
	s_or_b64 exec, exec, s[4:5]
	s_waitcnt lgkmcnt(0)
	s_barrier
	ds_read2_b64 v[68:71], v18 offset1:16
	ds_read_b128 v[72:75], v53
	ds_read_b128 v[8:11], v53 offset:16
	ds_read_b128 v[4:7], v53 offset:32
	;; [unrolled: 1-line block ×3, first 2 shown]
	ds_read2_b64 v[80:83], v18 offset0:32 offset1:48
	s_waitcnt lgkmcnt(4)
	v_mul_f32_e32 v35, v73, v69
	v_fma_f32 v35, v72, v68, -v35
	v_mul_f32_e32 v63, v72, v69
	v_fmac_f32_e32 v63, v73, v68
	v_add_f32_e32 v35, v62, v35
	v_mul_f32_e32 v62, v73, v71
	v_add_f32_e32 v84, v64, v63
	v_fma_f32 v76, v72, v70, -v62
	ds_read_b128 v[62:65], v53 offset:4096
	v_mul_f32_e32 v72, v72, v71
	v_fmac_f32_e32 v72, v73, v70
	v_add_f32_e32 v58, v58, v76
	v_add_f32_e32 v60, v60, v72
	ds_read_b128 v[76:79], v53 offset:4112
	s_waitcnt lgkmcnt(1)
	v_mul_f32_e32 v72, v63, v69
	v_mul_f32_e32 v69, v62, v69
	v_fma_f32 v72, v62, v68, -v72
	v_fmac_f32_e32 v69, v63, v68
	v_mul_f32_e32 v68, v63, v71
	v_fma_f32 v68, v62, v70, -v68
	v_mul_f32_e32 v62, v62, v71
	v_fmac_f32_e32 v62, v63, v70
	v_add_f32_e32 v52, v52, v68
	v_add_f32_e32 v50, v50, v62
	v_mul_f32_e32 v62, v75, v81
	v_mul_f32_e32 v63, v74, v81
	;; [unrolled: 1-line block ×3, first 2 shown]
	v_fma_f32 v62, v74, v80, -v62
	v_fmac_f32_e32 v63, v75, v80
	v_fmac_f32_e32 v68, v75, v82
	v_add_f32_e32 v35, v35, v62
	v_add_f32_e32 v62, v84, v63
	v_mul_f32_e32 v63, v75, v83
	v_add_f32_e32 v60, v60, v68
	v_mul_f32_e32 v68, v64, v81
	v_add_f32_e32 v56, v56, v69
	v_fma_f32 v63, v74, v82, -v63
	v_fmac_f32_e32 v68, v65, v80
	v_add_f32_e32 v58, v58, v63
	v_mul_f32_e32 v63, v65, v81
	v_add_f32_e32 v56, v56, v68
	ds_read2_b64 v[68:71], v18 offset0:64 offset1:80
	v_add_f32_e32 v54, v54, v72
	v_fma_f32 v63, v64, v80, -v63
	v_add_f32_e32 v54, v54, v63
	v_mul_f32_e32 v63, v65, v83
	v_fma_f32 v63, v64, v82, -v63
	v_mul_f32_e32 v64, v64, v83
	v_fmac_f32_e32 v64, v65, v82
	v_add_f32_e32 v50, v50, v64
	s_waitcnt lgkmcnt(0)
	v_mul_f32_e32 v64, v8, v69
	v_fmac_f32_e32 v64, v9, v68
	v_add_f32_e32 v52, v52, v63
	v_mul_f32_e32 v63, v9, v69
	v_add_f32_e32 v72, v62, v64
	v_mul_f32_e32 v62, v9, v71
	v_fma_f32 v63, v8, v68, -v63
	v_fma_f32 v62, v8, v70, -v62
	v_mul_f32_e32 v8, v8, v71
	v_add_f32_e32 v35, v35, v63
	v_fmac_f32_e32 v8, v9, v70
	v_add_f32_e32 v9, v58, v62
	ds_read2_b64 v[62:65], v18 offset0:96 offset1:112
	v_add_f32_e32 v8, v60, v8
	v_mul_f32_e32 v58, v77, v69
	v_mul_f32_e32 v60, v76, v69
	v_fma_f32 v58, v76, v68, -v58
	v_fmac_f32_e32 v60, v77, v68
	v_add_f32_e32 v54, v54, v58
	v_add_f32_e32 v56, v56, v60
	v_mul_f32_e32 v58, v77, v71
	v_mul_f32_e32 v60, v76, v71
	v_fma_f32 v58, v76, v70, -v58
	v_fmac_f32_e32 v60, v77, v70
	v_add_f32_e32 v52, v52, v58
	v_add_f32_e32 v50, v50, v60
	s_waitcnt lgkmcnt(0)
	v_mul_f32_e32 v58, v11, v63
	v_mul_f32_e32 v60, v10, v63
	v_fma_f32 v58, v10, v62, -v58
	v_fmac_f32_e32 v60, v11, v62
	v_add_f32_e32 v35, v35, v58
	v_add_f32_e32 v58, v72, v60
	v_mul_f32_e32 v60, v11, v65
	v_fma_f32 v60, v10, v64, -v60
	v_mul_f32_e32 v10, v10, v65
	v_fmac_f32_e32 v10, v11, v64
	v_add_f32_e32 v68, v8, v10
	v_mul_f32_e32 v8, v79, v63
	v_add_f32_e32 v60, v9, v60
	v_fma_f32 v8, v78, v62, -v8
	v_mul_f32_e32 v9, v78, v63
	v_fmac_f32_e32 v9, v79, v62
	v_add_f32_e32 v54, v54, v8
	v_mul_f32_e32 v8, v79, v65
	v_add_f32_e32 v56, v56, v9
	v_fma_f32 v62, v78, v64, -v8
	ds_read2_b64 v[8:11], v18 offset0:128 offset1:144
	v_mul_f32_e32 v63, v78, v65
	v_fmac_f32_e32 v63, v79, v64
	v_add_f32_e32 v52, v52, v62
	v_add_f32_e32 v50, v50, v63
	s_waitcnt lgkmcnt(0)
	v_mul_f32_e32 v62, v5, v9
	v_fma_f32 v62, v4, v8, -v62
	v_mul_f32_e32 v63, v4, v9
	v_fmac_f32_e32 v63, v5, v8
	v_add_f32_e32 v35, v35, v62
	v_mul_f32_e32 v62, v5, v11
	v_add_f32_e32 v58, v58, v63
	v_fma_f32 v69, v4, v10, -v62
	ds_read_b128 v[62:65], v53 offset:4128
	v_mul_f32_e32 v4, v4, v11
	v_fmac_f32_e32 v4, v5, v10
	ds_read2_b64 v[72:75], v18 offset0:160 offset1:176
	v_add_f32_e32 v5, v60, v69
	v_add_f32_e32 v4, v68, v4
	ds_read_b128 v[68:71], v53 offset:4144
	s_waitcnt lgkmcnt(2)
	v_mul_f32_e32 v60, v63, v9
	v_fma_f32 v60, v62, v8, -v60
	v_mul_f32_e32 v9, v62, v9
	v_fmac_f32_e32 v9, v63, v8
	v_add_f32_e32 v8, v54, v60
	v_mul_f32_e32 v54, v63, v11
	v_mul_f32_e32 v11, v62, v11
	v_fma_f32 v54, v62, v10, -v54
	v_fmac_f32_e32 v11, v63, v10
	v_add_f32_e32 v10, v52, v54
	v_add_f32_e32 v11, v50, v11
	s_waitcnt lgkmcnt(1)
	v_mul_f32_e32 v50, v7, v73
	v_mul_f32_e32 v52, v6, v73
	v_fma_f32 v50, v6, v72, -v50
	v_fmac_f32_e32 v52, v7, v72
	v_add_f32_e32 v35, v35, v50
	v_add_f32_e32 v50, v58, v52
	v_mul_f32_e32 v52, v7, v75
	v_fma_f32 v52, v6, v74, -v52
	v_mul_f32_e32 v6, v6, v75
	v_fmac_f32_e32 v6, v7, v74
	v_add_f32_e32 v54, v4, v6
	v_mul_f32_e32 v4, v65, v73
	v_add_f32_e32 v52, v5, v52
	v_fma_f32 v4, v64, v72, -v4
	v_mul_f32_e32 v5, v64, v73
	v_add_f32_e32 v9, v56, v9
	v_fmac_f32_e32 v5, v65, v72
	v_add_f32_e32 v8, v8, v4
	v_mul_f32_e32 v4, v65, v75
	v_add_f32_e32 v9, v9, v5
	v_fma_f32 v56, v64, v74, -v4
	ds_read2_b64 v[4:7], v18 offset0:192 offset1:208
	v_add_f32_e32 v56, v10, v56
	v_mul_f32_e32 v58, v64, v75
	v_fmac_f32_e32 v58, v65, v74
	v_add_f32_e32 v58, v11, v58
	s_waitcnt lgkmcnt(0)
	v_mul_f32_e32 v10, v1, v5
	v_fma_f32 v10, v0, v4, -v10
	v_add_f32_e32 v35, v35, v10
	v_mul_f32_e32 v10, v1, v7
	v_mul_f32_e32 v11, v0, v5
	v_fma_f32 v10, v0, v6, -v10
	v_mul_f32_e32 v0, v0, v7
	v_fmac_f32_e32 v11, v1, v4
	v_fmac_f32_e32 v0, v1, v6
	v_add_f32_e32 v1, v52, v10
	v_mul_f32_e32 v10, v69, v5
	v_fma_f32 v10, v68, v4, -v10
	v_mul_f32_e32 v5, v68, v5
	v_fmac_f32_e32 v5, v69, v4
	v_add_f32_e32 v4, v8, v10
	v_mul_f32_e32 v8, v69, v7
	v_add_f32_e32 v50, v50, v11
	v_add_f32_e32 v5, v9, v5
	v_fma_f32 v52, v68, v6, -v8
	ds_read2_b64 v[8:11], v18 offset0:224 offset1:240
	v_mul_f32_e32 v7, v68, v7
	v_fmac_f32_e32 v7, v69, v6
	v_add_f32_e32 v0, v54, v0
	v_add_f32_e32 v54, v58, v7
	s_waitcnt lgkmcnt(0)
	v_mul_f32_e32 v6, v3, v9
	v_fma_f32 v6, v2, v8, -v6
	v_add_f32_e32 v35, v35, v6
	v_mul_f32_e32 v6, v3, v11
	v_mul_f32_e32 v7, v2, v9
	v_fma_f32 v6, v2, v10, -v6
	v_mul_f32_e32 v2, v2, v11
	v_fmac_f32_e32 v2, v3, v10
	v_add_f32_e32 v58, v0, v2
	v_mul_f32_e32 v0, v71, v9
	v_add_f32_e32 v52, v56, v52
	v_add_f32_e32 v56, v1, v6
	v_fma_f32 v0, v70, v8, -v0
	v_mul_f32_e32 v1, v70, v9
	v_fmac_f32_e32 v7, v3, v8
	v_fmac_f32_e32 v1, v71, v8
	v_add_f32_e32 v60, v4, v0
	v_mul_f32_e32 v0, v71, v11
	v_add_f32_e32 v50, v50, v7
	v_add_f32_e32 v72, v5, v1
	v_fma_f32 v8, v70, v10, -v0
	ds_read_b128 v[0:3], v53 offset:64
	ds_read2_b64 v[4:7], v57 offset1:16
	v_mul_f32_e32 v9, v70, v11
	v_fmac_f32_e32 v9, v71, v10
	v_add_f32_e32 v52, v52, v8
	v_add_f32_e32 v54, v54, v9
	s_waitcnt lgkmcnt(0)
	v_mul_f32_e32 v62, v1, v5
	v_fma_f32 v62, v0, v4, -v62
	v_mul_f32_e32 v63, v0, v5
	v_fmac_f32_e32 v63, v1, v4
	v_add_f32_e32 v35, v35, v62
	v_mul_f32_e32 v62, v1, v7
	ds_read_b128 v[8:11], v53 offset:80
	v_add_f32_e32 v50, v50, v63
	v_fma_f32 v68, v0, v6, -v62
	ds_read_b128 v[62:65], v53 offset:4160
	v_mul_f32_e32 v0, v0, v7
	v_fmac_f32_e32 v0, v1, v6
	v_add_f32_e32 v1, v56, v68
	v_add_f32_e32 v0, v58, v0
	s_waitcnt lgkmcnt(0)
	v_mul_f32_e32 v56, v63, v5
	v_mul_f32_e32 v5, v62, v5
	v_fmac_f32_e32 v5, v63, v4
	v_add_f32_e32 v5, v72, v5
	ds_read2_b64 v[72:75], v57 offset0:32 offset1:48
	v_fma_f32 v56, v62, v4, -v56
	v_add_f32_e32 v4, v60, v56
	v_mul_f32_e32 v56, v63, v7
	v_fma_f32 v56, v62, v6, -v56
	v_mul_f32_e32 v7, v62, v7
	v_fmac_f32_e32 v7, v63, v6
	v_add_f32_e32 v6, v52, v56
	s_waitcnt lgkmcnt(0)
	v_mul_f32_e32 v52, v3, v73
	v_fma_f32 v52, v2, v72, -v52
	v_add_f32_e32 v35, v35, v52
	v_mul_f32_e32 v52, v3, v75
	v_add_f32_e32 v7, v54, v7
	v_mul_f32_e32 v54, v2, v73
	v_fma_f32 v52, v2, v74, -v52
	v_mul_f32_e32 v2, v2, v75
	v_fmac_f32_e32 v54, v3, v72
	v_fmac_f32_e32 v2, v3, v74
	v_add_f32_e32 v50, v50, v54
	v_add_f32_e32 v54, v0, v2
	v_mul_f32_e32 v0, v65, v73
	v_add_f32_e32 v52, v1, v52
	v_fma_f32 v0, v64, v72, -v0
	v_mul_f32_e32 v1, v64, v73
	v_fmac_f32_e32 v1, v65, v72
	v_add_f32_e32 v4, v4, v0
	v_mul_f32_e32 v0, v65, v75
	v_add_f32_e32 v5, v5, v1
	v_fma_f32 v56, v64, v74, -v0
	ds_read2_b64 v[0:3], v57 offset0:64 offset1:80
	ds_read_b128 v[68:71], v53 offset:4176
	v_mul_f32_e32 v58, v64, v75
	v_add_f32_e32 v56, v6, v56
	v_fmac_f32_e32 v58, v65, v74
	s_waitcnt lgkmcnt(1)
	v_mul_f32_e32 v6, v9, v1
	v_fma_f32 v6, v8, v0, -v6
	v_add_f32_e32 v58, v7, v58
	v_mul_f32_e32 v7, v8, v1
	v_add_f32_e32 v35, v35, v6
	v_mul_f32_e32 v6, v9, v3
	v_fmac_f32_e32 v7, v9, v0
	v_fma_f32 v6, v8, v2, -v6
	v_add_f32_e32 v50, v50, v7
	v_mul_f32_e32 v7, v8, v3
	v_add_f32_e32 v8, v52, v6
	s_waitcnt lgkmcnt(0)
	v_mul_f32_e32 v6, v69, v1
	v_fma_f32 v6, v68, v0, -v6
	v_mul_f32_e32 v1, v68, v1
	v_fmac_f32_e32 v7, v9, v2
	v_fmac_f32_e32 v1, v69, v0
	v_add_f32_e32 v0, v4, v6
	v_mul_f32_e32 v4, v69, v3
	v_add_f32_e32 v9, v54, v7
	v_add_f32_e32 v1, v5, v1
	v_fma_f32 v52, v68, v2, -v4
	ds_read2_b64 v[4:7], v57 offset0:96 offset1:112
	v_mul_f32_e32 v3, v68, v3
	v_fmac_f32_e32 v3, v69, v2
	v_add_f32_e32 v54, v58, v3
	v_add_f32_e32 v52, v56, v52
	s_waitcnt lgkmcnt(0)
	v_mul_f32_e32 v2, v11, v5
	v_fma_f32 v2, v10, v4, -v2
	v_mul_f32_e32 v3, v10, v5
	v_fmac_f32_e32 v3, v11, v4
	v_add_f32_e32 v35, v35, v2
	v_mul_f32_e32 v2, v11, v7
	v_add_f32_e32 v50, v50, v3
	v_fma_f32 v2, v10, v6, -v2
	v_mul_f32_e32 v3, v10, v7
	v_fmac_f32_e32 v3, v11, v6
	v_add_f32_e32 v56, v8, v2
	v_mul_f32_e32 v2, v71, v5
	v_add_f32_e32 v58, v9, v3
	;; [unrolled: 6-line block ×3, first 2 shown]
	v_fma_f32 v4, v70, v6, -v0
	ds_read_b128 v[0:3], v53 offset:96
	ds_read2_b64 v[8:11], v57 offset0:128 offset1:144
	v_mul_f32_e32 v5, v70, v7
	v_fmac_f32_e32 v5, v71, v6
	v_add_f32_e32 v52, v52, v4
	v_add_f32_e32 v54, v54, v5
	s_waitcnt lgkmcnt(0)
	v_mul_f32_e32 v62, v1, v9
	v_fma_f32 v62, v0, v8, -v62
	v_mul_f32_e32 v63, v0, v9
	v_fmac_f32_e32 v63, v1, v8
	v_add_f32_e32 v35, v35, v62
	v_mul_f32_e32 v62, v1, v11
	ds_read_b128 v[4:7], v53 offset:112
	v_add_f32_e32 v50, v50, v63
	v_fma_f32 v68, v0, v10, -v62
	ds_read_b128 v[62:65], v53 offset:4192
	v_mul_f32_e32 v0, v0, v11
	v_fmac_f32_e32 v0, v1, v10
	v_add_f32_e32 v1, v56, v68
	v_add_f32_e32 v0, v58, v0
	s_waitcnt lgkmcnt(0)
	v_mul_f32_e32 v56, v63, v9
	v_mul_f32_e32 v9, v62, v9
	v_fmac_f32_e32 v9, v63, v8
	v_add_f32_e32 v9, v72, v9
	ds_read2_b64 v[72:75], v57 offset0:160 offset1:176
	v_fma_f32 v56, v62, v8, -v56
	v_add_f32_e32 v8, v60, v56
	v_mul_f32_e32 v56, v63, v11
	v_fma_f32 v56, v62, v10, -v56
	v_mul_f32_e32 v11, v62, v11
	v_fmac_f32_e32 v11, v63, v10
	v_add_f32_e32 v10, v52, v56
	s_waitcnt lgkmcnt(0)
	v_mul_f32_e32 v52, v3, v73
	v_fma_f32 v52, v2, v72, -v52
	v_add_f32_e32 v35, v35, v52
	v_mul_f32_e32 v52, v3, v75
	v_add_f32_e32 v11, v54, v11
	v_mul_f32_e32 v54, v2, v73
	v_fma_f32 v52, v2, v74, -v52
	v_mul_f32_e32 v2, v2, v75
	v_fmac_f32_e32 v54, v3, v72
	v_fmac_f32_e32 v2, v3, v74
	v_add_f32_e32 v50, v50, v54
	v_add_f32_e32 v54, v0, v2
	v_mul_f32_e32 v0, v65, v73
	v_add_f32_e32 v52, v1, v52
	v_fma_f32 v0, v64, v72, -v0
	v_mul_f32_e32 v1, v64, v73
	v_fmac_f32_e32 v1, v65, v72
	v_add_f32_e32 v8, v8, v0
	v_mul_f32_e32 v0, v65, v75
	v_add_f32_e32 v9, v9, v1
	v_fma_f32 v56, v64, v74, -v0
	ds_read2_b64 v[0:3], v57 offset0:192 offset1:208
	ds_read_b128 v[68:71], v53 offset:4208
	v_add_f32_e32 v56, v10, v56
	v_mul_f32_e32 v58, v64, v75
	v_fmac_f32_e32 v58, v65, v74
	s_waitcnt lgkmcnt(1)
	v_mul_f32_e32 v10, v5, v1
	v_fma_f32 v10, v4, v0, -v10
	v_add_f32_e32 v35, v35, v10
	v_mul_f32_e32 v10, v5, v3
	v_add_f32_e32 v58, v11, v58
	v_mul_f32_e32 v11, v4, v1
	v_fma_f32 v10, v4, v2, -v10
	v_mul_f32_e32 v4, v4, v3
	v_fmac_f32_e32 v11, v5, v0
	v_fmac_f32_e32 v4, v5, v2
	v_add_f32_e32 v5, v52, v10
	s_waitcnt lgkmcnt(0)
	v_mul_f32_e32 v10, v69, v1
	v_fma_f32 v10, v68, v0, -v10
	v_mul_f32_e32 v1, v68, v1
	v_fmac_f32_e32 v1, v69, v0
	v_add_f32_e32 v0, v8, v10
	v_mul_f32_e32 v8, v69, v3
	v_add_f32_e32 v50, v50, v11
	v_add_f32_e32 v1, v9, v1
	v_fma_f32 v52, v68, v2, -v8
	ds_read2_b64 v[8:11], v57 offset0:224 offset1:240
	v_mul_f32_e32 v3, v68, v3
	v_fmac_f32_e32 v3, v69, v2
	v_add_f32_e32 v4, v54, v4
	v_add_f32_e32 v54, v58, v3
	s_waitcnt lgkmcnt(0)
	v_mul_f32_e32 v2, v7, v9
	v_fma_f32 v2, v6, v8, -v2
	v_mul_f32_e32 v3, v6, v9
	v_fmac_f32_e32 v3, v7, v8
	v_add_f32_e32 v35, v35, v2
	v_mul_f32_e32 v2, v7, v11
	v_add_f32_e32 v50, v50, v3
	v_fma_f32 v2, v6, v10, -v2
	v_mul_f32_e32 v3, v6, v11
	v_add_f32_e32 v52, v56, v52
	v_fmac_f32_e32 v3, v7, v10
	v_add_f32_e32 v56, v5, v2
	v_mul_f32_e32 v2, v71, v9
	v_add_f32_e32 v58, v4, v3
	v_fma_f32 v2, v70, v8, -v2
	v_mul_f32_e32 v3, v70, v9
	v_fmac_f32_e32 v3, v71, v8
	v_add_f32_e32 v60, v0, v2
	v_mul_f32_e32 v0, v71, v11
	v_add_f32_e32 v72, v1, v3
	v_fma_f32 v8, v70, v10, -v0
	ds_read_b128 v[0:3], v53 offset:128
	ds_read2_b64 v[4:7], v59 offset1:16
	v_mul_f32_e32 v9, v70, v11
	v_fmac_f32_e32 v9, v71, v10
	v_add_f32_e32 v52, v52, v8
	v_add_f32_e32 v54, v54, v9
	s_waitcnt lgkmcnt(0)
	v_mul_f32_e32 v62, v1, v5
	v_fma_f32 v62, v0, v4, -v62
	v_mul_f32_e32 v63, v0, v5
	v_fmac_f32_e32 v63, v1, v4
	v_add_f32_e32 v35, v35, v62
	v_mul_f32_e32 v62, v1, v7
	ds_read_b128 v[8:11], v53 offset:144
	v_add_f32_e32 v50, v50, v63
	v_fma_f32 v68, v0, v6, -v62
	ds_read_b128 v[62:65], v53 offset:4224
	v_mul_f32_e32 v0, v0, v7
	v_fmac_f32_e32 v0, v1, v6
	v_add_f32_e32 v1, v56, v68
	v_add_f32_e32 v0, v58, v0
	s_waitcnt lgkmcnt(0)
	v_mul_f32_e32 v56, v63, v5
	v_mul_f32_e32 v5, v62, v5
	v_fmac_f32_e32 v5, v63, v4
	v_add_f32_e32 v5, v72, v5
	ds_read2_b64 v[72:75], v59 offset0:32 offset1:48
	v_fma_f32 v56, v62, v4, -v56
	v_add_f32_e32 v4, v60, v56
	v_mul_f32_e32 v56, v63, v7
	v_fma_f32 v56, v62, v6, -v56
	v_mul_f32_e32 v7, v62, v7
	v_fmac_f32_e32 v7, v63, v6
	v_add_f32_e32 v6, v52, v56
	s_waitcnt lgkmcnt(0)
	v_mul_f32_e32 v52, v3, v73
	v_fma_f32 v52, v2, v72, -v52
	v_add_f32_e32 v35, v35, v52
	v_mul_f32_e32 v52, v3, v75
	v_add_f32_e32 v7, v54, v7
	v_mul_f32_e32 v54, v2, v73
	v_fma_f32 v52, v2, v74, -v52
	v_mul_f32_e32 v2, v2, v75
	v_fmac_f32_e32 v54, v3, v72
	v_fmac_f32_e32 v2, v3, v74
	v_add_f32_e32 v50, v50, v54
	v_add_f32_e32 v54, v0, v2
	v_mul_f32_e32 v0, v65, v73
	v_add_f32_e32 v52, v1, v52
	v_fma_f32 v0, v64, v72, -v0
	v_mul_f32_e32 v1, v64, v73
	v_fmac_f32_e32 v1, v65, v72
	v_add_f32_e32 v4, v4, v0
	v_mul_f32_e32 v0, v65, v75
	v_add_f32_e32 v5, v5, v1
	v_fma_f32 v56, v64, v74, -v0
	ds_read2_b64 v[0:3], v59 offset0:64 offset1:80
	ds_read_b128 v[68:71], v53 offset:4240
	v_mul_f32_e32 v58, v64, v75
	v_add_f32_e32 v56, v6, v56
	v_fmac_f32_e32 v58, v65, v74
	s_waitcnt lgkmcnt(1)
	v_mul_f32_e32 v6, v9, v1
	v_fma_f32 v6, v8, v0, -v6
	v_add_f32_e32 v58, v7, v58
	v_mul_f32_e32 v7, v8, v1
	v_add_f32_e32 v35, v35, v6
	v_mul_f32_e32 v6, v9, v3
	v_fmac_f32_e32 v7, v9, v0
	v_fma_f32 v6, v8, v2, -v6
	v_add_f32_e32 v50, v50, v7
	v_mul_f32_e32 v7, v8, v3
	v_add_f32_e32 v8, v52, v6
	s_waitcnt lgkmcnt(0)
	v_mul_f32_e32 v6, v69, v1
	v_fma_f32 v6, v68, v0, -v6
	v_mul_f32_e32 v1, v68, v1
	v_fmac_f32_e32 v7, v9, v2
	v_fmac_f32_e32 v1, v69, v0
	v_add_f32_e32 v0, v4, v6
	v_mul_f32_e32 v4, v69, v3
	v_add_f32_e32 v9, v54, v7
	v_add_f32_e32 v1, v5, v1
	v_fma_f32 v52, v68, v2, -v4
	ds_read2_b64 v[4:7], v59 offset0:96 offset1:112
	v_mul_f32_e32 v3, v68, v3
	v_fmac_f32_e32 v3, v69, v2
	v_add_f32_e32 v54, v58, v3
	v_add_f32_e32 v52, v56, v52
	s_waitcnt lgkmcnt(0)
	v_mul_f32_e32 v2, v11, v5
	v_fma_f32 v2, v10, v4, -v2
	v_mul_f32_e32 v3, v10, v5
	v_fmac_f32_e32 v3, v11, v4
	v_add_f32_e32 v35, v35, v2
	v_mul_f32_e32 v2, v11, v7
	v_add_f32_e32 v50, v50, v3
	v_fma_f32 v2, v10, v6, -v2
	v_mul_f32_e32 v3, v10, v7
	v_fmac_f32_e32 v3, v11, v6
	v_add_f32_e32 v56, v8, v2
	v_mul_f32_e32 v2, v71, v5
	v_add_f32_e32 v58, v9, v3
	;; [unrolled: 6-line block ×3, first 2 shown]
	v_fma_f32 v4, v70, v6, -v0
	ds_read_b128 v[0:3], v53 offset:160
	ds_read2_b64 v[8:11], v59 offset0:128 offset1:144
	v_mul_f32_e32 v5, v70, v7
	v_fmac_f32_e32 v5, v71, v6
	v_add_f32_e32 v52, v52, v4
	v_add_f32_e32 v54, v54, v5
	s_waitcnt lgkmcnt(0)
	v_mul_f32_e32 v62, v1, v9
	v_fma_f32 v62, v0, v8, -v62
	v_mul_f32_e32 v63, v0, v9
	v_fmac_f32_e32 v63, v1, v8
	v_add_f32_e32 v35, v35, v62
	v_mul_f32_e32 v62, v1, v11
	ds_read_b128 v[4:7], v53 offset:176
	v_add_f32_e32 v50, v50, v63
	v_fma_f32 v68, v0, v10, -v62
	ds_read_b128 v[62:65], v53 offset:4256
	v_mul_f32_e32 v0, v0, v11
	v_fmac_f32_e32 v0, v1, v10
	v_add_f32_e32 v1, v56, v68
	v_add_f32_e32 v0, v58, v0
	s_waitcnt lgkmcnt(0)
	v_mul_f32_e32 v56, v63, v9
	v_mul_f32_e32 v9, v62, v9
	v_fmac_f32_e32 v9, v63, v8
	v_add_f32_e32 v9, v72, v9
	ds_read2_b64 v[72:75], v59 offset0:160 offset1:176
	v_fma_f32 v56, v62, v8, -v56
	v_add_f32_e32 v8, v60, v56
	v_mul_f32_e32 v56, v63, v11
	v_fma_f32 v56, v62, v10, -v56
	v_mul_f32_e32 v11, v62, v11
	v_fmac_f32_e32 v11, v63, v10
	v_add_f32_e32 v10, v52, v56
	s_waitcnt lgkmcnt(0)
	v_mul_f32_e32 v52, v3, v73
	v_fma_f32 v52, v2, v72, -v52
	v_add_f32_e32 v35, v35, v52
	v_mul_f32_e32 v52, v3, v75
	v_add_f32_e32 v11, v54, v11
	v_mul_f32_e32 v54, v2, v73
	v_fma_f32 v52, v2, v74, -v52
	v_mul_f32_e32 v2, v2, v75
	v_fmac_f32_e32 v54, v3, v72
	v_fmac_f32_e32 v2, v3, v74
	v_add_f32_e32 v50, v50, v54
	v_add_f32_e32 v54, v0, v2
	v_mul_f32_e32 v0, v65, v73
	v_add_f32_e32 v52, v1, v52
	v_fma_f32 v0, v64, v72, -v0
	v_mul_f32_e32 v1, v64, v73
	v_fmac_f32_e32 v1, v65, v72
	v_add_f32_e32 v8, v8, v0
	v_mul_f32_e32 v0, v65, v75
	v_add_f32_e32 v9, v9, v1
	v_fma_f32 v56, v64, v74, -v0
	ds_read2_b64 v[0:3], v59 offset0:192 offset1:208
	ds_read_b128 v[68:71], v53 offset:4272
	v_add_f32_e32 v56, v10, v56
	v_mul_f32_e32 v58, v64, v75
	v_fmac_f32_e32 v58, v65, v74
	s_waitcnt lgkmcnt(1)
	v_mul_f32_e32 v10, v5, v1
	v_fma_f32 v10, v4, v0, -v10
	v_add_f32_e32 v35, v35, v10
	v_mul_f32_e32 v10, v5, v3
	v_add_f32_e32 v58, v11, v58
	v_mul_f32_e32 v11, v4, v1
	v_fma_f32 v10, v4, v2, -v10
	v_mul_f32_e32 v4, v4, v3
	v_fmac_f32_e32 v11, v5, v0
	v_fmac_f32_e32 v4, v5, v2
	v_add_f32_e32 v5, v52, v10
	s_waitcnt lgkmcnt(0)
	v_mul_f32_e32 v10, v69, v1
	v_fma_f32 v10, v68, v0, -v10
	v_mul_f32_e32 v1, v68, v1
	v_fmac_f32_e32 v1, v69, v0
	v_add_f32_e32 v0, v8, v10
	v_mul_f32_e32 v8, v69, v3
	v_add_f32_e32 v50, v50, v11
	v_add_f32_e32 v1, v9, v1
	v_fma_f32 v52, v68, v2, -v8
	ds_read2_b64 v[8:11], v59 offset0:224 offset1:240
	v_mul_f32_e32 v3, v68, v3
	v_fmac_f32_e32 v3, v69, v2
	v_add_f32_e32 v4, v54, v4
	v_add_f32_e32 v54, v58, v3
	s_waitcnt lgkmcnt(0)
	v_mul_f32_e32 v2, v7, v9
	v_fma_f32 v2, v6, v8, -v2
	v_mul_f32_e32 v3, v6, v9
	v_fmac_f32_e32 v3, v7, v8
	v_add_f32_e32 v35, v35, v2
	v_mul_f32_e32 v2, v7, v11
	v_add_f32_e32 v50, v50, v3
	v_fma_f32 v2, v6, v10, -v2
	v_mul_f32_e32 v3, v6, v11
	v_add_f32_e32 v52, v56, v52
	v_fmac_f32_e32 v3, v7, v10
	v_add_f32_e32 v56, v5, v2
	v_mul_f32_e32 v2, v71, v9
	v_add_f32_e32 v58, v4, v3
	v_fma_f32 v2, v70, v8, -v2
	v_mul_f32_e32 v3, v70, v9
	v_fmac_f32_e32 v3, v71, v8
	v_add_f32_e32 v60, v0, v2
	v_mul_f32_e32 v0, v71, v11
	v_add_f32_e32 v72, v1, v3
	v_fma_f32 v8, v70, v10, -v0
	ds_read_b128 v[0:3], v53 offset:192
	ds_read2_b64 v[4:7], v61 offset1:16
	v_mul_f32_e32 v9, v70, v11
	v_fmac_f32_e32 v9, v71, v10
	v_add_f32_e32 v52, v52, v8
	v_add_f32_e32 v54, v54, v9
	s_waitcnt lgkmcnt(0)
	v_mul_f32_e32 v62, v1, v5
	v_fma_f32 v62, v0, v4, -v62
	v_mul_f32_e32 v63, v0, v5
	v_fmac_f32_e32 v63, v1, v4
	v_add_f32_e32 v35, v35, v62
	v_mul_f32_e32 v62, v1, v7
	ds_read_b128 v[8:11], v53 offset:208
	v_add_f32_e32 v50, v50, v63
	v_fma_f32 v68, v0, v6, -v62
	ds_read_b128 v[62:65], v53 offset:4288
	v_mul_f32_e32 v0, v0, v7
	v_fmac_f32_e32 v0, v1, v6
	v_add_f32_e32 v1, v56, v68
	v_add_f32_e32 v0, v58, v0
	s_waitcnt lgkmcnt(0)
	v_mul_f32_e32 v56, v63, v5
	v_mul_f32_e32 v5, v62, v5
	v_fmac_f32_e32 v5, v63, v4
	v_add_f32_e32 v5, v72, v5
	ds_read2_b64 v[72:75], v61 offset0:32 offset1:48
	v_fma_f32 v56, v62, v4, -v56
	v_add_f32_e32 v4, v60, v56
	v_mul_f32_e32 v56, v63, v7
	v_fma_f32 v56, v62, v6, -v56
	v_mul_f32_e32 v7, v62, v7
	v_fmac_f32_e32 v7, v63, v6
	v_add_f32_e32 v6, v52, v56
	s_waitcnt lgkmcnt(0)
	v_mul_f32_e32 v52, v3, v73
	v_fma_f32 v52, v2, v72, -v52
	v_add_f32_e32 v35, v35, v52
	v_mul_f32_e32 v52, v3, v75
	v_add_f32_e32 v7, v54, v7
	v_mul_f32_e32 v54, v2, v73
	v_fma_f32 v52, v2, v74, -v52
	v_mul_f32_e32 v2, v2, v75
	v_fmac_f32_e32 v54, v3, v72
	v_fmac_f32_e32 v2, v3, v74
	v_add_f32_e32 v50, v50, v54
	v_add_f32_e32 v54, v0, v2
	v_mul_f32_e32 v0, v65, v73
	v_add_f32_e32 v52, v1, v52
	v_fma_f32 v0, v64, v72, -v0
	v_mul_f32_e32 v1, v64, v73
	v_fmac_f32_e32 v1, v65, v72
	v_add_f32_e32 v4, v4, v0
	v_mul_f32_e32 v0, v65, v75
	v_add_f32_e32 v5, v5, v1
	v_fma_f32 v56, v64, v74, -v0
	ds_read2_b64 v[0:3], v61 offset0:64 offset1:80
	ds_read_b128 v[68:71], v53 offset:4304
	v_mul_f32_e32 v58, v64, v75
	v_add_f32_e32 v56, v6, v56
	v_fmac_f32_e32 v58, v65, v74
	s_waitcnt lgkmcnt(1)
	v_mul_f32_e32 v6, v9, v1
	v_fma_f32 v6, v8, v0, -v6
	v_add_f32_e32 v58, v7, v58
	v_mul_f32_e32 v7, v8, v1
	v_add_f32_e32 v35, v35, v6
	v_mul_f32_e32 v6, v9, v3
	v_fmac_f32_e32 v7, v9, v0
	v_fma_f32 v6, v8, v2, -v6
	v_add_f32_e32 v50, v50, v7
	v_mul_f32_e32 v7, v8, v3
	v_add_f32_e32 v8, v52, v6
	s_waitcnt lgkmcnt(0)
	v_mul_f32_e32 v6, v69, v1
	v_fma_f32 v6, v68, v0, -v6
	v_mul_f32_e32 v1, v68, v1
	v_fmac_f32_e32 v7, v9, v2
	v_fmac_f32_e32 v1, v69, v0
	v_add_f32_e32 v0, v4, v6
	v_mul_f32_e32 v4, v69, v3
	v_add_f32_e32 v9, v54, v7
	v_add_f32_e32 v1, v5, v1
	v_fma_f32 v52, v68, v2, -v4
	ds_read2_b64 v[4:7], v61 offset0:96 offset1:112
	v_mul_f32_e32 v3, v68, v3
	v_fmac_f32_e32 v3, v69, v2
	v_add_f32_e32 v54, v58, v3
	v_add_f32_e32 v52, v56, v52
	s_waitcnt lgkmcnt(0)
	v_mul_f32_e32 v2, v11, v5
	v_fma_f32 v2, v10, v4, -v2
	v_mul_f32_e32 v3, v10, v5
	v_fmac_f32_e32 v3, v11, v4
	v_add_f32_e32 v35, v35, v2
	v_mul_f32_e32 v2, v11, v7
	v_add_f32_e32 v50, v50, v3
	v_fma_f32 v2, v10, v6, -v2
	v_mul_f32_e32 v3, v10, v7
	v_fmac_f32_e32 v3, v11, v6
	v_add_f32_e32 v56, v8, v2
	v_mul_f32_e32 v2, v71, v5
	v_add_f32_e32 v58, v9, v3
	;; [unrolled: 6-line block ×3, first 2 shown]
	v_fma_f32 v4, v70, v6, -v0
	ds_read_b128 v[0:3], v53 offset:224
	ds_read2_b64 v[8:11], v61 offset0:128 offset1:144
	v_mul_f32_e32 v5, v70, v7
	v_fmac_f32_e32 v5, v71, v6
	v_add_f32_e32 v52, v52, v4
	v_add_f32_e32 v54, v54, v5
	s_waitcnt lgkmcnt(0)
	v_mul_f32_e32 v62, v1, v9
	v_fma_f32 v62, v0, v8, -v62
	v_mul_f32_e32 v63, v0, v9
	v_fmac_f32_e32 v63, v1, v8
	v_add_f32_e32 v35, v35, v62
	v_mul_f32_e32 v62, v1, v11
	ds_read_b128 v[4:7], v53 offset:240
	v_add_f32_e32 v50, v50, v63
	v_fma_f32 v68, v0, v10, -v62
	ds_read_b128 v[62:65], v53 offset:4320
	v_mul_f32_e32 v0, v0, v11
	v_fmac_f32_e32 v0, v1, v10
	v_add_f32_e32 v1, v56, v68
	v_add_f32_e32 v0, v58, v0
	s_waitcnt lgkmcnt(0)
	v_mul_f32_e32 v56, v63, v9
	v_mul_f32_e32 v9, v62, v9
	v_fmac_f32_e32 v9, v63, v8
	v_add_f32_e32 v9, v72, v9
	ds_read2_b64 v[72:75], v61 offset0:160 offset1:176
	v_fma_f32 v56, v62, v8, -v56
	v_add_f32_e32 v8, v60, v56
	v_mul_f32_e32 v56, v63, v11
	v_fma_f32 v56, v62, v10, -v56
	v_mul_f32_e32 v11, v62, v11
	v_fmac_f32_e32 v11, v63, v10
	v_add_f32_e32 v10, v52, v56
	s_waitcnt lgkmcnt(0)
	v_mul_f32_e32 v52, v3, v73
	v_fma_f32 v52, v2, v72, -v52
	v_add_f32_e32 v35, v35, v52
	v_mul_f32_e32 v52, v3, v75
	v_add_f32_e32 v11, v54, v11
	v_mul_f32_e32 v54, v2, v73
	v_fma_f32 v52, v2, v74, -v52
	v_mul_f32_e32 v2, v2, v75
	v_fmac_f32_e32 v54, v3, v72
	v_fmac_f32_e32 v2, v3, v74
	v_add_f32_e32 v50, v50, v54
	v_add_f32_e32 v54, v0, v2
	v_mul_f32_e32 v0, v65, v73
	v_add_f32_e32 v52, v1, v52
	v_fma_f32 v0, v64, v72, -v0
	v_mul_f32_e32 v1, v64, v73
	v_fmac_f32_e32 v1, v65, v72
	v_add_f32_e32 v8, v8, v0
	v_mul_f32_e32 v0, v65, v75
	v_add_f32_e32 v9, v9, v1
	v_fma_f32 v56, v64, v74, -v0
	ds_read2_b64 v[0:3], v61 offset0:192 offset1:208
	ds_read_b128 v[68:71], v53 offset:4336
	v_add_f32_e32 v56, v10, v56
	v_mul_f32_e32 v58, v64, v75
	v_fmac_f32_e32 v58, v65, v74
	s_waitcnt lgkmcnt(1)
	v_mul_f32_e32 v10, v5, v1
	v_fma_f32 v10, v4, v0, -v10
	v_add_f32_e32 v35, v35, v10
	v_mul_f32_e32 v10, v5, v3
	v_add_f32_e32 v58, v11, v58
	v_mul_f32_e32 v11, v4, v1
	v_fma_f32 v10, v4, v2, -v10
	v_mul_f32_e32 v4, v4, v3
	v_fmac_f32_e32 v11, v5, v0
	v_fmac_f32_e32 v4, v5, v2
	v_add_f32_e32 v5, v52, v10
	s_waitcnt lgkmcnt(0)
	v_mul_f32_e32 v10, v69, v1
	v_fma_f32 v10, v68, v0, -v10
	v_mul_f32_e32 v1, v68, v1
	v_fmac_f32_e32 v1, v69, v0
	v_add_f32_e32 v0, v8, v10
	v_mul_f32_e32 v8, v69, v3
	v_add_f32_e32 v50, v50, v11
	v_add_f32_e32 v1, v9, v1
	v_fma_f32 v52, v68, v2, -v8
	ds_read2_b64 v[8:11], v61 offset0:224 offset1:240
	v_mul_f32_e32 v3, v68, v3
	v_fmac_f32_e32 v3, v69, v2
	v_add_f32_e32 v2, v56, v52
	v_add_f32_e32 v4, v54, v4
	s_waitcnt lgkmcnt(0)
	v_mul_f32_e32 v52, v7, v9
	v_fma_f32 v52, v6, v8, -v52
	v_add_f32_e32 v62, v35, v52
	v_mul_f32_e32 v35, v7, v11
	v_mul_f32_e32 v54, v6, v9
	v_fma_f32 v35, v6, v10, -v35
	v_mul_f32_e32 v6, v6, v11
	v_fmac_f32_e32 v6, v7, v10
	v_add_f32_e32 v3, v58, v3
	v_add_f32_e32 v58, v5, v35
	;; [unrolled: 1-line block ×3, first 2 shown]
	v_mul_f32_e32 v4, v71, v9
	v_mul_f32_e32 v5, v70, v9
	v_fmac_f32_e32 v54, v7, v8
	v_fma_f32 v4, v70, v8, -v4
	v_fmac_f32_e32 v5, v71, v8
	v_add_f32_e32 v64, v50, v54
	v_add_f32_e32 v54, v0, v4
	;; [unrolled: 1-line block ×3, first 2 shown]
	v_mul_f32_e32 v0, v71, v11
	v_mul_f32_e32 v1, v70, v11
	s_add_u32 s26, s26, 32
	v_fma_f32 v0, v70, v10, -v0
	v_fmac_f32_e32 v1, v71, v10
	s_addc_u32 s27, s27, 0
	s_sub_i32 s4, s26, 32
	v_add_f32_e32 v52, v2, v0
	v_add_f32_e32 v50, v3, v1
	v_lshl_add_u64 v[48:49], v[48:49], 0, s[52:53]
	v_lshl_add_u64 v[44:45], v[44:45], 0, s[24:25]
	s_cmp_ge_i32 s4, s56
	v_lshl_add_u64 v[46:47], v[46:47], 0, s[24:25]
	s_barrier
	s_cbranch_scc1 .LBB72_51
.LBB72_7:                               ;   Parent Loop BB72_4 Depth=1
                                        ; =>  This Inner Loop Header: Depth=2
	v_lshl_add_u64 v[0:1], v[12:13], 0, s[26:27]
	v_cmp_le_i64_e64 s[12:13], s[50:51], v[0:1]
	v_cmp_eq_u64_e64 s[4:5], s[26:27], v[24:25]
	v_cmp_gt_i64_e64 s[10:11], v[0:1], v[16:17]
	s_and_b64 s[30:31], s[42:43], s[4:5]
	s_or_b64 s[4:5], s[12:13], s[10:11]
	s_or_b64 s[4:5], s[4:5], s[30:31]
	v_lshl_add_u64 v[2:3], v[48:49], 0, v[36:37]
	s_nor_b64 s[4:5], s[0:1], s[4:5]
	s_and_saveexec_b64 s[28:29], s[4:5]
	s_xor_b64 s[4:5], exec, s[28:29]
	s_cbranch_execz .LBB72_9
; %bb.8:                                ;   in Loop: Header=BB72_7 Depth=2
	global_load_dwordx2 v[4:5], v[2:3], off
	s_waitcnt vmcnt(0)
	ds_write_b64 v51, v[4:5]
.LBB72_9:                               ;   in Loop: Header=BB72_7 Depth=2
	s_or_saveexec_b64 s[4:5], s[4:5]
	s_xor_b64 s[28:29], s[30:31], -1
	s_xor_b64 exec, exec, s[4:5]
	s_cbranch_execz .LBB72_15
; %bb.10:                               ;   in Loop: Header=BB72_7 Depth=2
	s_and_saveexec_b64 s[38:39], s[28:29]
	s_xor_b64 s[38:39], exec, s[38:39]
; %bb.11:                               ;   in Loop: Header=BB72_7 Depth=2
	ds_write_b64 v51, v[66:67]
; %bb.12:                               ;   in Loop: Header=BB72_7 Depth=2
	s_andn2_saveexec_b64 s[38:39], s[38:39]
; %bb.13:                               ;   in Loop: Header=BB72_7 Depth=2
	ds_write_b64 v51, v[40:41]
; %bb.14:                               ;   in Loop: Header=BB72_7 Depth=2
	s_or_b64 exec, exec, s[38:39]
.LBB72_15:                              ;   in Loop: Header=BB72_7 Depth=2
	s_or_b64 exec, exec, s[4:5]
	v_cmp_eq_u64_e64 s[4:5], s[26:27], v[26:27]
	s_and_b64 s[38:39], s[42:43], s[4:5]
	v_cmp_lt_i64_e64 s[4:5], v[20:21], v[0:1]
	s_or_b64 s[4:5], s[12:13], s[4:5]
	s_or_b64 s[4:5], s[4:5], s[38:39]
	s_nor_b64 s[4:5], s[14:15], s[4:5]
	s_and_saveexec_b64 s[12:13], s[4:5]
	s_xor_b64 s[4:5], exec, s[12:13]
	s_cbranch_execz .LBB72_17
; %bb.16:                               ;   in Loop: Header=BB72_7 Depth=2
	global_load_dwordx2 v[2:3], v[2:3], off offset:128
	s_waitcnt vmcnt(0)
	ds_write_b64 v51, v[2:3] offset:128
.LBB72_17:                              ;   in Loop: Header=BB72_7 Depth=2
	s_andn2_saveexec_b64 s[4:5], s[4:5]
	s_cbranch_execz .LBB72_23
; %bb.18:                               ;   in Loop: Header=BB72_7 Depth=2
	s_xor_b64 s[12:13], s[38:39], -1
	s_and_saveexec_b64 s[38:39], s[12:13]
	s_xor_b64 s[12:13], exec, s[38:39]
; %bb.19:                               ;   in Loop: Header=BB72_7 Depth=2
	ds_write_b64 v51, v[66:67] offset:128
; %bb.20:                               ;   in Loop: Header=BB72_7 Depth=2
	s_andn2_saveexec_b64 s[12:13], s[12:13]
; %bb.21:                               ;   in Loop: Header=BB72_7 Depth=2
	ds_write_b64 v51, v[40:41] offset:128
; %bb.22:                               ;   in Loop: Header=BB72_7 Depth=2
	s_or_b64 exec, exec, s[12:13]
.LBB72_23:                              ;   in Loop: Header=BB72_7 Depth=2
	s_or_b64 exec, exec, s[4:5]
	v_lshl_add_u64 v[2:3], v[0:1], 0, 16
	v_cmp_eq_u64_e64 s[4:5], s[26:27], v[28:29]
	v_cmp_le_i64_e64 s[12:13], s[50:51], v[2:3]
	s_and_b64 s[38:39], s[42:43], s[4:5]
	v_cmp_gt_i64_e64 s[4:5], v[2:3], v[16:17]
	s_or_b64 s[4:5], s[12:13], s[4:5]
	s_or_b64 s[4:5], s[4:5], s[38:39]
	v_lshl_add_u64 v[0:1], v[48:49], 0, v[30:31]
	s_nor_b64 s[4:5], s[0:1], s[4:5]
	s_and_saveexec_b64 s[58:59], s[4:5]
	s_xor_b64 s[4:5], exec, s[58:59]
	s_cbranch_execz .LBB72_25
; %bb.24:                               ;   in Loop: Header=BB72_7 Depth=2
	global_load_dwordx2 v[2:3], v[0:1], off
	s_waitcnt vmcnt(0)
	ds_write_b64 v51, v[2:3] offset:4096
.LBB72_25:                              ;   in Loop: Header=BB72_7 Depth=2
	s_andn2_saveexec_b64 s[4:5], s[4:5]
	s_cbranch_execz .LBB72_31
; %bb.26:                               ;   in Loop: Header=BB72_7 Depth=2
	s_xor_b64 s[38:39], s[38:39], -1
	s_and_saveexec_b64 s[58:59], s[38:39]
	s_xor_b64 s[38:39], exec, s[58:59]
; %bb.27:                               ;   in Loop: Header=BB72_7 Depth=2
	ds_write_b64 v51, v[66:67] offset:4096
; %bb.28:                               ;   in Loop: Header=BB72_7 Depth=2
	s_andn2_saveexec_b64 s[38:39], s[38:39]
; %bb.29:                               ;   in Loop: Header=BB72_7 Depth=2
	ds_write_b64 v51, v[40:41] offset:4096
; %bb.30:                               ;   in Loop: Header=BB72_7 Depth=2
	s_or_b64 exec, exec, s[38:39]
.LBB72_31:                              ;   in Loop: Header=BB72_7 Depth=2
	s_or_b64 exec, exec, s[4:5]
	s_or_b64 s[4:5], s[12:13], s[10:11]
	s_or_b64 s[4:5], s[4:5], s[30:31]
	s_nor_b64 s[4:5], s[14:15], s[4:5]
	s_and_saveexec_b64 s[10:11], s[4:5]
	s_xor_b64 s[4:5], exec, s[10:11]
	s_cbranch_execz .LBB72_33
; %bb.32:                               ;   in Loop: Header=BB72_7 Depth=2
	global_load_dwordx2 v[0:1], v[0:1], off offset:128
	s_waitcnt vmcnt(0)
	ds_write_b64 v51, v[0:1] offset:4224
.LBB72_33:                              ;   in Loop: Header=BB72_7 Depth=2
	s_andn2_saveexec_b64 s[4:5], s[4:5]
	s_cbranch_execz .LBB72_39
; %bb.34:                               ;   in Loop: Header=BB72_7 Depth=2
	s_and_saveexec_b64 s[10:11], s[28:29]
	s_xor_b64 s[10:11], exec, s[10:11]
; %bb.35:                               ;   in Loop: Header=BB72_7 Depth=2
	ds_write_b64 v51, v[66:67] offset:4224
; %bb.36:                               ;   in Loop: Header=BB72_7 Depth=2
	s_andn2_saveexec_b64 s[10:11], s[10:11]
; %bb.37:                               ;   in Loop: Header=BB72_7 Depth=2
	ds_write_b64 v51, v[40:41] offset:4224
; %bb.38:                               ;   in Loop: Header=BB72_7 Depth=2
	s_or_b64 exec, exec, s[10:11]
.LBB72_39:                              ;   in Loop: Header=BB72_7 Depth=2
	s_or_b64 exec, exec, s[4:5]
	v_lshl_add_u64 v[2:3], v[14:15], 0, s[26:27]
	v_cmp_gt_i64_e64 s[10:11], s[50:51], v[2:3]
	v_lshl_add_u64 v[0:1], v[44:45], 0, v[18:19]
	s_and_b64 s[12:13], vcc, s[10:11]
	v_mov_b32_e32 v4, 0
	v_mov_b32_e32 v5, 0
	s_and_saveexec_b64 s[4:5], s[12:13]
	s_cbranch_execz .LBB72_41
; %bb.40:                               ;   in Loop: Header=BB72_7 Depth=2
	global_load_dwordx2 v[4:5], v[0:1], off
.LBB72_41:                              ;   in Loop: Header=BB72_7 Depth=2
	s_or_b64 exec, exec, s[4:5]
	v_cmp_gt_i64_e64 s[12:13], s[54:55], v[2:3]
	s_and_b64 s[4:5], vcc, s[12:13]
	s_xor_b64 s[4:5], s[4:5], -1
	s_waitcnt vmcnt(0)
	ds_write_b64 v55, v[4:5]
	s_and_saveexec_b64 s[28:29], s[4:5]
	s_xor_b64 s[4:5], exec, s[28:29]
; %bb.42:                               ;   in Loop: Header=BB72_7 Depth=2
	ds_write_b64 v55, v[66:67] offset:128
                                        ; implicit-def: $vgpr0_vgpr1
; %bb.43:                               ;   in Loop: Header=BB72_7 Depth=2
	s_andn2_saveexec_b64 s[4:5], s[4:5]
	s_cbranch_execz .LBB72_45
; %bb.44:                               ;   in Loop: Header=BB72_7 Depth=2
	global_load_dwordx2 v[0:1], v[0:1], off offset:128
	s_waitcnt vmcnt(0)
	ds_write_b64 v55, v[0:1] offset:128
.LBB72_45:                              ;   in Loop: Header=BB72_7 Depth=2
	s_or_b64 exec, exec, s[4:5]
	v_lshl_add_u64 v[0:1], v[46:47], 0, v[18:19]
	s_and_b64 s[10:11], s[8:9], s[10:11]
	v_mov_b32_e32 v2, 0
	v_mov_b32_e32 v3, 0
	s_and_saveexec_b64 s[4:5], s[10:11]
	s_cbranch_execz .LBB72_47
; %bb.46:                               ;   in Loop: Header=BB72_7 Depth=2
	global_load_dwordx2 v[2:3], v[0:1], off
.LBB72_47:                              ;   in Loop: Header=BB72_7 Depth=2
	s_or_b64 exec, exec, s[4:5]
	s_and_b64 s[4:5], s[8:9], s[12:13]
	s_xor_b64 s[4:5], s[4:5], -1
	s_waitcnt vmcnt(0)
	ds_write_b64 v55, v[2:3] offset:4096
	s_and_saveexec_b64 s[10:11], s[4:5]
	s_xor_b64 s[4:5], exec, s[10:11]
; %bb.48:                               ;   in Loop: Header=BB72_7 Depth=2
	ds_write_b64 v55, v[66:67] offset:4224
                                        ; implicit-def: $vgpr0_vgpr1
; %bb.49:                               ;   in Loop: Header=BB72_7 Depth=2
	s_andn2_saveexec_b64 s[4:5], s[4:5]
	s_cbranch_execz .LBB72_6
; %bb.50:                               ;   in Loop: Header=BB72_7 Depth=2
	global_load_dwordx2 v[0:1], v[0:1], off offset:128
	s_waitcnt vmcnt(0)
	ds_write_b64 v55, v[0:1] offset:4224
	s_branch .LBB72_6
.LBB72_51:                              ;   in Loop: Header=BB72_4 Depth=1
	v_mul_lo_u32 v2, s49, v42
	v_mul_lo_u32 v3, s48, v43
	v_mad_u64_u32 v[0:1], s[4:5], s48, v42, 0
	v_cmp_gt_i32_e32 vcc, s46, v42
	v_add3_u32 v1, v1, v3, v2
	v_lshl_add_u64 v[0:1], v[0:1], 3, s[34:35]
	s_and_b64 s[8:9], s[16:17], vcc
	s_and_saveexec_b64 s[4:5], s[8:9]
	s_cbranch_execz .LBB72_53
; %bb.52:                               ;   in Loop: Header=BB72_4 Depth=1
	v_lshl_add_u64 v[2:3], v[16:17], 3, v[0:1]
	global_load_dwordx2 v[4:5], v[2:3], off
	v_pk_mul_f32 v[6:7], v[64:65], s[44:45] op_sel_hi:[0,1]
	v_pk_fma_f32 v[8:9], v[62:63], s[18:19], v[6:7] neg_lo:[0,0,1] neg_hi:[0,0,1]
	v_pk_fma_f32 v[6:7], v[62:63], s[18:19], v[6:7] op_sel_hi:[0,1,1]
	v_mov_b32_e32 v9, v7
	s_waitcnt vmcnt(0)
	v_pk_add_f32 v[4:5], v[4:5], v[8:9]
	global_store_dwordx2 v[2:3], v[4:5], off
.LBB72_53:                              ;   in Loop: Header=BB72_4 Depth=1
	s_or_b64 exec, exec, s[4:5]
	s_and_b64 s[8:9], s[6:7], vcc
	s_and_saveexec_b64 s[4:5], s[8:9]
	s_cbranch_execz .LBB72_55
; %bb.54:                               ;   in Loop: Header=BB72_4 Depth=1
	v_lshl_add_u64 v[0:1], v[22:23], 3, v[0:1]
	global_load_dwordx2 v[2:3], v[0:1], off
	v_pk_mul_f32 v[4:5], v[60:61], s[44:45] op_sel_hi:[0,1]
	v_pk_fma_f32 v[6:7], v[58:59], s[18:19], v[4:5] neg_lo:[0,0,1] neg_hi:[0,0,1]
	v_pk_fma_f32 v[4:5], v[58:59], s[18:19], v[4:5] op_sel_hi:[0,1,1]
	v_mov_b32_e32 v7, v5
	s_waitcnt vmcnt(0)
	v_pk_add_f32 v[2:3], v[2:3], v[6:7]
	global_store_dwordx2 v[0:1], v[2:3], off
.LBB72_55:                              ;   in Loop: Header=BB72_4 Depth=1
	s_or_b64 exec, exec, s[4:5]
	v_add_u32_e32 v0, 16, v42
	v_ashrrev_i32_e32 v1, 31, v0
	v_cmp_gt_i32_e32 vcc, s46, v0
	v_mul_lo_u32 v2, s48, v1
	v_mul_lo_u32 v3, s49, v0
	v_mad_u64_u32 v[0:1], s[4:5], s48, v0, 0
	v_add3_u32 v1, v1, v2, v3
	v_lshl_add_u64 v[0:1], v[0:1], 3, s[34:35]
	s_and_b64 s[8:9], s[16:17], vcc
	s_and_saveexec_b64 s[4:5], s[8:9]
	s_cbranch_execz .LBB72_57
; %bb.56:                               ;   in Loop: Header=BB72_4 Depth=1
	v_lshl_add_u64 v[2:3], v[16:17], 3, v[0:1]
	global_load_dwordx2 v[4:5], v[2:3], off
	v_pk_mul_f32 v[6:7], v[56:57], s[44:45] op_sel_hi:[0,1]
	v_pk_fma_f32 v[8:9], v[54:55], s[18:19], v[6:7] neg_lo:[0,0,1] neg_hi:[0,0,1]
	v_pk_fma_f32 v[6:7], v[54:55], s[18:19], v[6:7] op_sel_hi:[0,1,1]
	v_mov_b32_e32 v9, v7
	s_waitcnt vmcnt(0)
	v_pk_add_f32 v[4:5], v[4:5], v[8:9]
	global_store_dwordx2 v[2:3], v[4:5], off
.LBB72_57:                              ;   in Loop: Header=BB72_4 Depth=1
	s_or_b64 exec, exec, s[4:5]
	s_and_b64 s[8:9], s[6:7], vcc
	s_and_saveexec_b64 s[4:5], s[8:9]
	s_cbranch_execz .LBB72_3
; %bb.58:                               ;   in Loop: Header=BB72_4 Depth=1
	v_lshl_add_u64 v[0:1], v[22:23], 3, v[0:1]
	global_load_dwordx2 v[2:3], v[0:1], off
	v_pk_mul_f32 v[4:5], v[50:51], s[44:45] op_sel_hi:[0,1]
	v_pk_fma_f32 v[6:7], v[52:53], s[18:19], v[4:5] neg_lo:[0,0,1] neg_hi:[0,0,1]
	v_pk_fma_f32 v[4:5], v[52:53], s[18:19], v[4:5] op_sel_hi:[0,1,1]
	v_mov_b32_e32 v7, v5
	s_waitcnt vmcnt(0)
	v_pk_add_f32 v[2:3], v[2:3], v[6:7]
	global_store_dwordx2 v[0:1], v[2:3], off
	s_branch .LBB72_3
.LBB72_59:
	s_endpgm
	.section	.rodata,"a",@progbits
	.p2align	6, 0x0
	.amdhsa_kernel _ZL30rocblas_trmm_outofplace_kernelI19rocblas_complex_numIfELi32ELi2ELb1ELb0ELb0ELb0EPKS1_S2_S1_Ev17rocblas_diagonal_iiT6_lPT7_lllS7_lllPT8_llli
		.amdhsa_group_segment_fixed_size 16384
		.amdhsa_private_segment_fixed_size 0
		.amdhsa_kernarg_size 392
		.amdhsa_user_sgpr_count 2
		.amdhsa_user_sgpr_dispatch_ptr 0
		.amdhsa_user_sgpr_queue_ptr 0
		.amdhsa_user_sgpr_kernarg_segment_ptr 1
		.amdhsa_user_sgpr_dispatch_id 0
		.amdhsa_user_sgpr_kernarg_preload_length 0
		.amdhsa_user_sgpr_kernarg_preload_offset 0
		.amdhsa_user_sgpr_private_segment_size 0
		.amdhsa_uses_dynamic_stack 0
		.amdhsa_enable_private_segment 0
		.amdhsa_system_sgpr_workgroup_id_x 1
		.amdhsa_system_sgpr_workgroup_id_y 1
		.amdhsa_system_sgpr_workgroup_id_z 1
		.amdhsa_system_sgpr_workgroup_info 0
		.amdhsa_system_vgpr_workitem_id 1
		.amdhsa_next_free_vgpr 85
		.amdhsa_next_free_sgpr 60
		.amdhsa_accum_offset 88
		.amdhsa_reserve_vcc 1
		.amdhsa_float_round_mode_32 0
		.amdhsa_float_round_mode_16_64 0
		.amdhsa_float_denorm_mode_32 3
		.amdhsa_float_denorm_mode_16_64 3
		.amdhsa_dx10_clamp 1
		.amdhsa_ieee_mode 1
		.amdhsa_fp16_overflow 0
		.amdhsa_tg_split 0
		.amdhsa_exception_fp_ieee_invalid_op 0
		.amdhsa_exception_fp_denorm_src 0
		.amdhsa_exception_fp_ieee_div_zero 0
		.amdhsa_exception_fp_ieee_overflow 0
		.amdhsa_exception_fp_ieee_underflow 0
		.amdhsa_exception_fp_ieee_inexact 0
		.amdhsa_exception_int_div_zero 0
	.end_amdhsa_kernel
	.section	.text._ZL30rocblas_trmm_outofplace_kernelI19rocblas_complex_numIfELi32ELi2ELb1ELb0ELb0ELb0EPKS1_S2_S1_Ev17rocblas_diagonal_iiT6_lPT7_lllS7_lllPT8_llli,"axG",@progbits,_ZL30rocblas_trmm_outofplace_kernelI19rocblas_complex_numIfELi32ELi2ELb1ELb0ELb0ELb0EPKS1_S2_S1_Ev17rocblas_diagonal_iiT6_lPT7_lllS7_lllPT8_llli,comdat
.Lfunc_end72:
	.size	_ZL30rocblas_trmm_outofplace_kernelI19rocblas_complex_numIfELi32ELi2ELb1ELb0ELb0ELb0EPKS1_S2_S1_Ev17rocblas_diagonal_iiT6_lPT7_lllS7_lllPT8_llli, .Lfunc_end72-_ZL30rocblas_trmm_outofplace_kernelI19rocblas_complex_numIfELi32ELi2ELb1ELb0ELb0ELb0EPKS1_S2_S1_Ev17rocblas_diagonal_iiT6_lPT7_lllS7_lllPT8_llli
                                        ; -- End function
	.set _ZL30rocblas_trmm_outofplace_kernelI19rocblas_complex_numIfELi32ELi2ELb1ELb0ELb0ELb0EPKS1_S2_S1_Ev17rocblas_diagonal_iiT6_lPT7_lllS7_lllPT8_llli.num_vgpr, 85
	.set _ZL30rocblas_trmm_outofplace_kernelI19rocblas_complex_numIfELi32ELi2ELb1ELb0ELb0ELb0EPKS1_S2_S1_Ev17rocblas_diagonal_iiT6_lPT7_lllS7_lllPT8_llli.num_agpr, 0
	.set _ZL30rocblas_trmm_outofplace_kernelI19rocblas_complex_numIfELi32ELi2ELb1ELb0ELb0ELb0EPKS1_S2_S1_Ev17rocblas_diagonal_iiT6_lPT7_lllS7_lllPT8_llli.numbered_sgpr, 60
	.set _ZL30rocblas_trmm_outofplace_kernelI19rocblas_complex_numIfELi32ELi2ELb1ELb0ELb0ELb0EPKS1_S2_S1_Ev17rocblas_diagonal_iiT6_lPT7_lllS7_lllPT8_llli.num_named_barrier, 0
	.set _ZL30rocblas_trmm_outofplace_kernelI19rocblas_complex_numIfELi32ELi2ELb1ELb0ELb0ELb0EPKS1_S2_S1_Ev17rocblas_diagonal_iiT6_lPT7_lllS7_lllPT8_llli.private_seg_size, 0
	.set _ZL30rocblas_trmm_outofplace_kernelI19rocblas_complex_numIfELi32ELi2ELb1ELb0ELb0ELb0EPKS1_S2_S1_Ev17rocblas_diagonal_iiT6_lPT7_lllS7_lllPT8_llli.uses_vcc, 1
	.set _ZL30rocblas_trmm_outofplace_kernelI19rocblas_complex_numIfELi32ELi2ELb1ELb0ELb0ELb0EPKS1_S2_S1_Ev17rocblas_diagonal_iiT6_lPT7_lllS7_lllPT8_llli.uses_flat_scratch, 0
	.set _ZL30rocblas_trmm_outofplace_kernelI19rocblas_complex_numIfELi32ELi2ELb1ELb0ELb0ELb0EPKS1_S2_S1_Ev17rocblas_diagonal_iiT6_lPT7_lllS7_lllPT8_llli.has_dyn_sized_stack, 0
	.set _ZL30rocblas_trmm_outofplace_kernelI19rocblas_complex_numIfELi32ELi2ELb1ELb0ELb0ELb0EPKS1_S2_S1_Ev17rocblas_diagonal_iiT6_lPT7_lllS7_lllPT8_llli.has_recursion, 0
	.set _ZL30rocblas_trmm_outofplace_kernelI19rocblas_complex_numIfELi32ELi2ELb1ELb0ELb0ELb0EPKS1_S2_S1_Ev17rocblas_diagonal_iiT6_lPT7_lllS7_lllPT8_llli.has_indirect_call, 0
	.section	.AMDGPU.csdata,"",@progbits
; Kernel info:
; codeLenInByte = 6288
; TotalNumSgprs: 66
; NumVgprs: 85
; NumAgprs: 0
; TotalNumVgprs: 85
; ScratchSize: 0
; MemoryBound: 1
; FloatMode: 240
; IeeeMode: 1
; LDSByteSize: 16384 bytes/workgroup (compile time only)
; SGPRBlocks: 8
; VGPRBlocks: 10
; NumSGPRsForWavesPerEU: 66
; NumVGPRsForWavesPerEU: 85
; AccumOffset: 88
; Occupancy: 5
; WaveLimiterHint : 0
; COMPUTE_PGM_RSRC2:SCRATCH_EN: 0
; COMPUTE_PGM_RSRC2:USER_SGPR: 2
; COMPUTE_PGM_RSRC2:TRAP_HANDLER: 0
; COMPUTE_PGM_RSRC2:TGID_X_EN: 1
; COMPUTE_PGM_RSRC2:TGID_Y_EN: 1
; COMPUTE_PGM_RSRC2:TGID_Z_EN: 1
; COMPUTE_PGM_RSRC2:TIDIG_COMP_CNT: 1
; COMPUTE_PGM_RSRC3_GFX90A:ACCUM_OFFSET: 21
; COMPUTE_PGM_RSRC3_GFX90A:TG_SPLIT: 0
	.section	.text._ZL30rocblas_trmm_outofplace_kernelI19rocblas_complex_numIfELi32ELi2ELb1ELb0ELb0ELb0ES1_KS1_S1_Ev17rocblas_diagonal_iiT6_lPT7_lllS6_lllPT8_llli,"axG",@progbits,_ZL30rocblas_trmm_outofplace_kernelI19rocblas_complex_numIfELi32ELi2ELb1ELb0ELb0ELb0ES1_KS1_S1_Ev17rocblas_diagonal_iiT6_lPT7_lllS6_lllPT8_llli,comdat
	.globl	_ZL30rocblas_trmm_outofplace_kernelI19rocblas_complex_numIfELi32ELi2ELb1ELb0ELb0ELb0ES1_KS1_S1_Ev17rocblas_diagonal_iiT6_lPT7_lllS6_lllPT8_llli ; -- Begin function _ZL30rocblas_trmm_outofplace_kernelI19rocblas_complex_numIfELi32ELi2ELb1ELb0ELb0ELb0ES1_KS1_S1_Ev17rocblas_diagonal_iiT6_lPT7_lllS6_lllPT8_llli
	.p2align	8
	.type	_ZL30rocblas_trmm_outofplace_kernelI19rocblas_complex_numIfELi32ELi2ELb1ELb0ELb0ELb0ES1_KS1_S1_Ev17rocblas_diagonal_iiT6_lPT7_lllS6_lllPT8_llli,@function
_ZL30rocblas_trmm_outofplace_kernelI19rocblas_complex_numIfELi32ELi2ELb1ELb0ELb0ELb0ES1_KS1_S1_Ev17rocblas_diagonal_iiT6_lPT7_lllS6_lllPT8_llli: ; @_ZL30rocblas_trmm_outofplace_kernelI19rocblas_complex_numIfELi32ELi2ELb1ELb0ELb0ELb0ES1_KS1_S1_Ev17rocblas_diagonal_iiT6_lPT7_lllS6_lllPT8_llli
; %bb.0:
	s_load_dwordx4 s[24:27], s[0:1], 0x0
	s_load_dword s29, s[0:1], 0x10
	s_waitcnt lgkmcnt(0)
	s_or_b32 s5, s27, s29
	s_bitset0_b32 s5, 31
	s_cmp_eq_u32 s5, 0
	s_cbranch_scc1 .LBB73_59
; %bb.1:
	s_add_i32 s5, s26, -1
	s_ashr_i32 s6, s5, 31
	s_lshr_b32 s6, s6, 27
	s_add_i32 s5, s5, s6
	s_ashr_i32 s33, s5, 5
	s_cmp_gt_i32 s3, s33
	s_cbranch_scc1 .LBB73_59
; %bb.2:
	s_load_dwordx8 s[16:23], s[0:1], 0x60
	s_load_dwordx16 s[36:51], s[0:1], 0x20
	v_bfe_u32 v12, v0, 10, 10
	v_and_b32_e32 v14, 0x3ff, v0
	v_lshlrev_b32_e32 v0, 8, v12
	s_waitcnt lgkmcnt(0)
	s_mul_i32 s5, s23, s4
	s_mul_hi_u32 s6, s22, s4
	s_add_i32 s7, s6, s5
	s_mul_i32 s6, s22, s4
	s_lshl_b64 s[6:7], s[6:7], 3
	s_add_u32 s5, s16, s6
	s_addc_u32 s8, s17, s7
	s_lshl_b64 s[6:7], s[18:19], 3
	v_lshlrev_b32_e32 v18, 3, v14
	s_add_u32 s18, s5, s6
	v_add_u32_e32 v51, v18, v0
	v_add_u32_e32 v53, 0x2000, v0
	v_mov_b32_e32 v0, 0x80
	s_addc_u32 s19, s8, s7
	s_lshl_b32 s56, s2, 5
	v_lshl_add_u32 v1, v12, 3, v0
	s_cmp_gt_i32 s2, -1
	v_mad_u64_u32 v[30:31], s[8:9], s40, v1, 0
	s_cselect_b64 s[22:23], -1, 0
	s_cmpk_eq_i32 s24, 0x84
	v_mov_b32_e32 v0, v31
	s_cselect_b64 s[30:31], -1, 0
	s_ashr_i32 s35, s25, 31
	s_ashr_i32 s2, s26, 31
	s_lshl_b64 s[52:53], s[40:41], 8
	v_mad_u64_u32 v[0:1], s[8:9], s41, v1, v[0:1]
	s_add_u32 s54, s25, -16
	s_mul_i32 s5, s43, s4
	s_mul_hi_u32 s8, s42, s4
	s_addc_u32 s55, s35, -1
	s_add_i32 s9, s8, s5
	s_mul_i32 s8, s42, s4
	s_lshl_b64 s[8:9], s[8:9], 3
	s_lshl_b64 s[10:11], s[38:39], 3
	s_add_u32 s5, s8, s10
	s_addc_u32 s9, s9, s11
	v_add_u32_e32 v16, s56, v14
	s_add_u32 s8, s36, s5
	v_ashrrev_i32_e32 v17, 31, v16
	s_addc_u32 s9, s37, s9
	v_lshl_add_u64 v[32:33], v[16:17], 3, s[8:9]
	s_mul_i32 s5, s51, s4
	s_mul_hi_u32 s8, s50, s4
	s_add_i32 s5, s8, s5
	s_mul_i32 s4, s50, s4
	s_lshl_b64 s[4:5], s[4:5], 3
	s_lshl_b64 s[8:9], s[46:47], 3
	s_add_u32 s4, s4, s8
	s_addc_u32 s5, s5, s9
	s_load_dword s58, s[0:1], 0x8c
	s_add_u32 s36, s44, s4
	v_mov_b32_e32 v31, v0
	s_addc_u32 s37, s45, s5
	v_mad_u64_u32 v[0:1], s[4:5], s40, v12, 0
	v_mov_b32_e32 v2, v1
	v_sub_co_u32_e32 v24, vcc, v16, v12
	v_mad_u64_u32 v[2:3], s[4:5], s41, v12, v[2:3]
	v_mov_b32_e32 v13, 0
	s_mov_b32 s34, s25
	v_lshl_add_u64 v[20:21], v[16:17], 0, 16
	v_add_u32_e32 v22, 16, v16
	v_subbrev_co_u32_e32 v25, vcc, 0, v17, vcc
	v_mov_b32_e32 v1, v2
	s_mov_b32 s28, s27
	v_mov_b32_e32 v15, v13
	s_mov_b32 s57, s26
	v_add_u32_e32 v55, v53, v18
	v_cmp_le_i32_e64 s[0:1], s25, v16
	v_cmp_le_i64_e64 s[14:15], s[34:35], v[20:21]
	v_cmp_gt_i32_e64 s[16:17], s25, v16
	v_cmp_gt_i32_e64 s[6:7], s25, v22
	v_ashrrev_i32_e32 v23, 31, v22
	s_mov_b32 s24, s29
	s_mov_b32 s25, s27
	v_lshl_add_u64 v[26:27], v[24:25], 0, 16
	v_lshl_add_u64 v[28:29], v[24:25], 0, -16
	v_mov_b32_e32 v19, v13
	s_lshl_b64 s[38:39], s[48:49], 3
	v_lshl_add_u32 v34, s3, 5, v12
	s_waitcnt lgkmcnt(0)
	s_lshl_b32 s27, s58, 5
	v_lshlrev_b64 v[36:37], 3, v[0:1]
	s_mov_b64 s[40:41], 0x100
	v_mov_b64_e32 v[38:39], 0x80
	v_mov_b32_e32 v66, v13
	v_mov_b32_e32 v67, v13
	v_mov_b32_e32 v40, 1.0
	v_mov_b32_e32 v41, v13
	v_add_u32_e32 v57, 0x800, v18
	v_add_u32_e32 v59, 0x1000, v18
	;; [unrolled: 1-line block ×3, first 2 shown]
	s_branch .LBB73_4
.LBB73_3:                               ;   in Loop: Header=BB73_4 Depth=1
	s_or_b64 exec, exec, s[4:5]
	s_add_i32 s3, s58, s3
	s_cmp_le_i32 s3, s33
	v_add_u32_e32 v34, s27, v34
	s_cbranch_scc0 .LBB73_59
.LBB73_4:                               ; =>This Loop Header: Depth=1
                                        ;     Child Loop BB73_7 Depth 2
	v_lshl_add_u32 v42, s3, 5, v12
	v_ashrrev_i32_e32 v43, 31, v42
	s_andn2_b64 vcc, exec, s[22:23]
	v_mov_b32_e32 v62, 0
	v_mov_b32_e32 v64, 0
	;; [unrolled: 1-line block ×8, first 2 shown]
	s_cbranch_vccnz .LBB73_51
; %bb.5:                                ;   in Loop: Header=BB73_4 Depth=1
	v_ashrrev_i32_e32 v35, 31, v34
	v_mov_b64_e32 v[0:1], s[36:37]
	v_mad_u64_u32 v[44:45], s[4:5], s38, v34, v[0:1]
	v_mul_lo_u32 v2, s39, v34
	v_mul_lo_u32 v3, s38, v35
	v_add3_u32 v45, v2, v45, v3
	v_lshl_add_u64 v[2:3], v[34:35], 3, v[38:39]
	v_mad_u64_u32 v[46:47], s[4:5], s48, v2, v[0:1]
	v_mov_b32_e32 v1, s2
	v_sub_co_u32_e32 v0, vcc, s57, v42
	v_mul_lo_u32 v3, s48, v3
	v_mul_lo_u32 v4, s49, v2
	v_subb_co_u32_e32 v1, vcc, v1, v43, vcc
	v_add3_u32 v47, v4, v47, v3
	s_mov_b64 s[42:43], 0
	v_cmp_lt_i64_e32 vcc, 0, v[0:1]
	v_cmp_lt_i64_e64 s[8:9], 16, v[0:1]
	v_mov_b32_e32 v50, 0
	v_mov_b64_e32 v[48:49], v[32:33]
	v_mov_b32_e32 v52, 0
	v_mov_b32_e32 v56, 0
	;; [unrolled: 1-line block ×7, first 2 shown]
	s_branch .LBB73_7
.LBB73_6:                               ;   in Loop: Header=BB73_7 Depth=2
	s_or_b64 exec, exec, s[4:5]
	s_waitcnt lgkmcnt(0)
	s_barrier
	ds_read2_b64 v[68:71], v18 offset1:16
	ds_read_b128 v[72:75], v53
	ds_read_b128 v[8:11], v53 offset:16
	ds_read_b128 v[4:7], v53 offset:32
	ds_read_b128 v[0:3], v53 offset:48
	ds_read2_b64 v[80:83], v18 offset0:32 offset1:48
	s_waitcnt lgkmcnt(4)
	v_mul_f32_e32 v35, v73, v69
	v_fma_f32 v35, v72, v68, -v35
	v_mul_f32_e32 v63, v72, v69
	v_fmac_f32_e32 v63, v73, v68
	v_add_f32_e32 v35, v62, v35
	v_mul_f32_e32 v62, v73, v71
	v_add_f32_e32 v84, v64, v63
	v_fma_f32 v76, v72, v70, -v62
	ds_read_b128 v[62:65], v53 offset:4096
	v_mul_f32_e32 v72, v72, v71
	v_fmac_f32_e32 v72, v73, v70
	v_add_f32_e32 v58, v58, v76
	v_add_f32_e32 v60, v60, v72
	ds_read_b128 v[76:79], v53 offset:4112
	s_waitcnt lgkmcnt(1)
	v_mul_f32_e32 v72, v63, v69
	v_mul_f32_e32 v69, v62, v69
	v_fma_f32 v72, v62, v68, -v72
	v_fmac_f32_e32 v69, v63, v68
	v_mul_f32_e32 v68, v63, v71
	v_fma_f32 v68, v62, v70, -v68
	v_mul_f32_e32 v62, v62, v71
	v_fmac_f32_e32 v62, v63, v70
	v_add_f32_e32 v52, v52, v68
	v_add_f32_e32 v50, v50, v62
	v_mul_f32_e32 v62, v75, v81
	v_mul_f32_e32 v63, v74, v81
	;; [unrolled: 1-line block ×3, first 2 shown]
	v_fma_f32 v62, v74, v80, -v62
	v_fmac_f32_e32 v63, v75, v80
	v_fmac_f32_e32 v68, v75, v82
	v_add_f32_e32 v35, v35, v62
	v_add_f32_e32 v62, v84, v63
	v_mul_f32_e32 v63, v75, v83
	v_add_f32_e32 v60, v60, v68
	v_mul_f32_e32 v68, v64, v81
	v_add_f32_e32 v56, v56, v69
	v_fma_f32 v63, v74, v82, -v63
	v_fmac_f32_e32 v68, v65, v80
	v_add_f32_e32 v58, v58, v63
	v_mul_f32_e32 v63, v65, v81
	v_add_f32_e32 v56, v56, v68
	ds_read2_b64 v[68:71], v18 offset0:64 offset1:80
	v_add_f32_e32 v54, v54, v72
	v_fma_f32 v63, v64, v80, -v63
	v_add_f32_e32 v54, v54, v63
	v_mul_f32_e32 v63, v65, v83
	v_fma_f32 v63, v64, v82, -v63
	v_mul_f32_e32 v64, v64, v83
	v_fmac_f32_e32 v64, v65, v82
	v_add_f32_e32 v50, v50, v64
	s_waitcnt lgkmcnt(0)
	v_mul_f32_e32 v64, v8, v69
	v_fmac_f32_e32 v64, v9, v68
	v_add_f32_e32 v52, v52, v63
	v_mul_f32_e32 v63, v9, v69
	v_add_f32_e32 v72, v62, v64
	v_mul_f32_e32 v62, v9, v71
	v_fma_f32 v63, v8, v68, -v63
	v_fma_f32 v62, v8, v70, -v62
	v_mul_f32_e32 v8, v8, v71
	v_add_f32_e32 v35, v35, v63
	v_fmac_f32_e32 v8, v9, v70
	v_add_f32_e32 v9, v58, v62
	ds_read2_b64 v[62:65], v18 offset0:96 offset1:112
	v_add_f32_e32 v8, v60, v8
	v_mul_f32_e32 v58, v77, v69
	v_mul_f32_e32 v60, v76, v69
	v_fma_f32 v58, v76, v68, -v58
	v_fmac_f32_e32 v60, v77, v68
	v_add_f32_e32 v54, v54, v58
	v_add_f32_e32 v56, v56, v60
	v_mul_f32_e32 v58, v77, v71
	v_mul_f32_e32 v60, v76, v71
	v_fma_f32 v58, v76, v70, -v58
	v_fmac_f32_e32 v60, v77, v70
	v_add_f32_e32 v52, v52, v58
	v_add_f32_e32 v50, v50, v60
	s_waitcnt lgkmcnt(0)
	v_mul_f32_e32 v58, v11, v63
	v_mul_f32_e32 v60, v10, v63
	v_fma_f32 v58, v10, v62, -v58
	v_fmac_f32_e32 v60, v11, v62
	v_add_f32_e32 v35, v35, v58
	v_add_f32_e32 v58, v72, v60
	v_mul_f32_e32 v60, v11, v65
	v_fma_f32 v60, v10, v64, -v60
	v_mul_f32_e32 v10, v10, v65
	v_fmac_f32_e32 v10, v11, v64
	v_add_f32_e32 v68, v8, v10
	v_mul_f32_e32 v8, v79, v63
	v_add_f32_e32 v60, v9, v60
	v_fma_f32 v8, v78, v62, -v8
	v_mul_f32_e32 v9, v78, v63
	v_fmac_f32_e32 v9, v79, v62
	v_add_f32_e32 v54, v54, v8
	v_mul_f32_e32 v8, v79, v65
	v_add_f32_e32 v56, v56, v9
	v_fma_f32 v62, v78, v64, -v8
	ds_read2_b64 v[8:11], v18 offset0:128 offset1:144
	v_mul_f32_e32 v63, v78, v65
	v_fmac_f32_e32 v63, v79, v64
	v_add_f32_e32 v52, v52, v62
	v_add_f32_e32 v50, v50, v63
	s_waitcnt lgkmcnt(0)
	v_mul_f32_e32 v62, v5, v9
	v_fma_f32 v62, v4, v8, -v62
	v_mul_f32_e32 v63, v4, v9
	v_fmac_f32_e32 v63, v5, v8
	v_add_f32_e32 v35, v35, v62
	v_mul_f32_e32 v62, v5, v11
	v_add_f32_e32 v58, v58, v63
	v_fma_f32 v69, v4, v10, -v62
	ds_read_b128 v[62:65], v53 offset:4128
	v_mul_f32_e32 v4, v4, v11
	v_fmac_f32_e32 v4, v5, v10
	ds_read2_b64 v[72:75], v18 offset0:160 offset1:176
	v_add_f32_e32 v5, v60, v69
	v_add_f32_e32 v4, v68, v4
	ds_read_b128 v[68:71], v53 offset:4144
	s_waitcnt lgkmcnt(2)
	v_mul_f32_e32 v60, v63, v9
	v_fma_f32 v60, v62, v8, -v60
	v_mul_f32_e32 v9, v62, v9
	v_fmac_f32_e32 v9, v63, v8
	v_add_f32_e32 v8, v54, v60
	v_mul_f32_e32 v54, v63, v11
	v_mul_f32_e32 v11, v62, v11
	v_fma_f32 v54, v62, v10, -v54
	v_fmac_f32_e32 v11, v63, v10
	v_add_f32_e32 v10, v52, v54
	v_add_f32_e32 v11, v50, v11
	s_waitcnt lgkmcnt(1)
	v_mul_f32_e32 v50, v7, v73
	v_mul_f32_e32 v52, v6, v73
	v_fma_f32 v50, v6, v72, -v50
	v_fmac_f32_e32 v52, v7, v72
	v_add_f32_e32 v35, v35, v50
	v_add_f32_e32 v50, v58, v52
	v_mul_f32_e32 v52, v7, v75
	v_fma_f32 v52, v6, v74, -v52
	v_mul_f32_e32 v6, v6, v75
	v_fmac_f32_e32 v6, v7, v74
	v_add_f32_e32 v54, v4, v6
	v_mul_f32_e32 v4, v65, v73
	v_add_f32_e32 v52, v5, v52
	v_fma_f32 v4, v64, v72, -v4
	v_mul_f32_e32 v5, v64, v73
	v_add_f32_e32 v9, v56, v9
	v_fmac_f32_e32 v5, v65, v72
	v_add_f32_e32 v8, v8, v4
	v_mul_f32_e32 v4, v65, v75
	v_add_f32_e32 v9, v9, v5
	v_fma_f32 v56, v64, v74, -v4
	ds_read2_b64 v[4:7], v18 offset0:192 offset1:208
	v_add_f32_e32 v56, v10, v56
	v_mul_f32_e32 v58, v64, v75
	v_fmac_f32_e32 v58, v65, v74
	v_add_f32_e32 v58, v11, v58
	s_waitcnt lgkmcnt(0)
	v_mul_f32_e32 v10, v1, v5
	v_fma_f32 v10, v0, v4, -v10
	v_add_f32_e32 v35, v35, v10
	v_mul_f32_e32 v10, v1, v7
	v_mul_f32_e32 v11, v0, v5
	v_fma_f32 v10, v0, v6, -v10
	v_mul_f32_e32 v0, v0, v7
	v_fmac_f32_e32 v11, v1, v4
	v_fmac_f32_e32 v0, v1, v6
	v_add_f32_e32 v1, v52, v10
	v_mul_f32_e32 v10, v69, v5
	v_fma_f32 v10, v68, v4, -v10
	v_mul_f32_e32 v5, v68, v5
	v_fmac_f32_e32 v5, v69, v4
	v_add_f32_e32 v4, v8, v10
	v_mul_f32_e32 v8, v69, v7
	v_add_f32_e32 v50, v50, v11
	v_add_f32_e32 v5, v9, v5
	v_fma_f32 v52, v68, v6, -v8
	ds_read2_b64 v[8:11], v18 offset0:224 offset1:240
	v_mul_f32_e32 v7, v68, v7
	v_fmac_f32_e32 v7, v69, v6
	v_add_f32_e32 v0, v54, v0
	v_add_f32_e32 v54, v58, v7
	s_waitcnt lgkmcnt(0)
	v_mul_f32_e32 v6, v3, v9
	v_fma_f32 v6, v2, v8, -v6
	v_add_f32_e32 v35, v35, v6
	v_mul_f32_e32 v6, v3, v11
	v_mul_f32_e32 v7, v2, v9
	v_fma_f32 v6, v2, v10, -v6
	v_mul_f32_e32 v2, v2, v11
	v_fmac_f32_e32 v2, v3, v10
	v_add_f32_e32 v58, v0, v2
	v_mul_f32_e32 v0, v71, v9
	v_add_f32_e32 v52, v56, v52
	v_add_f32_e32 v56, v1, v6
	v_fma_f32 v0, v70, v8, -v0
	v_mul_f32_e32 v1, v70, v9
	v_fmac_f32_e32 v7, v3, v8
	v_fmac_f32_e32 v1, v71, v8
	v_add_f32_e32 v60, v4, v0
	v_mul_f32_e32 v0, v71, v11
	v_add_f32_e32 v50, v50, v7
	v_add_f32_e32 v72, v5, v1
	v_fma_f32 v8, v70, v10, -v0
	ds_read_b128 v[0:3], v53 offset:64
	ds_read2_b64 v[4:7], v57 offset1:16
	v_mul_f32_e32 v9, v70, v11
	v_fmac_f32_e32 v9, v71, v10
	v_add_f32_e32 v52, v52, v8
	v_add_f32_e32 v54, v54, v9
	s_waitcnt lgkmcnt(0)
	v_mul_f32_e32 v62, v1, v5
	v_fma_f32 v62, v0, v4, -v62
	v_mul_f32_e32 v63, v0, v5
	v_fmac_f32_e32 v63, v1, v4
	v_add_f32_e32 v35, v35, v62
	v_mul_f32_e32 v62, v1, v7
	ds_read_b128 v[8:11], v53 offset:80
	v_add_f32_e32 v50, v50, v63
	v_fma_f32 v68, v0, v6, -v62
	ds_read_b128 v[62:65], v53 offset:4160
	v_mul_f32_e32 v0, v0, v7
	v_fmac_f32_e32 v0, v1, v6
	v_add_f32_e32 v1, v56, v68
	v_add_f32_e32 v0, v58, v0
	s_waitcnt lgkmcnt(0)
	v_mul_f32_e32 v56, v63, v5
	v_mul_f32_e32 v5, v62, v5
	v_fmac_f32_e32 v5, v63, v4
	v_add_f32_e32 v5, v72, v5
	ds_read2_b64 v[72:75], v57 offset0:32 offset1:48
	v_fma_f32 v56, v62, v4, -v56
	v_add_f32_e32 v4, v60, v56
	v_mul_f32_e32 v56, v63, v7
	v_fma_f32 v56, v62, v6, -v56
	v_mul_f32_e32 v7, v62, v7
	v_fmac_f32_e32 v7, v63, v6
	v_add_f32_e32 v6, v52, v56
	s_waitcnt lgkmcnt(0)
	v_mul_f32_e32 v52, v3, v73
	v_fma_f32 v52, v2, v72, -v52
	v_add_f32_e32 v35, v35, v52
	v_mul_f32_e32 v52, v3, v75
	v_add_f32_e32 v7, v54, v7
	v_mul_f32_e32 v54, v2, v73
	v_fma_f32 v52, v2, v74, -v52
	v_mul_f32_e32 v2, v2, v75
	v_fmac_f32_e32 v54, v3, v72
	v_fmac_f32_e32 v2, v3, v74
	v_add_f32_e32 v50, v50, v54
	v_add_f32_e32 v54, v0, v2
	v_mul_f32_e32 v0, v65, v73
	v_add_f32_e32 v52, v1, v52
	v_fma_f32 v0, v64, v72, -v0
	v_mul_f32_e32 v1, v64, v73
	v_fmac_f32_e32 v1, v65, v72
	v_add_f32_e32 v4, v4, v0
	v_mul_f32_e32 v0, v65, v75
	v_add_f32_e32 v5, v5, v1
	v_fma_f32 v56, v64, v74, -v0
	ds_read2_b64 v[0:3], v57 offset0:64 offset1:80
	ds_read_b128 v[68:71], v53 offset:4176
	v_mul_f32_e32 v58, v64, v75
	v_add_f32_e32 v56, v6, v56
	v_fmac_f32_e32 v58, v65, v74
	s_waitcnt lgkmcnt(1)
	v_mul_f32_e32 v6, v9, v1
	v_fma_f32 v6, v8, v0, -v6
	v_add_f32_e32 v58, v7, v58
	v_mul_f32_e32 v7, v8, v1
	v_add_f32_e32 v35, v35, v6
	v_mul_f32_e32 v6, v9, v3
	v_fmac_f32_e32 v7, v9, v0
	v_fma_f32 v6, v8, v2, -v6
	v_add_f32_e32 v50, v50, v7
	v_mul_f32_e32 v7, v8, v3
	v_add_f32_e32 v8, v52, v6
	s_waitcnt lgkmcnt(0)
	v_mul_f32_e32 v6, v69, v1
	v_fma_f32 v6, v68, v0, -v6
	v_mul_f32_e32 v1, v68, v1
	v_fmac_f32_e32 v7, v9, v2
	v_fmac_f32_e32 v1, v69, v0
	v_add_f32_e32 v0, v4, v6
	v_mul_f32_e32 v4, v69, v3
	v_add_f32_e32 v9, v54, v7
	v_add_f32_e32 v1, v5, v1
	v_fma_f32 v52, v68, v2, -v4
	ds_read2_b64 v[4:7], v57 offset0:96 offset1:112
	v_mul_f32_e32 v3, v68, v3
	v_fmac_f32_e32 v3, v69, v2
	v_add_f32_e32 v54, v58, v3
	v_add_f32_e32 v52, v56, v52
	s_waitcnt lgkmcnt(0)
	v_mul_f32_e32 v2, v11, v5
	v_fma_f32 v2, v10, v4, -v2
	v_mul_f32_e32 v3, v10, v5
	v_fmac_f32_e32 v3, v11, v4
	v_add_f32_e32 v35, v35, v2
	v_mul_f32_e32 v2, v11, v7
	v_add_f32_e32 v50, v50, v3
	v_fma_f32 v2, v10, v6, -v2
	v_mul_f32_e32 v3, v10, v7
	v_fmac_f32_e32 v3, v11, v6
	v_add_f32_e32 v56, v8, v2
	v_mul_f32_e32 v2, v71, v5
	v_add_f32_e32 v58, v9, v3
	;; [unrolled: 6-line block ×3, first 2 shown]
	v_fma_f32 v4, v70, v6, -v0
	ds_read_b128 v[0:3], v53 offset:96
	ds_read2_b64 v[8:11], v57 offset0:128 offset1:144
	v_mul_f32_e32 v5, v70, v7
	v_fmac_f32_e32 v5, v71, v6
	v_add_f32_e32 v52, v52, v4
	v_add_f32_e32 v54, v54, v5
	s_waitcnt lgkmcnt(0)
	v_mul_f32_e32 v62, v1, v9
	v_fma_f32 v62, v0, v8, -v62
	v_mul_f32_e32 v63, v0, v9
	v_fmac_f32_e32 v63, v1, v8
	v_add_f32_e32 v35, v35, v62
	v_mul_f32_e32 v62, v1, v11
	ds_read_b128 v[4:7], v53 offset:112
	v_add_f32_e32 v50, v50, v63
	v_fma_f32 v68, v0, v10, -v62
	ds_read_b128 v[62:65], v53 offset:4192
	v_mul_f32_e32 v0, v0, v11
	v_fmac_f32_e32 v0, v1, v10
	v_add_f32_e32 v1, v56, v68
	v_add_f32_e32 v0, v58, v0
	s_waitcnt lgkmcnt(0)
	v_mul_f32_e32 v56, v63, v9
	v_mul_f32_e32 v9, v62, v9
	v_fmac_f32_e32 v9, v63, v8
	v_add_f32_e32 v9, v72, v9
	ds_read2_b64 v[72:75], v57 offset0:160 offset1:176
	v_fma_f32 v56, v62, v8, -v56
	v_add_f32_e32 v8, v60, v56
	v_mul_f32_e32 v56, v63, v11
	v_fma_f32 v56, v62, v10, -v56
	v_mul_f32_e32 v11, v62, v11
	v_fmac_f32_e32 v11, v63, v10
	v_add_f32_e32 v10, v52, v56
	s_waitcnt lgkmcnt(0)
	v_mul_f32_e32 v52, v3, v73
	v_fma_f32 v52, v2, v72, -v52
	v_add_f32_e32 v35, v35, v52
	v_mul_f32_e32 v52, v3, v75
	v_add_f32_e32 v11, v54, v11
	v_mul_f32_e32 v54, v2, v73
	v_fma_f32 v52, v2, v74, -v52
	v_mul_f32_e32 v2, v2, v75
	v_fmac_f32_e32 v54, v3, v72
	v_fmac_f32_e32 v2, v3, v74
	v_add_f32_e32 v50, v50, v54
	v_add_f32_e32 v54, v0, v2
	v_mul_f32_e32 v0, v65, v73
	v_add_f32_e32 v52, v1, v52
	v_fma_f32 v0, v64, v72, -v0
	v_mul_f32_e32 v1, v64, v73
	v_fmac_f32_e32 v1, v65, v72
	v_add_f32_e32 v8, v8, v0
	v_mul_f32_e32 v0, v65, v75
	v_add_f32_e32 v9, v9, v1
	v_fma_f32 v56, v64, v74, -v0
	ds_read2_b64 v[0:3], v57 offset0:192 offset1:208
	ds_read_b128 v[68:71], v53 offset:4208
	v_add_f32_e32 v56, v10, v56
	v_mul_f32_e32 v58, v64, v75
	v_fmac_f32_e32 v58, v65, v74
	s_waitcnt lgkmcnt(1)
	v_mul_f32_e32 v10, v5, v1
	v_fma_f32 v10, v4, v0, -v10
	v_add_f32_e32 v35, v35, v10
	v_mul_f32_e32 v10, v5, v3
	v_add_f32_e32 v58, v11, v58
	v_mul_f32_e32 v11, v4, v1
	v_fma_f32 v10, v4, v2, -v10
	v_mul_f32_e32 v4, v4, v3
	v_fmac_f32_e32 v11, v5, v0
	v_fmac_f32_e32 v4, v5, v2
	v_add_f32_e32 v5, v52, v10
	s_waitcnt lgkmcnt(0)
	v_mul_f32_e32 v10, v69, v1
	v_fma_f32 v10, v68, v0, -v10
	v_mul_f32_e32 v1, v68, v1
	v_fmac_f32_e32 v1, v69, v0
	v_add_f32_e32 v0, v8, v10
	v_mul_f32_e32 v8, v69, v3
	v_add_f32_e32 v50, v50, v11
	v_add_f32_e32 v1, v9, v1
	v_fma_f32 v52, v68, v2, -v8
	ds_read2_b64 v[8:11], v57 offset0:224 offset1:240
	v_mul_f32_e32 v3, v68, v3
	v_fmac_f32_e32 v3, v69, v2
	v_add_f32_e32 v4, v54, v4
	v_add_f32_e32 v54, v58, v3
	s_waitcnt lgkmcnt(0)
	v_mul_f32_e32 v2, v7, v9
	v_fma_f32 v2, v6, v8, -v2
	v_mul_f32_e32 v3, v6, v9
	v_fmac_f32_e32 v3, v7, v8
	v_add_f32_e32 v35, v35, v2
	v_mul_f32_e32 v2, v7, v11
	v_add_f32_e32 v50, v50, v3
	v_fma_f32 v2, v6, v10, -v2
	v_mul_f32_e32 v3, v6, v11
	v_add_f32_e32 v52, v56, v52
	v_fmac_f32_e32 v3, v7, v10
	v_add_f32_e32 v56, v5, v2
	v_mul_f32_e32 v2, v71, v9
	v_add_f32_e32 v58, v4, v3
	v_fma_f32 v2, v70, v8, -v2
	v_mul_f32_e32 v3, v70, v9
	v_fmac_f32_e32 v3, v71, v8
	v_add_f32_e32 v60, v0, v2
	v_mul_f32_e32 v0, v71, v11
	v_add_f32_e32 v72, v1, v3
	v_fma_f32 v8, v70, v10, -v0
	ds_read_b128 v[0:3], v53 offset:128
	ds_read2_b64 v[4:7], v59 offset1:16
	v_mul_f32_e32 v9, v70, v11
	v_fmac_f32_e32 v9, v71, v10
	v_add_f32_e32 v52, v52, v8
	v_add_f32_e32 v54, v54, v9
	s_waitcnt lgkmcnt(0)
	v_mul_f32_e32 v62, v1, v5
	v_fma_f32 v62, v0, v4, -v62
	v_mul_f32_e32 v63, v0, v5
	v_fmac_f32_e32 v63, v1, v4
	v_add_f32_e32 v35, v35, v62
	v_mul_f32_e32 v62, v1, v7
	ds_read_b128 v[8:11], v53 offset:144
	v_add_f32_e32 v50, v50, v63
	v_fma_f32 v68, v0, v6, -v62
	ds_read_b128 v[62:65], v53 offset:4224
	v_mul_f32_e32 v0, v0, v7
	v_fmac_f32_e32 v0, v1, v6
	v_add_f32_e32 v1, v56, v68
	v_add_f32_e32 v0, v58, v0
	s_waitcnt lgkmcnt(0)
	v_mul_f32_e32 v56, v63, v5
	v_mul_f32_e32 v5, v62, v5
	v_fmac_f32_e32 v5, v63, v4
	v_add_f32_e32 v5, v72, v5
	ds_read2_b64 v[72:75], v59 offset0:32 offset1:48
	v_fma_f32 v56, v62, v4, -v56
	v_add_f32_e32 v4, v60, v56
	v_mul_f32_e32 v56, v63, v7
	v_fma_f32 v56, v62, v6, -v56
	v_mul_f32_e32 v7, v62, v7
	v_fmac_f32_e32 v7, v63, v6
	v_add_f32_e32 v6, v52, v56
	s_waitcnt lgkmcnt(0)
	v_mul_f32_e32 v52, v3, v73
	v_fma_f32 v52, v2, v72, -v52
	v_add_f32_e32 v35, v35, v52
	v_mul_f32_e32 v52, v3, v75
	v_add_f32_e32 v7, v54, v7
	v_mul_f32_e32 v54, v2, v73
	v_fma_f32 v52, v2, v74, -v52
	v_mul_f32_e32 v2, v2, v75
	v_fmac_f32_e32 v54, v3, v72
	v_fmac_f32_e32 v2, v3, v74
	v_add_f32_e32 v50, v50, v54
	v_add_f32_e32 v54, v0, v2
	v_mul_f32_e32 v0, v65, v73
	v_add_f32_e32 v52, v1, v52
	v_fma_f32 v0, v64, v72, -v0
	v_mul_f32_e32 v1, v64, v73
	v_fmac_f32_e32 v1, v65, v72
	v_add_f32_e32 v4, v4, v0
	v_mul_f32_e32 v0, v65, v75
	v_add_f32_e32 v5, v5, v1
	v_fma_f32 v56, v64, v74, -v0
	ds_read2_b64 v[0:3], v59 offset0:64 offset1:80
	ds_read_b128 v[68:71], v53 offset:4240
	v_mul_f32_e32 v58, v64, v75
	v_add_f32_e32 v56, v6, v56
	v_fmac_f32_e32 v58, v65, v74
	s_waitcnt lgkmcnt(1)
	v_mul_f32_e32 v6, v9, v1
	v_fma_f32 v6, v8, v0, -v6
	v_add_f32_e32 v58, v7, v58
	v_mul_f32_e32 v7, v8, v1
	v_add_f32_e32 v35, v35, v6
	v_mul_f32_e32 v6, v9, v3
	v_fmac_f32_e32 v7, v9, v0
	v_fma_f32 v6, v8, v2, -v6
	v_add_f32_e32 v50, v50, v7
	v_mul_f32_e32 v7, v8, v3
	v_add_f32_e32 v8, v52, v6
	s_waitcnt lgkmcnt(0)
	v_mul_f32_e32 v6, v69, v1
	v_fma_f32 v6, v68, v0, -v6
	v_mul_f32_e32 v1, v68, v1
	v_fmac_f32_e32 v7, v9, v2
	v_fmac_f32_e32 v1, v69, v0
	v_add_f32_e32 v0, v4, v6
	v_mul_f32_e32 v4, v69, v3
	v_add_f32_e32 v9, v54, v7
	v_add_f32_e32 v1, v5, v1
	v_fma_f32 v52, v68, v2, -v4
	ds_read2_b64 v[4:7], v59 offset0:96 offset1:112
	v_mul_f32_e32 v3, v68, v3
	v_fmac_f32_e32 v3, v69, v2
	v_add_f32_e32 v54, v58, v3
	v_add_f32_e32 v52, v56, v52
	s_waitcnt lgkmcnt(0)
	v_mul_f32_e32 v2, v11, v5
	v_fma_f32 v2, v10, v4, -v2
	v_mul_f32_e32 v3, v10, v5
	v_fmac_f32_e32 v3, v11, v4
	v_add_f32_e32 v35, v35, v2
	v_mul_f32_e32 v2, v11, v7
	v_add_f32_e32 v50, v50, v3
	v_fma_f32 v2, v10, v6, -v2
	v_mul_f32_e32 v3, v10, v7
	v_fmac_f32_e32 v3, v11, v6
	v_add_f32_e32 v56, v8, v2
	v_mul_f32_e32 v2, v71, v5
	v_add_f32_e32 v58, v9, v3
	;; [unrolled: 6-line block ×3, first 2 shown]
	v_fma_f32 v4, v70, v6, -v0
	ds_read_b128 v[0:3], v53 offset:160
	ds_read2_b64 v[8:11], v59 offset0:128 offset1:144
	v_mul_f32_e32 v5, v70, v7
	v_fmac_f32_e32 v5, v71, v6
	v_add_f32_e32 v52, v52, v4
	v_add_f32_e32 v54, v54, v5
	s_waitcnt lgkmcnt(0)
	v_mul_f32_e32 v62, v1, v9
	v_fma_f32 v62, v0, v8, -v62
	v_mul_f32_e32 v63, v0, v9
	v_fmac_f32_e32 v63, v1, v8
	v_add_f32_e32 v35, v35, v62
	v_mul_f32_e32 v62, v1, v11
	ds_read_b128 v[4:7], v53 offset:176
	v_add_f32_e32 v50, v50, v63
	v_fma_f32 v68, v0, v10, -v62
	ds_read_b128 v[62:65], v53 offset:4256
	v_mul_f32_e32 v0, v0, v11
	v_fmac_f32_e32 v0, v1, v10
	v_add_f32_e32 v1, v56, v68
	v_add_f32_e32 v0, v58, v0
	s_waitcnt lgkmcnt(0)
	v_mul_f32_e32 v56, v63, v9
	v_mul_f32_e32 v9, v62, v9
	v_fmac_f32_e32 v9, v63, v8
	v_add_f32_e32 v9, v72, v9
	ds_read2_b64 v[72:75], v59 offset0:160 offset1:176
	v_fma_f32 v56, v62, v8, -v56
	v_add_f32_e32 v8, v60, v56
	v_mul_f32_e32 v56, v63, v11
	v_fma_f32 v56, v62, v10, -v56
	v_mul_f32_e32 v11, v62, v11
	v_fmac_f32_e32 v11, v63, v10
	v_add_f32_e32 v10, v52, v56
	s_waitcnt lgkmcnt(0)
	v_mul_f32_e32 v52, v3, v73
	v_fma_f32 v52, v2, v72, -v52
	v_add_f32_e32 v35, v35, v52
	v_mul_f32_e32 v52, v3, v75
	v_add_f32_e32 v11, v54, v11
	v_mul_f32_e32 v54, v2, v73
	v_fma_f32 v52, v2, v74, -v52
	v_mul_f32_e32 v2, v2, v75
	v_fmac_f32_e32 v54, v3, v72
	v_fmac_f32_e32 v2, v3, v74
	v_add_f32_e32 v50, v50, v54
	v_add_f32_e32 v54, v0, v2
	v_mul_f32_e32 v0, v65, v73
	v_add_f32_e32 v52, v1, v52
	v_fma_f32 v0, v64, v72, -v0
	v_mul_f32_e32 v1, v64, v73
	v_fmac_f32_e32 v1, v65, v72
	v_add_f32_e32 v8, v8, v0
	v_mul_f32_e32 v0, v65, v75
	v_add_f32_e32 v9, v9, v1
	v_fma_f32 v56, v64, v74, -v0
	ds_read2_b64 v[0:3], v59 offset0:192 offset1:208
	ds_read_b128 v[68:71], v53 offset:4272
	v_add_f32_e32 v56, v10, v56
	v_mul_f32_e32 v58, v64, v75
	v_fmac_f32_e32 v58, v65, v74
	s_waitcnt lgkmcnt(1)
	v_mul_f32_e32 v10, v5, v1
	v_fma_f32 v10, v4, v0, -v10
	v_add_f32_e32 v35, v35, v10
	v_mul_f32_e32 v10, v5, v3
	v_add_f32_e32 v58, v11, v58
	v_mul_f32_e32 v11, v4, v1
	v_fma_f32 v10, v4, v2, -v10
	v_mul_f32_e32 v4, v4, v3
	v_fmac_f32_e32 v11, v5, v0
	v_fmac_f32_e32 v4, v5, v2
	v_add_f32_e32 v5, v52, v10
	s_waitcnt lgkmcnt(0)
	v_mul_f32_e32 v10, v69, v1
	v_fma_f32 v10, v68, v0, -v10
	v_mul_f32_e32 v1, v68, v1
	v_fmac_f32_e32 v1, v69, v0
	v_add_f32_e32 v0, v8, v10
	v_mul_f32_e32 v8, v69, v3
	v_add_f32_e32 v50, v50, v11
	v_add_f32_e32 v1, v9, v1
	v_fma_f32 v52, v68, v2, -v8
	ds_read2_b64 v[8:11], v59 offset0:224 offset1:240
	v_mul_f32_e32 v3, v68, v3
	v_fmac_f32_e32 v3, v69, v2
	v_add_f32_e32 v4, v54, v4
	v_add_f32_e32 v54, v58, v3
	s_waitcnt lgkmcnt(0)
	v_mul_f32_e32 v2, v7, v9
	v_fma_f32 v2, v6, v8, -v2
	v_mul_f32_e32 v3, v6, v9
	v_fmac_f32_e32 v3, v7, v8
	v_add_f32_e32 v35, v35, v2
	v_mul_f32_e32 v2, v7, v11
	v_add_f32_e32 v50, v50, v3
	v_fma_f32 v2, v6, v10, -v2
	v_mul_f32_e32 v3, v6, v11
	v_add_f32_e32 v52, v56, v52
	v_fmac_f32_e32 v3, v7, v10
	v_add_f32_e32 v56, v5, v2
	v_mul_f32_e32 v2, v71, v9
	v_add_f32_e32 v58, v4, v3
	v_fma_f32 v2, v70, v8, -v2
	v_mul_f32_e32 v3, v70, v9
	v_fmac_f32_e32 v3, v71, v8
	v_add_f32_e32 v60, v0, v2
	v_mul_f32_e32 v0, v71, v11
	v_add_f32_e32 v72, v1, v3
	v_fma_f32 v8, v70, v10, -v0
	ds_read_b128 v[0:3], v53 offset:192
	ds_read2_b64 v[4:7], v61 offset1:16
	v_mul_f32_e32 v9, v70, v11
	v_fmac_f32_e32 v9, v71, v10
	v_add_f32_e32 v52, v52, v8
	v_add_f32_e32 v54, v54, v9
	s_waitcnt lgkmcnt(0)
	v_mul_f32_e32 v62, v1, v5
	v_fma_f32 v62, v0, v4, -v62
	v_mul_f32_e32 v63, v0, v5
	v_fmac_f32_e32 v63, v1, v4
	v_add_f32_e32 v35, v35, v62
	v_mul_f32_e32 v62, v1, v7
	ds_read_b128 v[8:11], v53 offset:208
	v_add_f32_e32 v50, v50, v63
	v_fma_f32 v68, v0, v6, -v62
	ds_read_b128 v[62:65], v53 offset:4288
	v_mul_f32_e32 v0, v0, v7
	v_fmac_f32_e32 v0, v1, v6
	v_add_f32_e32 v1, v56, v68
	v_add_f32_e32 v0, v58, v0
	s_waitcnt lgkmcnt(0)
	v_mul_f32_e32 v56, v63, v5
	v_mul_f32_e32 v5, v62, v5
	v_fmac_f32_e32 v5, v63, v4
	v_add_f32_e32 v5, v72, v5
	ds_read2_b64 v[72:75], v61 offset0:32 offset1:48
	v_fma_f32 v56, v62, v4, -v56
	v_add_f32_e32 v4, v60, v56
	v_mul_f32_e32 v56, v63, v7
	v_fma_f32 v56, v62, v6, -v56
	v_mul_f32_e32 v7, v62, v7
	v_fmac_f32_e32 v7, v63, v6
	v_add_f32_e32 v6, v52, v56
	s_waitcnt lgkmcnt(0)
	v_mul_f32_e32 v52, v3, v73
	v_fma_f32 v52, v2, v72, -v52
	v_add_f32_e32 v35, v35, v52
	v_mul_f32_e32 v52, v3, v75
	v_add_f32_e32 v7, v54, v7
	v_mul_f32_e32 v54, v2, v73
	v_fma_f32 v52, v2, v74, -v52
	v_mul_f32_e32 v2, v2, v75
	v_fmac_f32_e32 v54, v3, v72
	v_fmac_f32_e32 v2, v3, v74
	v_add_f32_e32 v50, v50, v54
	v_add_f32_e32 v54, v0, v2
	v_mul_f32_e32 v0, v65, v73
	v_add_f32_e32 v52, v1, v52
	v_fma_f32 v0, v64, v72, -v0
	v_mul_f32_e32 v1, v64, v73
	v_fmac_f32_e32 v1, v65, v72
	v_add_f32_e32 v4, v4, v0
	v_mul_f32_e32 v0, v65, v75
	v_add_f32_e32 v5, v5, v1
	v_fma_f32 v56, v64, v74, -v0
	ds_read2_b64 v[0:3], v61 offset0:64 offset1:80
	ds_read_b128 v[68:71], v53 offset:4304
	v_mul_f32_e32 v58, v64, v75
	v_add_f32_e32 v56, v6, v56
	v_fmac_f32_e32 v58, v65, v74
	s_waitcnt lgkmcnt(1)
	v_mul_f32_e32 v6, v9, v1
	v_fma_f32 v6, v8, v0, -v6
	v_add_f32_e32 v58, v7, v58
	v_mul_f32_e32 v7, v8, v1
	v_add_f32_e32 v35, v35, v6
	v_mul_f32_e32 v6, v9, v3
	v_fmac_f32_e32 v7, v9, v0
	v_fma_f32 v6, v8, v2, -v6
	v_add_f32_e32 v50, v50, v7
	v_mul_f32_e32 v7, v8, v3
	v_add_f32_e32 v8, v52, v6
	s_waitcnt lgkmcnt(0)
	v_mul_f32_e32 v6, v69, v1
	v_fma_f32 v6, v68, v0, -v6
	v_mul_f32_e32 v1, v68, v1
	v_fmac_f32_e32 v7, v9, v2
	v_fmac_f32_e32 v1, v69, v0
	v_add_f32_e32 v0, v4, v6
	v_mul_f32_e32 v4, v69, v3
	v_add_f32_e32 v9, v54, v7
	v_add_f32_e32 v1, v5, v1
	v_fma_f32 v52, v68, v2, -v4
	ds_read2_b64 v[4:7], v61 offset0:96 offset1:112
	v_mul_f32_e32 v3, v68, v3
	v_fmac_f32_e32 v3, v69, v2
	v_add_f32_e32 v54, v58, v3
	v_add_f32_e32 v52, v56, v52
	s_waitcnt lgkmcnt(0)
	v_mul_f32_e32 v2, v11, v5
	v_fma_f32 v2, v10, v4, -v2
	v_mul_f32_e32 v3, v10, v5
	v_fmac_f32_e32 v3, v11, v4
	v_add_f32_e32 v35, v35, v2
	v_mul_f32_e32 v2, v11, v7
	v_add_f32_e32 v50, v50, v3
	v_fma_f32 v2, v10, v6, -v2
	v_mul_f32_e32 v3, v10, v7
	v_fmac_f32_e32 v3, v11, v6
	v_add_f32_e32 v56, v8, v2
	v_mul_f32_e32 v2, v71, v5
	v_add_f32_e32 v58, v9, v3
	;; [unrolled: 6-line block ×3, first 2 shown]
	v_fma_f32 v4, v70, v6, -v0
	ds_read_b128 v[0:3], v53 offset:224
	ds_read2_b64 v[8:11], v61 offset0:128 offset1:144
	v_mul_f32_e32 v5, v70, v7
	v_fmac_f32_e32 v5, v71, v6
	v_add_f32_e32 v52, v52, v4
	v_add_f32_e32 v54, v54, v5
	s_waitcnt lgkmcnt(0)
	v_mul_f32_e32 v62, v1, v9
	v_fma_f32 v62, v0, v8, -v62
	v_mul_f32_e32 v63, v0, v9
	v_fmac_f32_e32 v63, v1, v8
	v_add_f32_e32 v35, v35, v62
	v_mul_f32_e32 v62, v1, v11
	ds_read_b128 v[4:7], v53 offset:240
	v_add_f32_e32 v50, v50, v63
	v_fma_f32 v68, v0, v10, -v62
	ds_read_b128 v[62:65], v53 offset:4320
	v_mul_f32_e32 v0, v0, v11
	v_fmac_f32_e32 v0, v1, v10
	v_add_f32_e32 v1, v56, v68
	v_add_f32_e32 v0, v58, v0
	s_waitcnt lgkmcnt(0)
	v_mul_f32_e32 v56, v63, v9
	v_mul_f32_e32 v9, v62, v9
	v_fmac_f32_e32 v9, v63, v8
	v_add_f32_e32 v9, v72, v9
	ds_read2_b64 v[72:75], v61 offset0:160 offset1:176
	v_fma_f32 v56, v62, v8, -v56
	v_add_f32_e32 v8, v60, v56
	v_mul_f32_e32 v56, v63, v11
	v_fma_f32 v56, v62, v10, -v56
	v_mul_f32_e32 v11, v62, v11
	v_fmac_f32_e32 v11, v63, v10
	v_add_f32_e32 v10, v52, v56
	s_waitcnt lgkmcnt(0)
	v_mul_f32_e32 v52, v3, v73
	v_fma_f32 v52, v2, v72, -v52
	v_add_f32_e32 v35, v35, v52
	v_mul_f32_e32 v52, v3, v75
	v_add_f32_e32 v11, v54, v11
	v_mul_f32_e32 v54, v2, v73
	v_fma_f32 v52, v2, v74, -v52
	v_mul_f32_e32 v2, v2, v75
	v_fmac_f32_e32 v54, v3, v72
	v_fmac_f32_e32 v2, v3, v74
	v_add_f32_e32 v50, v50, v54
	v_add_f32_e32 v54, v0, v2
	v_mul_f32_e32 v0, v65, v73
	v_add_f32_e32 v52, v1, v52
	v_fma_f32 v0, v64, v72, -v0
	v_mul_f32_e32 v1, v64, v73
	v_fmac_f32_e32 v1, v65, v72
	v_add_f32_e32 v8, v8, v0
	v_mul_f32_e32 v0, v65, v75
	v_add_f32_e32 v9, v9, v1
	v_fma_f32 v56, v64, v74, -v0
	ds_read2_b64 v[0:3], v61 offset0:192 offset1:208
	ds_read_b128 v[68:71], v53 offset:4336
	v_add_f32_e32 v56, v10, v56
	v_mul_f32_e32 v58, v64, v75
	v_fmac_f32_e32 v58, v65, v74
	s_waitcnt lgkmcnt(1)
	v_mul_f32_e32 v10, v5, v1
	v_fma_f32 v10, v4, v0, -v10
	v_add_f32_e32 v35, v35, v10
	v_mul_f32_e32 v10, v5, v3
	v_add_f32_e32 v58, v11, v58
	v_mul_f32_e32 v11, v4, v1
	v_fma_f32 v10, v4, v2, -v10
	v_mul_f32_e32 v4, v4, v3
	v_fmac_f32_e32 v11, v5, v0
	v_fmac_f32_e32 v4, v5, v2
	v_add_f32_e32 v5, v52, v10
	s_waitcnt lgkmcnt(0)
	v_mul_f32_e32 v10, v69, v1
	v_fma_f32 v10, v68, v0, -v10
	v_mul_f32_e32 v1, v68, v1
	v_fmac_f32_e32 v1, v69, v0
	v_add_f32_e32 v0, v8, v10
	v_mul_f32_e32 v8, v69, v3
	v_add_f32_e32 v50, v50, v11
	v_add_f32_e32 v1, v9, v1
	v_fma_f32 v52, v68, v2, -v8
	ds_read2_b64 v[8:11], v61 offset0:224 offset1:240
	v_mul_f32_e32 v3, v68, v3
	v_fmac_f32_e32 v3, v69, v2
	v_add_f32_e32 v2, v56, v52
	v_add_f32_e32 v4, v54, v4
	s_waitcnt lgkmcnt(0)
	v_mul_f32_e32 v52, v7, v9
	v_fma_f32 v52, v6, v8, -v52
	v_add_f32_e32 v62, v35, v52
	v_mul_f32_e32 v35, v7, v11
	v_mul_f32_e32 v54, v6, v9
	v_fma_f32 v35, v6, v10, -v35
	v_mul_f32_e32 v6, v6, v11
	v_fmac_f32_e32 v6, v7, v10
	v_add_f32_e32 v3, v58, v3
	v_add_f32_e32 v58, v5, v35
	;; [unrolled: 1-line block ×3, first 2 shown]
	v_mul_f32_e32 v4, v71, v9
	v_mul_f32_e32 v5, v70, v9
	v_fmac_f32_e32 v54, v7, v8
	v_fma_f32 v4, v70, v8, -v4
	v_fmac_f32_e32 v5, v71, v8
	v_add_f32_e32 v64, v50, v54
	v_add_f32_e32 v54, v0, v4
	;; [unrolled: 1-line block ×3, first 2 shown]
	v_mul_f32_e32 v0, v71, v11
	v_mul_f32_e32 v1, v70, v11
	s_add_u32 s42, s42, 32
	v_fma_f32 v0, v70, v10, -v0
	v_fmac_f32_e32 v1, v71, v10
	s_addc_u32 s43, s43, 0
	s_sub_i32 s4, s42, 32
	v_add_f32_e32 v52, v2, v0
	v_add_f32_e32 v50, v3, v1
	v_lshl_add_u64 v[48:49], v[48:49], 0, s[52:53]
	v_lshl_add_u64 v[44:45], v[44:45], 0, s[40:41]
	s_cmp_ge_i32 s4, s56
	v_lshl_add_u64 v[46:47], v[46:47], 0, s[40:41]
	s_barrier
	s_cbranch_scc1 .LBB73_51
.LBB73_7:                               ;   Parent Loop BB73_4 Depth=1
                                        ; =>  This Inner Loop Header: Depth=2
	v_lshl_add_u64 v[0:1], v[12:13], 0, s[42:43]
	v_cmp_le_i64_e64 s[12:13], s[34:35], v[0:1]
	v_cmp_eq_u64_e64 s[4:5], s[42:43], v[24:25]
	v_cmp_gt_i64_e64 s[10:11], v[0:1], v[16:17]
	s_and_b64 s[46:47], s[30:31], s[4:5]
	s_or_b64 s[4:5], s[12:13], s[10:11]
	s_or_b64 s[4:5], s[4:5], s[46:47]
	v_lshl_add_u64 v[2:3], v[48:49], 0, v[36:37]
	s_nor_b64 s[4:5], s[0:1], s[4:5]
	s_and_saveexec_b64 s[44:45], s[4:5]
	s_xor_b64 s[4:5], exec, s[44:45]
	s_cbranch_execz .LBB73_9
; %bb.8:                                ;   in Loop: Header=BB73_7 Depth=2
	global_load_dwordx2 v[4:5], v[2:3], off
	s_waitcnt vmcnt(0)
	ds_write_b64 v51, v[4:5]
.LBB73_9:                               ;   in Loop: Header=BB73_7 Depth=2
	s_or_saveexec_b64 s[4:5], s[4:5]
	s_xor_b64 s[44:45], s[46:47], -1
	s_xor_b64 exec, exec, s[4:5]
	s_cbranch_execz .LBB73_15
; %bb.10:                               ;   in Loop: Header=BB73_7 Depth=2
	s_and_saveexec_b64 s[50:51], s[44:45]
	s_xor_b64 s[50:51], exec, s[50:51]
; %bb.11:                               ;   in Loop: Header=BB73_7 Depth=2
	ds_write_b64 v51, v[66:67]
; %bb.12:                               ;   in Loop: Header=BB73_7 Depth=2
	s_andn2_saveexec_b64 s[50:51], s[50:51]
; %bb.13:                               ;   in Loop: Header=BB73_7 Depth=2
	ds_write_b64 v51, v[40:41]
; %bb.14:                               ;   in Loop: Header=BB73_7 Depth=2
	s_or_b64 exec, exec, s[50:51]
.LBB73_15:                              ;   in Loop: Header=BB73_7 Depth=2
	s_or_b64 exec, exec, s[4:5]
	v_cmp_eq_u64_e64 s[4:5], s[42:43], v[26:27]
	s_and_b64 s[50:51], s[30:31], s[4:5]
	v_cmp_lt_i64_e64 s[4:5], v[20:21], v[0:1]
	s_or_b64 s[4:5], s[12:13], s[4:5]
	s_or_b64 s[4:5], s[4:5], s[50:51]
	s_nor_b64 s[4:5], s[14:15], s[4:5]
	s_and_saveexec_b64 s[12:13], s[4:5]
	s_xor_b64 s[4:5], exec, s[12:13]
	s_cbranch_execz .LBB73_17
; %bb.16:                               ;   in Loop: Header=BB73_7 Depth=2
	global_load_dwordx2 v[2:3], v[2:3], off offset:128
	s_waitcnt vmcnt(0)
	ds_write_b64 v51, v[2:3] offset:128
.LBB73_17:                              ;   in Loop: Header=BB73_7 Depth=2
	s_andn2_saveexec_b64 s[4:5], s[4:5]
	s_cbranch_execz .LBB73_23
; %bb.18:                               ;   in Loop: Header=BB73_7 Depth=2
	s_xor_b64 s[12:13], s[50:51], -1
	s_and_saveexec_b64 s[50:51], s[12:13]
	s_xor_b64 s[12:13], exec, s[50:51]
; %bb.19:                               ;   in Loop: Header=BB73_7 Depth=2
	ds_write_b64 v51, v[66:67] offset:128
; %bb.20:                               ;   in Loop: Header=BB73_7 Depth=2
	s_andn2_saveexec_b64 s[12:13], s[12:13]
; %bb.21:                               ;   in Loop: Header=BB73_7 Depth=2
	ds_write_b64 v51, v[40:41] offset:128
; %bb.22:                               ;   in Loop: Header=BB73_7 Depth=2
	s_or_b64 exec, exec, s[12:13]
.LBB73_23:                              ;   in Loop: Header=BB73_7 Depth=2
	s_or_b64 exec, exec, s[4:5]
	v_lshl_add_u64 v[2:3], v[0:1], 0, 16
	v_cmp_eq_u64_e64 s[4:5], s[42:43], v[28:29]
	v_cmp_le_i64_e64 s[12:13], s[34:35], v[2:3]
	s_and_b64 s[50:51], s[30:31], s[4:5]
	v_cmp_gt_i64_e64 s[4:5], v[2:3], v[16:17]
	s_or_b64 s[4:5], s[12:13], s[4:5]
	s_or_b64 s[4:5], s[4:5], s[50:51]
	v_lshl_add_u64 v[0:1], v[48:49], 0, v[30:31]
	s_nor_b64 s[4:5], s[0:1], s[4:5]
	s_and_saveexec_b64 s[60:61], s[4:5]
	s_xor_b64 s[4:5], exec, s[60:61]
	s_cbranch_execz .LBB73_25
; %bb.24:                               ;   in Loop: Header=BB73_7 Depth=2
	global_load_dwordx2 v[2:3], v[0:1], off
	s_waitcnt vmcnt(0)
	ds_write_b64 v51, v[2:3] offset:4096
.LBB73_25:                              ;   in Loop: Header=BB73_7 Depth=2
	s_andn2_saveexec_b64 s[4:5], s[4:5]
	s_cbranch_execz .LBB73_31
; %bb.26:                               ;   in Loop: Header=BB73_7 Depth=2
	s_xor_b64 s[50:51], s[50:51], -1
	s_and_saveexec_b64 s[60:61], s[50:51]
	s_xor_b64 s[50:51], exec, s[60:61]
; %bb.27:                               ;   in Loop: Header=BB73_7 Depth=2
	ds_write_b64 v51, v[66:67] offset:4096
; %bb.28:                               ;   in Loop: Header=BB73_7 Depth=2
	s_andn2_saveexec_b64 s[50:51], s[50:51]
; %bb.29:                               ;   in Loop: Header=BB73_7 Depth=2
	ds_write_b64 v51, v[40:41] offset:4096
; %bb.30:                               ;   in Loop: Header=BB73_7 Depth=2
	s_or_b64 exec, exec, s[50:51]
.LBB73_31:                              ;   in Loop: Header=BB73_7 Depth=2
	s_or_b64 exec, exec, s[4:5]
	s_or_b64 s[4:5], s[12:13], s[10:11]
	s_or_b64 s[4:5], s[4:5], s[46:47]
	s_nor_b64 s[4:5], s[14:15], s[4:5]
	s_and_saveexec_b64 s[10:11], s[4:5]
	s_xor_b64 s[4:5], exec, s[10:11]
	s_cbranch_execz .LBB73_33
; %bb.32:                               ;   in Loop: Header=BB73_7 Depth=2
	global_load_dwordx2 v[0:1], v[0:1], off offset:128
	s_waitcnt vmcnt(0)
	ds_write_b64 v51, v[0:1] offset:4224
.LBB73_33:                              ;   in Loop: Header=BB73_7 Depth=2
	s_andn2_saveexec_b64 s[4:5], s[4:5]
	s_cbranch_execz .LBB73_39
; %bb.34:                               ;   in Loop: Header=BB73_7 Depth=2
	s_and_saveexec_b64 s[10:11], s[44:45]
	s_xor_b64 s[10:11], exec, s[10:11]
; %bb.35:                               ;   in Loop: Header=BB73_7 Depth=2
	ds_write_b64 v51, v[66:67] offset:4224
; %bb.36:                               ;   in Loop: Header=BB73_7 Depth=2
	s_andn2_saveexec_b64 s[10:11], s[10:11]
; %bb.37:                               ;   in Loop: Header=BB73_7 Depth=2
	ds_write_b64 v51, v[40:41] offset:4224
; %bb.38:                               ;   in Loop: Header=BB73_7 Depth=2
	s_or_b64 exec, exec, s[10:11]
.LBB73_39:                              ;   in Loop: Header=BB73_7 Depth=2
	s_or_b64 exec, exec, s[4:5]
	v_lshl_add_u64 v[2:3], v[14:15], 0, s[42:43]
	v_cmp_gt_i64_e64 s[10:11], s[34:35], v[2:3]
	v_lshl_add_u64 v[0:1], v[44:45], 0, v[18:19]
	s_and_b64 s[12:13], vcc, s[10:11]
	v_mov_b32_e32 v4, 0
	v_mov_b32_e32 v5, 0
	s_and_saveexec_b64 s[4:5], s[12:13]
	s_cbranch_execz .LBB73_41
; %bb.40:                               ;   in Loop: Header=BB73_7 Depth=2
	global_load_dwordx2 v[4:5], v[0:1], off
.LBB73_41:                              ;   in Loop: Header=BB73_7 Depth=2
	s_or_b64 exec, exec, s[4:5]
	v_cmp_gt_i64_e64 s[12:13], s[54:55], v[2:3]
	s_and_b64 s[4:5], vcc, s[12:13]
	s_xor_b64 s[4:5], s[4:5], -1
	s_waitcnt vmcnt(0)
	ds_write_b64 v55, v[4:5]
	s_and_saveexec_b64 s[44:45], s[4:5]
	s_xor_b64 s[4:5], exec, s[44:45]
; %bb.42:                               ;   in Loop: Header=BB73_7 Depth=2
	ds_write_b64 v55, v[66:67] offset:128
                                        ; implicit-def: $vgpr0_vgpr1
; %bb.43:                               ;   in Loop: Header=BB73_7 Depth=2
	s_andn2_saveexec_b64 s[4:5], s[4:5]
	s_cbranch_execz .LBB73_45
; %bb.44:                               ;   in Loop: Header=BB73_7 Depth=2
	global_load_dwordx2 v[0:1], v[0:1], off offset:128
	s_waitcnt vmcnt(0)
	ds_write_b64 v55, v[0:1] offset:128
.LBB73_45:                              ;   in Loop: Header=BB73_7 Depth=2
	s_or_b64 exec, exec, s[4:5]
	v_lshl_add_u64 v[0:1], v[46:47], 0, v[18:19]
	s_and_b64 s[10:11], s[8:9], s[10:11]
	v_mov_b32_e32 v2, 0
	v_mov_b32_e32 v3, 0
	s_and_saveexec_b64 s[4:5], s[10:11]
	s_cbranch_execz .LBB73_47
; %bb.46:                               ;   in Loop: Header=BB73_7 Depth=2
	global_load_dwordx2 v[2:3], v[0:1], off
.LBB73_47:                              ;   in Loop: Header=BB73_7 Depth=2
	s_or_b64 exec, exec, s[4:5]
	s_and_b64 s[4:5], s[8:9], s[12:13]
	s_xor_b64 s[4:5], s[4:5], -1
	s_waitcnt vmcnt(0)
	ds_write_b64 v55, v[2:3] offset:4096
	s_and_saveexec_b64 s[10:11], s[4:5]
	s_xor_b64 s[4:5], exec, s[10:11]
; %bb.48:                               ;   in Loop: Header=BB73_7 Depth=2
	ds_write_b64 v55, v[66:67] offset:4224
                                        ; implicit-def: $vgpr0_vgpr1
; %bb.49:                               ;   in Loop: Header=BB73_7 Depth=2
	s_andn2_saveexec_b64 s[4:5], s[4:5]
	s_cbranch_execz .LBB73_6
; %bb.50:                               ;   in Loop: Header=BB73_7 Depth=2
	global_load_dwordx2 v[0:1], v[0:1], off offset:128
	s_waitcnt vmcnt(0)
	ds_write_b64 v55, v[0:1] offset:4224
	s_branch .LBB73_6
.LBB73_51:                              ;   in Loop: Header=BB73_4 Depth=1
	v_mul_lo_u32 v2, s21, v42
	v_mul_lo_u32 v3, s20, v43
	v_mad_u64_u32 v[0:1], s[4:5], s20, v42, 0
	v_cmp_gt_i32_e32 vcc, s26, v42
	v_add3_u32 v1, v1, v3, v2
	v_lshl_add_u64 v[0:1], v[0:1], 3, s[18:19]
	s_and_b64 s[8:9], s[16:17], vcc
	s_and_saveexec_b64 s[4:5], s[8:9]
	s_cbranch_execz .LBB73_53
; %bb.52:                               ;   in Loop: Header=BB73_4 Depth=1
	v_lshl_add_u64 v[2:3], v[16:17], 3, v[0:1]
	global_load_dwordx2 v[4:5], v[2:3], off
	v_pk_mul_f32 v[6:7], v[64:65], s[24:25] op_sel_hi:[0,1]
	v_pk_fma_f32 v[8:9], v[62:63], s[28:29], v[6:7] neg_lo:[0,0,1] neg_hi:[0,0,1]
	v_pk_fma_f32 v[6:7], v[62:63], s[28:29], v[6:7] op_sel_hi:[0,1,1]
	v_mov_b32_e32 v9, v7
	s_waitcnt vmcnt(0)
	v_pk_add_f32 v[4:5], v[4:5], v[8:9]
	global_store_dwordx2 v[2:3], v[4:5], off
.LBB73_53:                              ;   in Loop: Header=BB73_4 Depth=1
	s_or_b64 exec, exec, s[4:5]
	s_and_b64 s[8:9], s[6:7], vcc
	s_and_saveexec_b64 s[4:5], s[8:9]
	s_cbranch_execz .LBB73_55
; %bb.54:                               ;   in Loop: Header=BB73_4 Depth=1
	v_lshl_add_u64 v[0:1], v[22:23], 3, v[0:1]
	global_load_dwordx2 v[2:3], v[0:1], off
	v_pk_mul_f32 v[4:5], v[60:61], s[24:25] op_sel_hi:[0,1]
	v_pk_fma_f32 v[6:7], v[58:59], s[28:29], v[4:5] neg_lo:[0,0,1] neg_hi:[0,0,1]
	v_pk_fma_f32 v[4:5], v[58:59], s[28:29], v[4:5] op_sel_hi:[0,1,1]
	v_mov_b32_e32 v7, v5
	s_waitcnt vmcnt(0)
	v_pk_add_f32 v[2:3], v[2:3], v[6:7]
	global_store_dwordx2 v[0:1], v[2:3], off
.LBB73_55:                              ;   in Loop: Header=BB73_4 Depth=1
	s_or_b64 exec, exec, s[4:5]
	v_add_u32_e32 v0, 16, v42
	v_ashrrev_i32_e32 v1, 31, v0
	v_cmp_gt_i32_e32 vcc, s26, v0
	v_mul_lo_u32 v2, s20, v1
	v_mul_lo_u32 v3, s21, v0
	v_mad_u64_u32 v[0:1], s[4:5], s20, v0, 0
	v_add3_u32 v1, v1, v2, v3
	v_lshl_add_u64 v[0:1], v[0:1], 3, s[18:19]
	s_and_b64 s[8:9], s[16:17], vcc
	s_and_saveexec_b64 s[4:5], s[8:9]
	s_cbranch_execz .LBB73_57
; %bb.56:                               ;   in Loop: Header=BB73_4 Depth=1
	v_lshl_add_u64 v[2:3], v[16:17], 3, v[0:1]
	global_load_dwordx2 v[4:5], v[2:3], off
	v_pk_mul_f32 v[6:7], v[56:57], s[24:25] op_sel_hi:[0,1]
	v_pk_fma_f32 v[8:9], v[54:55], s[28:29], v[6:7] neg_lo:[0,0,1] neg_hi:[0,0,1]
	v_pk_fma_f32 v[6:7], v[54:55], s[28:29], v[6:7] op_sel_hi:[0,1,1]
	v_mov_b32_e32 v9, v7
	s_waitcnt vmcnt(0)
	v_pk_add_f32 v[4:5], v[4:5], v[8:9]
	global_store_dwordx2 v[2:3], v[4:5], off
.LBB73_57:                              ;   in Loop: Header=BB73_4 Depth=1
	s_or_b64 exec, exec, s[4:5]
	s_and_b64 s[8:9], s[6:7], vcc
	s_and_saveexec_b64 s[4:5], s[8:9]
	s_cbranch_execz .LBB73_3
; %bb.58:                               ;   in Loop: Header=BB73_4 Depth=1
	v_lshl_add_u64 v[0:1], v[22:23], 3, v[0:1]
	global_load_dwordx2 v[2:3], v[0:1], off
	v_pk_mul_f32 v[4:5], v[50:51], s[24:25] op_sel_hi:[0,1]
	v_pk_fma_f32 v[6:7], v[52:53], s[28:29], v[4:5] neg_lo:[0,0,1] neg_hi:[0,0,1]
	v_pk_fma_f32 v[4:5], v[52:53], s[28:29], v[4:5] op_sel_hi:[0,1,1]
	v_mov_b32_e32 v7, v5
	s_waitcnt vmcnt(0)
	v_pk_add_f32 v[2:3], v[2:3], v[6:7]
	global_store_dwordx2 v[0:1], v[2:3], off
	s_branch .LBB73_3
.LBB73_59:
	s_endpgm
	.section	.rodata,"a",@progbits
	.p2align	6, 0x0
	.amdhsa_kernel _ZL30rocblas_trmm_outofplace_kernelI19rocblas_complex_numIfELi32ELi2ELb1ELb0ELb0ELb0ES1_KS1_S1_Ev17rocblas_diagonal_iiT6_lPT7_lllS6_lllPT8_llli
		.amdhsa_group_segment_fixed_size 16384
		.amdhsa_private_segment_fixed_size 0
		.amdhsa_kernarg_size 392
		.amdhsa_user_sgpr_count 2
		.amdhsa_user_sgpr_dispatch_ptr 0
		.amdhsa_user_sgpr_queue_ptr 0
		.amdhsa_user_sgpr_kernarg_segment_ptr 1
		.amdhsa_user_sgpr_dispatch_id 0
		.amdhsa_user_sgpr_kernarg_preload_length 0
		.amdhsa_user_sgpr_kernarg_preload_offset 0
		.amdhsa_user_sgpr_private_segment_size 0
		.amdhsa_uses_dynamic_stack 0
		.amdhsa_enable_private_segment 0
		.amdhsa_system_sgpr_workgroup_id_x 1
		.amdhsa_system_sgpr_workgroup_id_y 1
		.amdhsa_system_sgpr_workgroup_id_z 1
		.amdhsa_system_sgpr_workgroup_info 0
		.amdhsa_system_vgpr_workitem_id 1
		.amdhsa_next_free_vgpr 85
		.amdhsa_next_free_sgpr 62
		.amdhsa_accum_offset 88
		.amdhsa_reserve_vcc 1
		.amdhsa_float_round_mode_32 0
		.amdhsa_float_round_mode_16_64 0
		.amdhsa_float_denorm_mode_32 3
		.amdhsa_float_denorm_mode_16_64 3
		.amdhsa_dx10_clamp 1
		.amdhsa_ieee_mode 1
		.amdhsa_fp16_overflow 0
		.amdhsa_tg_split 0
		.amdhsa_exception_fp_ieee_invalid_op 0
		.amdhsa_exception_fp_denorm_src 0
		.amdhsa_exception_fp_ieee_div_zero 0
		.amdhsa_exception_fp_ieee_overflow 0
		.amdhsa_exception_fp_ieee_underflow 0
		.amdhsa_exception_fp_ieee_inexact 0
		.amdhsa_exception_int_div_zero 0
	.end_amdhsa_kernel
	.section	.text._ZL30rocblas_trmm_outofplace_kernelI19rocblas_complex_numIfELi32ELi2ELb1ELb0ELb0ELb0ES1_KS1_S1_Ev17rocblas_diagonal_iiT6_lPT7_lllS6_lllPT8_llli,"axG",@progbits,_ZL30rocblas_trmm_outofplace_kernelI19rocblas_complex_numIfELi32ELi2ELb1ELb0ELb0ELb0ES1_KS1_S1_Ev17rocblas_diagonal_iiT6_lPT7_lllS6_lllPT8_llli,comdat
.Lfunc_end73:
	.size	_ZL30rocblas_trmm_outofplace_kernelI19rocblas_complex_numIfELi32ELi2ELb1ELb0ELb0ELb0ES1_KS1_S1_Ev17rocblas_diagonal_iiT6_lPT7_lllS6_lllPT8_llli, .Lfunc_end73-_ZL30rocblas_trmm_outofplace_kernelI19rocblas_complex_numIfELi32ELi2ELb1ELb0ELb0ELb0ES1_KS1_S1_Ev17rocblas_diagonal_iiT6_lPT7_lllS6_lllPT8_llli
                                        ; -- End function
	.set _ZL30rocblas_trmm_outofplace_kernelI19rocblas_complex_numIfELi32ELi2ELb1ELb0ELb0ELb0ES1_KS1_S1_Ev17rocblas_diagonal_iiT6_lPT7_lllS6_lllPT8_llli.num_vgpr, 85
	.set _ZL30rocblas_trmm_outofplace_kernelI19rocblas_complex_numIfELi32ELi2ELb1ELb0ELb0ELb0ES1_KS1_S1_Ev17rocblas_diagonal_iiT6_lPT7_lllS6_lllPT8_llli.num_agpr, 0
	.set _ZL30rocblas_trmm_outofplace_kernelI19rocblas_complex_numIfELi32ELi2ELb1ELb0ELb0ELb0ES1_KS1_S1_Ev17rocblas_diagonal_iiT6_lPT7_lllS6_lllPT8_llli.numbered_sgpr, 62
	.set _ZL30rocblas_trmm_outofplace_kernelI19rocblas_complex_numIfELi32ELi2ELb1ELb0ELb0ELb0ES1_KS1_S1_Ev17rocblas_diagonal_iiT6_lPT7_lllS6_lllPT8_llli.num_named_barrier, 0
	.set _ZL30rocblas_trmm_outofplace_kernelI19rocblas_complex_numIfELi32ELi2ELb1ELb0ELb0ELb0ES1_KS1_S1_Ev17rocblas_diagonal_iiT6_lPT7_lllS6_lllPT8_llli.private_seg_size, 0
	.set _ZL30rocblas_trmm_outofplace_kernelI19rocblas_complex_numIfELi32ELi2ELb1ELb0ELb0ELb0ES1_KS1_S1_Ev17rocblas_diagonal_iiT6_lPT7_lllS6_lllPT8_llli.uses_vcc, 1
	.set _ZL30rocblas_trmm_outofplace_kernelI19rocblas_complex_numIfELi32ELi2ELb1ELb0ELb0ELb0ES1_KS1_S1_Ev17rocblas_diagonal_iiT6_lPT7_lllS6_lllPT8_llli.uses_flat_scratch, 0
	.set _ZL30rocblas_trmm_outofplace_kernelI19rocblas_complex_numIfELi32ELi2ELb1ELb0ELb0ELb0ES1_KS1_S1_Ev17rocblas_diagonal_iiT6_lPT7_lllS6_lllPT8_llli.has_dyn_sized_stack, 0
	.set _ZL30rocblas_trmm_outofplace_kernelI19rocblas_complex_numIfELi32ELi2ELb1ELb0ELb0ELb0ES1_KS1_S1_Ev17rocblas_diagonal_iiT6_lPT7_lllS6_lllPT8_llli.has_recursion, 0
	.set _ZL30rocblas_trmm_outofplace_kernelI19rocblas_complex_numIfELi32ELi2ELb1ELb0ELb0ELb0ES1_KS1_S1_Ev17rocblas_diagonal_iiT6_lPT7_lllS6_lllPT8_llli.has_indirect_call, 0
	.section	.AMDGPU.csdata,"",@progbits
; Kernel info:
; codeLenInByte = 6256
; TotalNumSgprs: 68
; NumVgprs: 85
; NumAgprs: 0
; TotalNumVgprs: 85
; ScratchSize: 0
; MemoryBound: 1
; FloatMode: 240
; IeeeMode: 1
; LDSByteSize: 16384 bytes/workgroup (compile time only)
; SGPRBlocks: 8
; VGPRBlocks: 10
; NumSGPRsForWavesPerEU: 68
; NumVGPRsForWavesPerEU: 85
; AccumOffset: 88
; Occupancy: 5
; WaveLimiterHint : 0
; COMPUTE_PGM_RSRC2:SCRATCH_EN: 0
; COMPUTE_PGM_RSRC2:USER_SGPR: 2
; COMPUTE_PGM_RSRC2:TRAP_HANDLER: 0
; COMPUTE_PGM_RSRC2:TGID_X_EN: 1
; COMPUTE_PGM_RSRC2:TGID_Y_EN: 1
; COMPUTE_PGM_RSRC2:TGID_Z_EN: 1
; COMPUTE_PGM_RSRC2:TIDIG_COMP_CNT: 1
; COMPUTE_PGM_RSRC3_GFX90A:ACCUM_OFFSET: 21
; COMPUTE_PGM_RSRC3_GFX90A:TG_SPLIT: 0
	.section	.text._ZL30rocblas_trmm_outofplace_kernelI19rocblas_complex_numIfELi32ELi2ELb1ELb1ELb0ELb0EPKS1_S2_S1_Ev17rocblas_diagonal_iiT6_lPT7_lllS7_lllPT8_llli,"axG",@progbits,_ZL30rocblas_trmm_outofplace_kernelI19rocblas_complex_numIfELi32ELi2ELb1ELb1ELb0ELb0EPKS1_S2_S1_Ev17rocblas_diagonal_iiT6_lPT7_lllS7_lllPT8_llli,comdat
	.globl	_ZL30rocblas_trmm_outofplace_kernelI19rocblas_complex_numIfELi32ELi2ELb1ELb1ELb0ELb0EPKS1_S2_S1_Ev17rocblas_diagonal_iiT6_lPT7_lllS7_lllPT8_llli ; -- Begin function _ZL30rocblas_trmm_outofplace_kernelI19rocblas_complex_numIfELi32ELi2ELb1ELb1ELb0ELb0EPKS1_S2_S1_Ev17rocblas_diagonal_iiT6_lPT7_lllS7_lllPT8_llli
	.p2align	8
	.type	_ZL30rocblas_trmm_outofplace_kernelI19rocblas_complex_numIfELi32ELi2ELb1ELb1ELb0ELb0EPKS1_S2_S1_Ev17rocblas_diagonal_iiT6_lPT7_lllS7_lllPT8_llli,@function
_ZL30rocblas_trmm_outofplace_kernelI19rocblas_complex_numIfELi32ELi2ELb1ELb1ELb0ELb0EPKS1_S2_S1_Ev17rocblas_diagonal_iiT6_lPT7_lllS7_lllPT8_llli: ; @_ZL30rocblas_trmm_outofplace_kernelI19rocblas_complex_numIfELi32ELi2ELb1ELb1ELb0ELb0EPKS1_S2_S1_Ev17rocblas_diagonal_iiT6_lPT7_lllS7_lllPT8_llli
; %bb.0:
	s_load_dwordx16 s[16:31], s[0:1], 0x10
	s_waitcnt lgkmcnt(0)
	s_mul_i32 s5, s19, s4
	s_mul_hi_u32 s6, s18, s4
	s_add_i32 s7, s6, s5
	s_mul_i32 s6, s18, s4
	s_lshl_b64 s[6:7], s[6:7], 3
	s_add_u32 s6, s16, s6
	s_addc_u32 s7, s17, s7
	s_load_dwordx2 s[18:19], s[6:7], 0x0
	s_waitcnt lgkmcnt(0)
	s_or_b32 s5, s18, s19
	s_bitset0_b32 s5, 31
	s_cmp_eq_u32 s5, 0
	s_cbranch_scc1 .LBB74_60
; %bb.1:
	s_load_dwordx4 s[44:47], s[0:1], 0x0
	s_waitcnt lgkmcnt(0)
	s_add_i32 s5, s46, -1
	s_ashr_i32 s6, s5, 31
	s_lshr_b32 s6, s6, 27
	s_add_i32 s5, s5, s6
	s_ashr_i32 s33, s5, 5
	s_cmp_gt_i32 s3, s33
	s_cbranch_scc1 .LBB74_60
; %bb.2:
	s_load_dwordx8 s[36:43], s[0:1], 0x50
	s_load_dwordx4 s[48:51], s[0:1], 0x70
	s_mul_i32 s5, s27, s4
	s_mul_hi_u32 s6, s26, s4
	s_add_i32 s7, s6, s5
	s_mul_i32 s6, s26, s4
	s_lshl_b64 s[8:9], s[6:7], 3
	s_add_u32 s5, s20, s8
	s_addc_u32 s7, s21, s9
	s_lshl_b64 s[10:11], s[22:23], 3
	s_add_u32 s6, s5, s10
	s_load_dword s47, s[0:1], 0x8c
	s_waitcnt lgkmcnt(0)
	s_mul_i32 s0, s51, s4
	s_mul_hi_u32 s1, s50, s4
	s_addc_u32 s7, s7, s11
	s_add_i32 s1, s1, s0
	s_mul_i32 s0, s50, s4
	s_lshl_b64 s[0:1], s[0:1], 3
	s_add_u32 s5, s40, s0
	s_addc_u32 s12, s41, s1
	s_lshl_b64 s[0:1], s[42:43], 3
	s_add_u32 s22, s5, s0
	v_bfe_u32 v51, v0, 10, 10
	s_addc_u32 s23, s12, s1
	s_lshl_b32 s2, s2, 5
	v_and_b32_e32 v2, 0x3ff, v0
	v_add_u32_e32 v12, s2, v51
	v_add_u32_e32 v14, s2, v2
	s_sub_i32 s2, s45, s2
	s_cmp_gt_i32 s2, 0
	s_cselect_b64 s[26:27], -1, 0
	s_cmpk_eq_i32 s44, 0x84
	s_cselect_b64 s[34:35], -1, 0
	s_ashr_i32 s41, s45, 31
	s_ashr_i32 s56, s46, 31
	s_lshl_b64 s[42:43], s[24:25], 8
	s_add_u32 s50, s45, -16
	s_addc_u32 s51, s41, -1
	v_ashrrev_i32_e32 v13, 31, v12
	s_add_u32 s5, s20, s10
	v_mul_lo_u32 v3, s24, v13
	v_mul_lo_u32 v4, s25, v12
	v_mad_u64_u32 v[0:1], s[0:1], s24, v12, 0
	s_addc_u32 s10, s21, s11
	v_add3_u32 v1, v1, v3, v4
	s_add_u32 s8, s5, s8
	v_lshl_add_u64 v[16:17], v[0:1], 3, s[6:7]
	v_lshlrev_b32_e32 v0, 8, v51
	v_lshlrev_b32_e32 v53, 3, v2
	v_mov_b64_e32 v[30:31], 0x80
	s_addc_u32 s9, s10, s9
	v_add_u32_e32 v55, v53, v0
	v_add_u32_e32 v57, 0x2000, v0
	v_lshl_add_u64 v[0:1], v[12:13], 3, v[30:31]
	v_mov_b64_e32 v[2:3], s[8:9]
	v_mad_u64_u32 v[32:33], s[8:9], s24, v0, v[2:3]
	s_mul_i32 s5, s39, s4
	s_mul_hi_u32 s8, s38, s4
	s_add_i32 s5, s8, s5
	s_mul_i32 s4, s38, s4
	s_lshl_b64 s[4:5], s[4:5], 3
	s_lshl_b64 s[8:9], s[30:31], 3
	s_add_u32 s4, s4, s8
	v_ashrrev_i32_e32 v15, 31, v14
	v_sub_co_u32_e32 v22, vcc, v14, v12
	s_addc_u32 s5, s5, s9
	s_mov_b32 s40, s45
	v_lshl_add_u64 v[18:19], v[14:15], 0, 16
	v_add_u32_e32 v20, 16, v14
	v_subb_co_u32_e32 v23, vcc, v15, v13, vcc
	v_mul_lo_u32 v1, s24, v1
	v_mul_lo_u32 v0, s25, v0
	s_add_u32 s20, s28, s4
	v_mov_b32_e32 v36, 0
	v_add_u32_e32 v59, v57, v53
	v_cmp_le_i32_e64 s[0:1], s45, v14
	v_cmp_le_i64_e64 s[14:15], s[40:41], v[18:19]
	v_cmp_gt_i32_e64 s[16:17], s45, v14
	v_cmp_gt_i32_e64 s[6:7], s45, v20
	v_ashrrev_i32_e32 v21, 31, v20
	s_mov_b32 s44, s19
	s_mov_b32 s45, s18
	v_lshl_add_u64 v[24:25], v[22:23], 0, 16
	v_lshl_add_u64 v[26:27], v[22:23], 0, -16
	v_lshlrev_b64 v[28:29], 3, v[14:15]
	v_add3_u32 v33, v0, v33, v1
	s_addc_u32 s21, s29, s5
	s_lshl_b64 s[24:25], s[36:37], 3
	v_lshl_add_u32 v34, s3, 5, v51
	s_lshl_b32 s57, s47, 5
	s_mov_b64 s[28:29], 0x100
	v_mov_b32_e32 v37, v36
	v_mov_b32_e32 v38, 1.0
	v_mov_b32_e32 v39, v36
	v_add_u32_e32 v61, 0x800, v53
	v_add_u32_e32 v63, 0x1000, v53
	;; [unrolled: 1-line block ×3, first 2 shown]
	s_branch .LBB74_4
.LBB74_3:                               ;   in Loop: Header=BB74_4 Depth=1
	s_or_b64 exec, exec, s[4:5]
	s_add_i32 s3, s47, s3
	s_cmp_le_i32 s3, s33
	v_add_u32_e32 v34, s57, v34
	s_cbranch_scc0 .LBB74_60
.LBB74_4:                               ; =>This Loop Header: Depth=1
                                        ;     Child Loop BB74_7 Depth 2
	v_lshl_add_u32 v40, s3, 5, v51
	s_andn2_b64 vcc, exec, s[26:27]
	v_ashrrev_i32_e32 v41, 31, v40
	s_cbranch_vccnz .LBB74_51
; %bb.5:                                ;   in Loop: Header=BB74_4 Depth=1
	v_ashrrev_i32_e32 v35, 31, v34
	v_mov_b64_e32 v[0:1], s[20:21]
	v_mad_u64_u32 v[42:43], s[4:5], s24, v34, v[0:1]
	v_mul_lo_u32 v2, s25, v34
	v_mul_lo_u32 v3, s24, v35
	v_add3_u32 v43, v2, v43, v3
	v_lshl_add_u64 v[2:3], v[34:35], 3, v[30:31]
	v_mad_u64_u32 v[44:45], s[4:5], s36, v2, v[0:1]
	v_mov_b32_e32 v1, s56
	v_sub_co_u32_e32 v0, vcc, s46, v40
	v_mul_lo_u32 v3, s36, v3
	v_mul_lo_u32 v4, s37, v2
	v_subb_co_u32_e32 v1, vcc, v1, v41, vcc
	v_add3_u32 v45, v4, v45, v3
	s_mov_b64 s[30:31], 0
	v_cmp_lt_i64_e32 vcc, 0, v[0:1]
	v_cmp_lt_i64_e64 s[8:9], 16, v[0:1]
	v_mov_b32_e32 v50, 0
	v_mov_b64_e32 v[46:47], v[16:17]
	v_mov_b64_e32 v[48:49], v[32:33]
	v_mov_b32_e32 v52, 0
	v_mov_b32_e32 v56, 0
	v_mov_b32_e32 v54, 0
	v_mov_b32_e32 v60, 0
	v_mov_b32_e32 v58, 0
	v_mov_b32_e32 v64, 0
	v_mov_b32_e32 v62, 0
	s_branch .LBB74_7
.LBB74_6:                               ;   in Loop: Header=BB74_7 Depth=2
	s_or_b64 exec, exec, s[4:5]
	s_waitcnt lgkmcnt(0)
	s_barrier
	ds_read2_b64 v[66:69], v53 offset1:16
	ds_read_b128 v[70:73], v57
	ds_read_b128 v[8:11], v57 offset:16
	ds_read_b128 v[4:7], v57 offset:32
	;; [unrolled: 1-line block ×3, first 2 shown]
	ds_read2_b64 v[82:85], v53 offset0:32 offset1:48
	s_waitcnt lgkmcnt(4)
	v_mul_f32_e32 v35, v71, v67
	v_mul_f32_e32 v74, v70, v67
	v_fma_f32 v35, v70, v66, -v35
	v_fmac_f32_e32 v74, v71, v66
	v_add_f32_e32 v35, v62, v35
	v_add_f32_e32 v62, v64, v74
	ds_read_b128 v[74:77], v57 offset:4096
	ds_read_b128 v[78:81], v57 offset:4112
	v_mul_f32_e32 v64, v71, v69
	v_fma_f32 v64, v70, v68, -v64
	v_add_f32_e32 v58, v58, v64
	s_waitcnt lgkmcnt(1)
	v_mul_f32_e32 v64, v75, v67
	v_mul_f32_e32 v67, v74, v67
	v_fma_f32 v64, v74, v66, -v64
	v_fmac_f32_e32 v67, v75, v66
	v_mul_f32_e32 v66, v74, v69
	v_fmac_f32_e32 v66, v75, v68
	v_add_f32_e32 v50, v50, v66
	v_mul_f32_e32 v66, v72, v83
	v_mul_f32_e32 v70, v70, v69
	v_add_f32_e32 v54, v54, v64
	v_mul_f32_e32 v64, v75, v69
	v_fmac_f32_e32 v66, v73, v82
	v_fmac_f32_e32 v70, v71, v68
	v_fma_f32 v64, v74, v68, -v64
	v_add_f32_e32 v62, v62, v66
	v_mul_f32_e32 v66, v72, v85
	v_add_f32_e32 v60, v60, v70
	v_add_f32_e32 v52, v52, v64
	v_mul_f32_e32 v64, v73, v83
	v_fmac_f32_e32 v66, v73, v84
	v_fma_f32 v64, v72, v82, -v64
	v_add_f32_e32 v60, v60, v66
	v_mul_f32_e32 v66, v76, v83
	v_add_f32_e32 v56, v56, v67
	v_add_f32_e32 v35, v35, v64
	v_mul_f32_e32 v64, v73, v85
	v_fmac_f32_e32 v66, v77, v82
	v_fma_f32 v64, v72, v84, -v64
	v_add_f32_e32 v56, v56, v66
	ds_read2_b64 v[66:69], v53 offset0:64 offset1:80
	v_add_f32_e32 v58, v58, v64
	v_mul_f32_e32 v64, v77, v83
	v_fma_f32 v64, v76, v82, -v64
	v_add_f32_e32 v54, v54, v64
	v_mul_f32_e32 v64, v77, v85
	v_fma_f32 v64, v76, v84, -v64
	v_mul_f32_e32 v70, v76, v85
	v_add_f32_e32 v52, v52, v64
	s_waitcnt lgkmcnt(0)
	v_mul_f32_e32 v64, v9, v67
	v_fmac_f32_e32 v70, v77, v84
	v_fma_f32 v64, v8, v66, -v64
	v_add_f32_e32 v50, v50, v70
	v_mul_f32_e32 v70, v8, v67
	v_add_f32_e32 v35, v35, v64
	v_mul_f32_e32 v64, v9, v69
	v_fmac_f32_e32 v70, v9, v66
	v_fma_f32 v64, v8, v68, -v64
	v_mul_f32_e32 v8, v8, v69
	v_add_f32_e32 v62, v62, v70
	v_fmac_f32_e32 v8, v9, v68
	ds_read2_b64 v[70:73], v53 offset0:96 offset1:112
	v_add_f32_e32 v9, v58, v64
	v_add_f32_e32 v8, v60, v8
	v_mul_f32_e32 v58, v79, v67
	v_mul_f32_e32 v60, v78, v67
	v_fma_f32 v58, v78, v66, -v58
	v_fmac_f32_e32 v60, v79, v66
	v_add_f32_e32 v54, v54, v58
	v_add_f32_e32 v56, v56, v60
	v_mul_f32_e32 v58, v79, v69
	v_mul_f32_e32 v60, v78, v69
	v_fma_f32 v58, v78, v68, -v58
	v_fmac_f32_e32 v60, v79, v68
	v_add_f32_e32 v52, v52, v58
	v_add_f32_e32 v50, v50, v60
	s_waitcnt lgkmcnt(0)
	v_mul_f32_e32 v58, v11, v71
	v_mul_f32_e32 v60, v10, v71
	v_fma_f32 v58, v10, v70, -v58
	v_fmac_f32_e32 v60, v11, v70
	v_add_f32_e32 v35, v35, v58
	v_add_f32_e32 v58, v62, v60
	v_mul_f32_e32 v60, v11, v73
	v_fma_f32 v60, v10, v72, -v60
	v_mul_f32_e32 v10, v10, v73
	v_fmac_f32_e32 v10, v11, v72
	v_add_f32_e32 v62, v8, v10
	v_mul_f32_e32 v8, v81, v71
	v_add_f32_e32 v60, v9, v60
	v_fma_f32 v8, v80, v70, -v8
	v_mul_f32_e32 v9, v80, v71
	v_fmac_f32_e32 v9, v81, v70
	v_add_f32_e32 v54, v54, v8
	v_mul_f32_e32 v8, v81, v73
	v_add_f32_e32 v56, v56, v9
	v_fma_f32 v64, v80, v72, -v8
	ds_read2_b64 v[8:11], v53 offset0:128 offset1:144
	v_mul_f32_e32 v66, v80, v73
	v_fmac_f32_e32 v66, v81, v72
	v_add_f32_e32 v50, v50, v66
	v_add_f32_e32 v52, v52, v64
	s_waitcnt lgkmcnt(0)
	v_mul_f32_e32 v66, v4, v9
	v_fmac_f32_e32 v66, v5, v8
	v_add_f32_e32 v58, v58, v66
	ds_read_b128 v[66:69], v57 offset:4128
	ds_read_b128 v[70:73], v57 offset:4144
	v_mul_f32_e32 v64, v5, v9
	v_fma_f32 v64, v4, v8, -v64
	v_add_f32_e32 v35, v35, v64
	v_mul_f32_e32 v64, v5, v11
	v_fma_f32 v64, v4, v10, -v64
	v_mul_f32_e32 v4, v4, v11
	ds_read2_b64 v[74:77], v53 offset0:160 offset1:176
	v_fmac_f32_e32 v4, v5, v10
	v_add_f32_e32 v5, v60, v64
	s_waitcnt lgkmcnt(2)
	v_mul_f32_e32 v60, v67, v9
	v_fma_f32 v60, v66, v8, -v60
	v_mul_f32_e32 v9, v66, v9
	v_fmac_f32_e32 v9, v67, v8
	v_add_f32_e32 v8, v54, v60
	v_mul_f32_e32 v54, v67, v11
	v_mul_f32_e32 v11, v66, v11
	v_fma_f32 v54, v66, v10, -v54
	v_fmac_f32_e32 v11, v67, v10
	v_add_f32_e32 v10, v52, v54
	v_add_f32_e32 v11, v50, v11
	s_waitcnt lgkmcnt(0)
	v_mul_f32_e32 v50, v7, v75
	v_mul_f32_e32 v52, v6, v75
	v_fma_f32 v50, v6, v74, -v50
	v_fmac_f32_e32 v52, v7, v74
	v_add_f32_e32 v35, v35, v50
	v_add_f32_e32 v50, v58, v52
	v_mul_f32_e32 v52, v7, v77
	v_fma_f32 v52, v6, v76, -v52
	v_mul_f32_e32 v6, v6, v77
	v_add_f32_e32 v4, v62, v4
	v_fmac_f32_e32 v6, v7, v76
	v_add_f32_e32 v54, v4, v6
	v_mul_f32_e32 v4, v69, v75
	v_add_f32_e32 v52, v5, v52
	v_fma_f32 v4, v68, v74, -v4
	v_mul_f32_e32 v5, v68, v75
	v_add_f32_e32 v9, v56, v9
	v_fmac_f32_e32 v5, v69, v74
	v_add_f32_e32 v8, v8, v4
	v_mul_f32_e32 v4, v69, v77
	v_add_f32_e32 v9, v9, v5
	v_fma_f32 v56, v68, v76, -v4
	ds_read2_b64 v[4:7], v53 offset0:192 offset1:208
	v_add_f32_e32 v56, v10, v56
	v_mul_f32_e32 v58, v68, v77
	v_fmac_f32_e32 v58, v69, v76
	v_add_f32_e32 v58, v11, v58
	s_waitcnt lgkmcnt(0)
	v_mul_f32_e32 v10, v1, v5
	v_fma_f32 v10, v0, v4, -v10
	v_add_f32_e32 v35, v35, v10
	v_mul_f32_e32 v10, v1, v7
	v_mul_f32_e32 v11, v0, v5
	v_fma_f32 v10, v0, v6, -v10
	v_mul_f32_e32 v0, v0, v7
	v_fmac_f32_e32 v11, v1, v4
	v_fmac_f32_e32 v0, v1, v6
	v_add_f32_e32 v1, v52, v10
	v_mul_f32_e32 v10, v71, v5
	v_fma_f32 v10, v70, v4, -v10
	v_mul_f32_e32 v5, v70, v5
	v_fmac_f32_e32 v5, v71, v4
	v_add_f32_e32 v4, v8, v10
	v_mul_f32_e32 v8, v71, v7
	v_add_f32_e32 v50, v50, v11
	v_add_f32_e32 v5, v9, v5
	v_fma_f32 v52, v70, v6, -v8
	ds_read2_b64 v[8:11], v53 offset0:224 offset1:240
	v_mul_f32_e32 v7, v70, v7
	v_fmac_f32_e32 v7, v71, v6
	v_add_f32_e32 v0, v54, v0
	v_add_f32_e32 v54, v58, v7
	s_waitcnt lgkmcnt(0)
	v_mul_f32_e32 v6, v3, v9
	v_fma_f32 v6, v2, v8, -v6
	v_add_f32_e32 v35, v35, v6
	v_mul_f32_e32 v6, v3, v11
	v_mul_f32_e32 v7, v2, v9
	v_fma_f32 v6, v2, v10, -v6
	v_mul_f32_e32 v2, v2, v11
	v_fmac_f32_e32 v2, v3, v10
	v_add_f32_e32 v58, v0, v2
	v_mul_f32_e32 v0, v73, v9
	v_add_f32_e32 v52, v56, v52
	v_add_f32_e32 v56, v1, v6
	v_fma_f32 v0, v72, v8, -v0
	v_mul_f32_e32 v1, v72, v9
	v_fmac_f32_e32 v7, v3, v8
	v_fmac_f32_e32 v1, v73, v8
	v_add_f32_e32 v60, v4, v0
	v_mul_f32_e32 v0, v73, v11
	v_add_f32_e32 v50, v50, v7
	v_add_f32_e32 v62, v5, v1
	v_fma_f32 v8, v72, v10, -v0
	ds_read_b128 v[0:3], v57 offset:64
	ds_read2_b64 v[4:7], v61 offset1:16
	v_mul_f32_e32 v9, v72, v11
	v_fmac_f32_e32 v9, v73, v10
	v_add_f32_e32 v52, v52, v8
	v_add_f32_e32 v54, v54, v9
	s_waitcnt lgkmcnt(0)
	v_mul_f32_e32 v66, v0, v5
	v_fmac_f32_e32 v66, v1, v4
	ds_read_b128 v[8:11], v57 offset:80
	v_add_f32_e32 v50, v50, v66
	ds_read_b128 v[66:69], v57 offset:4160
	v_mul_f32_e32 v64, v1, v5
	v_fma_f32 v64, v0, v4, -v64
	v_add_f32_e32 v35, v35, v64
	v_mul_f32_e32 v64, v1, v7
	v_fma_f32 v64, v0, v6, -v64
	v_mul_f32_e32 v0, v0, v7
	ds_read2_b64 v[74:77], v61 offset0:32 offset1:48
	v_fmac_f32_e32 v0, v1, v6
	v_add_f32_e32 v1, v56, v64
	s_waitcnt lgkmcnt(1)
	v_mul_f32_e32 v56, v67, v5
	v_fma_f32 v56, v66, v4, -v56
	v_mul_f32_e32 v5, v66, v5
	v_fmac_f32_e32 v5, v67, v4
	v_add_f32_e32 v4, v60, v56
	v_mul_f32_e32 v56, v67, v7
	v_fma_f32 v56, v66, v6, -v56
	v_mul_f32_e32 v7, v66, v7
	v_fmac_f32_e32 v7, v67, v6
	v_add_f32_e32 v6, v52, v56
	s_waitcnt lgkmcnt(0)
	v_mul_f32_e32 v52, v3, v75
	v_fma_f32 v52, v2, v74, -v52
	v_add_f32_e32 v35, v35, v52
	v_mul_f32_e32 v52, v3, v77
	v_add_f32_e32 v7, v54, v7
	v_mul_f32_e32 v54, v2, v75
	v_fma_f32 v52, v2, v76, -v52
	v_mul_f32_e32 v2, v2, v77
	v_add_f32_e32 v0, v58, v0
	v_fmac_f32_e32 v54, v3, v74
	v_fmac_f32_e32 v2, v3, v76
	v_add_f32_e32 v50, v50, v54
	v_add_f32_e32 v54, v0, v2
	v_mul_f32_e32 v0, v69, v75
	v_add_f32_e32 v52, v1, v52
	v_fma_f32 v0, v68, v74, -v0
	v_mul_f32_e32 v1, v68, v75
	v_add_f32_e32 v5, v62, v5
	v_fmac_f32_e32 v1, v69, v74
	v_add_f32_e32 v4, v4, v0
	v_mul_f32_e32 v0, v69, v77
	v_add_f32_e32 v5, v5, v1
	v_fma_f32 v56, v68, v76, -v0
	ds_read2_b64 v[0:3], v61 offset0:64 offset1:80
	ds_read_b128 v[70:73], v57 offset:4176
	v_mul_f32_e32 v58, v68, v77
	v_add_f32_e32 v56, v6, v56
	v_fmac_f32_e32 v58, v69, v76
	s_waitcnt lgkmcnt(1)
	v_mul_f32_e32 v6, v9, v1
	v_fma_f32 v6, v8, v0, -v6
	v_add_f32_e32 v58, v7, v58
	v_mul_f32_e32 v7, v8, v1
	v_add_f32_e32 v35, v35, v6
	v_mul_f32_e32 v6, v9, v3
	v_fmac_f32_e32 v7, v9, v0
	v_fma_f32 v6, v8, v2, -v6
	v_add_f32_e32 v50, v50, v7
	v_mul_f32_e32 v7, v8, v3
	v_add_f32_e32 v8, v52, v6
	s_waitcnt lgkmcnt(0)
	v_mul_f32_e32 v6, v71, v1
	v_fma_f32 v6, v70, v0, -v6
	v_mul_f32_e32 v1, v70, v1
	v_fmac_f32_e32 v7, v9, v2
	v_fmac_f32_e32 v1, v71, v0
	v_add_f32_e32 v0, v4, v6
	v_mul_f32_e32 v4, v71, v3
	v_add_f32_e32 v9, v54, v7
	v_add_f32_e32 v1, v5, v1
	v_fma_f32 v52, v70, v2, -v4
	ds_read2_b64 v[4:7], v61 offset0:96 offset1:112
	v_mul_f32_e32 v3, v70, v3
	v_fmac_f32_e32 v3, v71, v2
	v_add_f32_e32 v54, v58, v3
	v_add_f32_e32 v52, v56, v52
	s_waitcnt lgkmcnt(0)
	v_mul_f32_e32 v2, v11, v5
	v_fma_f32 v2, v10, v4, -v2
	v_mul_f32_e32 v3, v10, v5
	v_fmac_f32_e32 v3, v11, v4
	v_add_f32_e32 v35, v35, v2
	v_mul_f32_e32 v2, v11, v7
	v_add_f32_e32 v50, v50, v3
	v_fma_f32 v2, v10, v6, -v2
	v_mul_f32_e32 v3, v10, v7
	v_fmac_f32_e32 v3, v11, v6
	v_add_f32_e32 v56, v8, v2
	v_mul_f32_e32 v2, v73, v5
	v_add_f32_e32 v58, v9, v3
	v_fma_f32 v2, v72, v4, -v2
	v_mul_f32_e32 v3, v72, v5
	v_fmac_f32_e32 v3, v73, v4
	v_add_f32_e32 v60, v0, v2
	v_mul_f32_e32 v0, v73, v7
	v_add_f32_e32 v62, v1, v3
	v_fma_f32 v4, v72, v6, -v0
	ds_read_b128 v[0:3], v57 offset:96
	ds_read2_b64 v[8:11], v61 offset0:128 offset1:144
	v_mul_f32_e32 v5, v72, v7
	v_fmac_f32_e32 v5, v73, v6
	v_add_f32_e32 v52, v52, v4
	v_add_f32_e32 v54, v54, v5
	s_waitcnt lgkmcnt(0)
	v_mul_f32_e32 v66, v0, v9
	v_fmac_f32_e32 v66, v1, v8
	ds_read_b128 v[4:7], v57 offset:112
	v_add_f32_e32 v50, v50, v66
	ds_read_b128 v[66:69], v57 offset:4192
	v_mul_f32_e32 v64, v1, v9
	v_fma_f32 v64, v0, v8, -v64
	v_add_f32_e32 v35, v35, v64
	v_mul_f32_e32 v64, v1, v11
	v_fma_f32 v64, v0, v10, -v64
	v_mul_f32_e32 v0, v0, v11
	ds_read2_b64 v[74:77], v61 offset0:160 offset1:176
	v_fmac_f32_e32 v0, v1, v10
	v_add_f32_e32 v1, v56, v64
	s_waitcnt lgkmcnt(1)
	v_mul_f32_e32 v56, v67, v9
	v_fma_f32 v56, v66, v8, -v56
	v_mul_f32_e32 v9, v66, v9
	v_fmac_f32_e32 v9, v67, v8
	v_add_f32_e32 v8, v60, v56
	v_mul_f32_e32 v56, v67, v11
	v_fma_f32 v56, v66, v10, -v56
	v_mul_f32_e32 v11, v66, v11
	v_fmac_f32_e32 v11, v67, v10
	v_add_f32_e32 v10, v52, v56
	s_waitcnt lgkmcnt(0)
	v_mul_f32_e32 v52, v3, v75
	v_fma_f32 v52, v2, v74, -v52
	v_add_f32_e32 v35, v35, v52
	v_mul_f32_e32 v52, v3, v77
	v_add_f32_e32 v11, v54, v11
	v_mul_f32_e32 v54, v2, v75
	v_fma_f32 v52, v2, v76, -v52
	v_mul_f32_e32 v2, v2, v77
	v_add_f32_e32 v0, v58, v0
	v_fmac_f32_e32 v54, v3, v74
	v_fmac_f32_e32 v2, v3, v76
	v_add_f32_e32 v50, v50, v54
	v_add_f32_e32 v54, v0, v2
	v_mul_f32_e32 v0, v69, v75
	v_add_f32_e32 v52, v1, v52
	v_fma_f32 v0, v68, v74, -v0
	v_mul_f32_e32 v1, v68, v75
	v_add_f32_e32 v9, v62, v9
	v_fmac_f32_e32 v1, v69, v74
	v_add_f32_e32 v8, v8, v0
	v_mul_f32_e32 v0, v69, v77
	v_add_f32_e32 v9, v9, v1
	v_fma_f32 v56, v68, v76, -v0
	ds_read2_b64 v[0:3], v61 offset0:192 offset1:208
	ds_read_b128 v[70:73], v57 offset:4208
	v_add_f32_e32 v56, v10, v56
	v_mul_f32_e32 v58, v68, v77
	v_fmac_f32_e32 v58, v69, v76
	s_waitcnt lgkmcnt(1)
	v_mul_f32_e32 v10, v5, v1
	v_fma_f32 v10, v4, v0, -v10
	v_add_f32_e32 v35, v35, v10
	v_mul_f32_e32 v10, v5, v3
	v_add_f32_e32 v58, v11, v58
	v_mul_f32_e32 v11, v4, v1
	v_fma_f32 v10, v4, v2, -v10
	v_mul_f32_e32 v4, v4, v3
	v_fmac_f32_e32 v11, v5, v0
	v_fmac_f32_e32 v4, v5, v2
	v_add_f32_e32 v5, v52, v10
	s_waitcnt lgkmcnt(0)
	v_mul_f32_e32 v10, v71, v1
	v_fma_f32 v10, v70, v0, -v10
	v_mul_f32_e32 v1, v70, v1
	v_fmac_f32_e32 v1, v71, v0
	v_add_f32_e32 v0, v8, v10
	v_mul_f32_e32 v8, v71, v3
	v_add_f32_e32 v50, v50, v11
	v_add_f32_e32 v1, v9, v1
	v_fma_f32 v52, v70, v2, -v8
	ds_read2_b64 v[8:11], v61 offset0:224 offset1:240
	v_mul_f32_e32 v3, v70, v3
	v_fmac_f32_e32 v3, v71, v2
	v_add_f32_e32 v4, v54, v4
	v_add_f32_e32 v54, v58, v3
	s_waitcnt lgkmcnt(0)
	v_mul_f32_e32 v2, v7, v9
	v_fma_f32 v2, v6, v8, -v2
	v_mul_f32_e32 v3, v6, v9
	v_fmac_f32_e32 v3, v7, v8
	v_add_f32_e32 v35, v35, v2
	v_mul_f32_e32 v2, v7, v11
	v_add_f32_e32 v50, v50, v3
	v_fma_f32 v2, v6, v10, -v2
	v_mul_f32_e32 v3, v6, v11
	v_add_f32_e32 v52, v56, v52
	v_fmac_f32_e32 v3, v7, v10
	v_add_f32_e32 v56, v5, v2
	v_mul_f32_e32 v2, v73, v9
	v_add_f32_e32 v58, v4, v3
	v_fma_f32 v2, v72, v8, -v2
	v_mul_f32_e32 v3, v72, v9
	v_fmac_f32_e32 v3, v73, v8
	v_add_f32_e32 v60, v0, v2
	v_mul_f32_e32 v0, v73, v11
	v_add_f32_e32 v62, v1, v3
	v_fma_f32 v8, v72, v10, -v0
	ds_read_b128 v[0:3], v57 offset:128
	ds_read2_b64 v[4:7], v63 offset1:16
	v_mul_f32_e32 v9, v72, v11
	v_fmac_f32_e32 v9, v73, v10
	v_add_f32_e32 v52, v52, v8
	v_add_f32_e32 v54, v54, v9
	s_waitcnt lgkmcnt(0)
	v_mul_f32_e32 v66, v0, v5
	v_fmac_f32_e32 v66, v1, v4
	ds_read_b128 v[8:11], v57 offset:144
	v_add_f32_e32 v50, v50, v66
	ds_read_b128 v[66:69], v57 offset:4224
	v_mul_f32_e32 v64, v1, v5
	v_fma_f32 v64, v0, v4, -v64
	v_add_f32_e32 v35, v35, v64
	v_mul_f32_e32 v64, v1, v7
	v_fma_f32 v64, v0, v6, -v64
	v_mul_f32_e32 v0, v0, v7
	ds_read2_b64 v[74:77], v63 offset0:32 offset1:48
	v_fmac_f32_e32 v0, v1, v6
	v_add_f32_e32 v1, v56, v64
	s_waitcnt lgkmcnt(1)
	v_mul_f32_e32 v56, v67, v5
	v_fma_f32 v56, v66, v4, -v56
	v_mul_f32_e32 v5, v66, v5
	v_fmac_f32_e32 v5, v67, v4
	v_add_f32_e32 v4, v60, v56
	v_mul_f32_e32 v56, v67, v7
	v_fma_f32 v56, v66, v6, -v56
	v_mul_f32_e32 v7, v66, v7
	v_fmac_f32_e32 v7, v67, v6
	v_add_f32_e32 v6, v52, v56
	s_waitcnt lgkmcnt(0)
	v_mul_f32_e32 v52, v3, v75
	v_fma_f32 v52, v2, v74, -v52
	v_add_f32_e32 v35, v35, v52
	v_mul_f32_e32 v52, v3, v77
	v_add_f32_e32 v7, v54, v7
	v_mul_f32_e32 v54, v2, v75
	v_fma_f32 v52, v2, v76, -v52
	v_mul_f32_e32 v2, v2, v77
	v_add_f32_e32 v0, v58, v0
	v_fmac_f32_e32 v54, v3, v74
	v_fmac_f32_e32 v2, v3, v76
	v_add_f32_e32 v50, v50, v54
	v_add_f32_e32 v54, v0, v2
	v_mul_f32_e32 v0, v69, v75
	v_add_f32_e32 v52, v1, v52
	v_fma_f32 v0, v68, v74, -v0
	v_mul_f32_e32 v1, v68, v75
	v_add_f32_e32 v5, v62, v5
	v_fmac_f32_e32 v1, v69, v74
	v_add_f32_e32 v4, v4, v0
	v_mul_f32_e32 v0, v69, v77
	v_add_f32_e32 v5, v5, v1
	v_fma_f32 v56, v68, v76, -v0
	ds_read2_b64 v[0:3], v63 offset0:64 offset1:80
	ds_read_b128 v[70:73], v57 offset:4240
	v_mul_f32_e32 v58, v68, v77
	v_add_f32_e32 v56, v6, v56
	v_fmac_f32_e32 v58, v69, v76
	s_waitcnt lgkmcnt(1)
	v_mul_f32_e32 v6, v9, v1
	v_fma_f32 v6, v8, v0, -v6
	v_add_f32_e32 v58, v7, v58
	v_mul_f32_e32 v7, v8, v1
	v_add_f32_e32 v35, v35, v6
	v_mul_f32_e32 v6, v9, v3
	v_fmac_f32_e32 v7, v9, v0
	v_fma_f32 v6, v8, v2, -v6
	v_add_f32_e32 v50, v50, v7
	v_mul_f32_e32 v7, v8, v3
	v_add_f32_e32 v8, v52, v6
	s_waitcnt lgkmcnt(0)
	v_mul_f32_e32 v6, v71, v1
	v_fma_f32 v6, v70, v0, -v6
	v_mul_f32_e32 v1, v70, v1
	v_fmac_f32_e32 v7, v9, v2
	v_fmac_f32_e32 v1, v71, v0
	v_add_f32_e32 v0, v4, v6
	v_mul_f32_e32 v4, v71, v3
	v_add_f32_e32 v9, v54, v7
	v_add_f32_e32 v1, v5, v1
	v_fma_f32 v52, v70, v2, -v4
	ds_read2_b64 v[4:7], v63 offset0:96 offset1:112
	v_mul_f32_e32 v3, v70, v3
	v_fmac_f32_e32 v3, v71, v2
	v_add_f32_e32 v54, v58, v3
	v_add_f32_e32 v52, v56, v52
	s_waitcnt lgkmcnt(0)
	v_mul_f32_e32 v2, v11, v5
	v_fma_f32 v2, v10, v4, -v2
	v_mul_f32_e32 v3, v10, v5
	v_fmac_f32_e32 v3, v11, v4
	v_add_f32_e32 v35, v35, v2
	v_mul_f32_e32 v2, v11, v7
	v_add_f32_e32 v50, v50, v3
	v_fma_f32 v2, v10, v6, -v2
	v_mul_f32_e32 v3, v10, v7
	v_fmac_f32_e32 v3, v11, v6
	v_add_f32_e32 v56, v8, v2
	v_mul_f32_e32 v2, v73, v5
	v_add_f32_e32 v58, v9, v3
	;; [unrolled: 6-line block ×3, first 2 shown]
	v_fma_f32 v4, v72, v6, -v0
	ds_read_b128 v[0:3], v57 offset:160
	ds_read2_b64 v[8:11], v63 offset0:128 offset1:144
	v_mul_f32_e32 v5, v72, v7
	v_fmac_f32_e32 v5, v73, v6
	v_add_f32_e32 v52, v52, v4
	v_add_f32_e32 v54, v54, v5
	s_waitcnt lgkmcnt(0)
	v_mul_f32_e32 v66, v0, v9
	v_fmac_f32_e32 v66, v1, v8
	ds_read_b128 v[4:7], v57 offset:176
	v_add_f32_e32 v50, v50, v66
	ds_read_b128 v[66:69], v57 offset:4256
	v_mul_f32_e32 v64, v1, v9
	v_fma_f32 v64, v0, v8, -v64
	v_add_f32_e32 v35, v35, v64
	v_mul_f32_e32 v64, v1, v11
	v_fma_f32 v64, v0, v10, -v64
	v_mul_f32_e32 v0, v0, v11
	ds_read2_b64 v[74:77], v63 offset0:160 offset1:176
	v_fmac_f32_e32 v0, v1, v10
	v_add_f32_e32 v1, v56, v64
	s_waitcnt lgkmcnt(1)
	v_mul_f32_e32 v56, v67, v9
	v_fma_f32 v56, v66, v8, -v56
	v_mul_f32_e32 v9, v66, v9
	v_fmac_f32_e32 v9, v67, v8
	v_add_f32_e32 v8, v60, v56
	v_mul_f32_e32 v56, v67, v11
	v_fma_f32 v56, v66, v10, -v56
	v_mul_f32_e32 v11, v66, v11
	v_fmac_f32_e32 v11, v67, v10
	v_add_f32_e32 v10, v52, v56
	s_waitcnt lgkmcnt(0)
	v_mul_f32_e32 v52, v3, v75
	v_fma_f32 v52, v2, v74, -v52
	v_add_f32_e32 v35, v35, v52
	v_mul_f32_e32 v52, v3, v77
	v_add_f32_e32 v11, v54, v11
	v_mul_f32_e32 v54, v2, v75
	v_fma_f32 v52, v2, v76, -v52
	v_mul_f32_e32 v2, v2, v77
	v_add_f32_e32 v0, v58, v0
	v_fmac_f32_e32 v54, v3, v74
	v_fmac_f32_e32 v2, v3, v76
	v_add_f32_e32 v50, v50, v54
	v_add_f32_e32 v54, v0, v2
	v_mul_f32_e32 v0, v69, v75
	v_add_f32_e32 v52, v1, v52
	v_fma_f32 v0, v68, v74, -v0
	v_mul_f32_e32 v1, v68, v75
	v_add_f32_e32 v9, v62, v9
	v_fmac_f32_e32 v1, v69, v74
	v_add_f32_e32 v8, v8, v0
	v_mul_f32_e32 v0, v69, v77
	v_add_f32_e32 v9, v9, v1
	v_fma_f32 v56, v68, v76, -v0
	ds_read2_b64 v[0:3], v63 offset0:192 offset1:208
	ds_read_b128 v[70:73], v57 offset:4272
	v_add_f32_e32 v56, v10, v56
	v_mul_f32_e32 v58, v68, v77
	v_fmac_f32_e32 v58, v69, v76
	s_waitcnt lgkmcnt(1)
	v_mul_f32_e32 v10, v5, v1
	v_fma_f32 v10, v4, v0, -v10
	v_add_f32_e32 v35, v35, v10
	v_mul_f32_e32 v10, v5, v3
	v_add_f32_e32 v58, v11, v58
	v_mul_f32_e32 v11, v4, v1
	v_fma_f32 v10, v4, v2, -v10
	v_mul_f32_e32 v4, v4, v3
	v_fmac_f32_e32 v11, v5, v0
	v_fmac_f32_e32 v4, v5, v2
	v_add_f32_e32 v5, v52, v10
	s_waitcnt lgkmcnt(0)
	v_mul_f32_e32 v10, v71, v1
	v_fma_f32 v10, v70, v0, -v10
	v_mul_f32_e32 v1, v70, v1
	v_fmac_f32_e32 v1, v71, v0
	v_add_f32_e32 v0, v8, v10
	v_mul_f32_e32 v8, v71, v3
	v_add_f32_e32 v50, v50, v11
	v_add_f32_e32 v1, v9, v1
	v_fma_f32 v52, v70, v2, -v8
	ds_read2_b64 v[8:11], v63 offset0:224 offset1:240
	v_mul_f32_e32 v3, v70, v3
	v_fmac_f32_e32 v3, v71, v2
	v_add_f32_e32 v4, v54, v4
	v_add_f32_e32 v54, v58, v3
	s_waitcnt lgkmcnt(0)
	v_mul_f32_e32 v2, v7, v9
	v_fma_f32 v2, v6, v8, -v2
	v_mul_f32_e32 v3, v6, v9
	v_fmac_f32_e32 v3, v7, v8
	v_add_f32_e32 v35, v35, v2
	v_mul_f32_e32 v2, v7, v11
	v_add_f32_e32 v50, v50, v3
	v_fma_f32 v2, v6, v10, -v2
	v_mul_f32_e32 v3, v6, v11
	v_add_f32_e32 v52, v56, v52
	v_fmac_f32_e32 v3, v7, v10
	v_add_f32_e32 v56, v5, v2
	v_mul_f32_e32 v2, v73, v9
	v_add_f32_e32 v58, v4, v3
	v_fma_f32 v2, v72, v8, -v2
	v_mul_f32_e32 v3, v72, v9
	v_fmac_f32_e32 v3, v73, v8
	v_add_f32_e32 v60, v0, v2
	v_mul_f32_e32 v0, v73, v11
	v_add_f32_e32 v62, v1, v3
	v_fma_f32 v8, v72, v10, -v0
	ds_read_b128 v[0:3], v57 offset:192
	ds_read2_b64 v[4:7], v65 offset1:16
	v_mul_f32_e32 v9, v72, v11
	v_fmac_f32_e32 v9, v73, v10
	v_add_f32_e32 v52, v52, v8
	v_add_f32_e32 v54, v54, v9
	s_waitcnt lgkmcnt(0)
	v_mul_f32_e32 v66, v0, v5
	v_fmac_f32_e32 v66, v1, v4
	ds_read_b128 v[8:11], v57 offset:208
	v_add_f32_e32 v50, v50, v66
	ds_read_b128 v[66:69], v57 offset:4288
	v_mul_f32_e32 v64, v1, v5
	v_fma_f32 v64, v0, v4, -v64
	v_add_f32_e32 v35, v35, v64
	v_mul_f32_e32 v64, v1, v7
	v_fma_f32 v64, v0, v6, -v64
	v_mul_f32_e32 v0, v0, v7
	ds_read2_b64 v[74:77], v65 offset0:32 offset1:48
	v_fmac_f32_e32 v0, v1, v6
	v_add_f32_e32 v1, v56, v64
	s_waitcnt lgkmcnt(1)
	v_mul_f32_e32 v56, v67, v5
	v_fma_f32 v56, v66, v4, -v56
	v_mul_f32_e32 v5, v66, v5
	v_fmac_f32_e32 v5, v67, v4
	v_add_f32_e32 v4, v60, v56
	v_mul_f32_e32 v56, v67, v7
	v_fma_f32 v56, v66, v6, -v56
	v_mul_f32_e32 v7, v66, v7
	v_fmac_f32_e32 v7, v67, v6
	v_add_f32_e32 v6, v52, v56
	s_waitcnt lgkmcnt(0)
	v_mul_f32_e32 v52, v3, v75
	v_fma_f32 v52, v2, v74, -v52
	v_add_f32_e32 v35, v35, v52
	v_mul_f32_e32 v52, v3, v77
	v_add_f32_e32 v7, v54, v7
	v_mul_f32_e32 v54, v2, v75
	v_fma_f32 v52, v2, v76, -v52
	v_mul_f32_e32 v2, v2, v77
	v_add_f32_e32 v0, v58, v0
	v_fmac_f32_e32 v54, v3, v74
	v_fmac_f32_e32 v2, v3, v76
	v_add_f32_e32 v50, v50, v54
	v_add_f32_e32 v54, v0, v2
	v_mul_f32_e32 v0, v69, v75
	v_add_f32_e32 v52, v1, v52
	v_fma_f32 v0, v68, v74, -v0
	v_mul_f32_e32 v1, v68, v75
	v_add_f32_e32 v5, v62, v5
	v_fmac_f32_e32 v1, v69, v74
	v_add_f32_e32 v4, v4, v0
	v_mul_f32_e32 v0, v69, v77
	v_add_f32_e32 v5, v5, v1
	v_fma_f32 v56, v68, v76, -v0
	ds_read2_b64 v[0:3], v65 offset0:64 offset1:80
	ds_read_b128 v[70:73], v57 offset:4304
	v_mul_f32_e32 v58, v68, v77
	v_add_f32_e32 v56, v6, v56
	v_fmac_f32_e32 v58, v69, v76
	s_waitcnt lgkmcnt(1)
	v_mul_f32_e32 v6, v9, v1
	v_fma_f32 v6, v8, v0, -v6
	v_add_f32_e32 v58, v7, v58
	v_mul_f32_e32 v7, v8, v1
	v_add_f32_e32 v35, v35, v6
	v_mul_f32_e32 v6, v9, v3
	v_fmac_f32_e32 v7, v9, v0
	v_fma_f32 v6, v8, v2, -v6
	v_add_f32_e32 v50, v50, v7
	v_mul_f32_e32 v7, v8, v3
	v_add_f32_e32 v8, v52, v6
	s_waitcnt lgkmcnt(0)
	v_mul_f32_e32 v6, v71, v1
	v_fma_f32 v6, v70, v0, -v6
	v_mul_f32_e32 v1, v70, v1
	v_fmac_f32_e32 v7, v9, v2
	v_fmac_f32_e32 v1, v71, v0
	v_add_f32_e32 v0, v4, v6
	v_mul_f32_e32 v4, v71, v3
	v_add_f32_e32 v9, v54, v7
	v_add_f32_e32 v1, v5, v1
	v_fma_f32 v52, v70, v2, -v4
	ds_read2_b64 v[4:7], v65 offset0:96 offset1:112
	v_mul_f32_e32 v3, v70, v3
	v_fmac_f32_e32 v3, v71, v2
	v_add_f32_e32 v54, v58, v3
	v_add_f32_e32 v52, v56, v52
	s_waitcnt lgkmcnt(0)
	v_mul_f32_e32 v2, v11, v5
	v_fma_f32 v2, v10, v4, -v2
	v_mul_f32_e32 v3, v10, v5
	v_fmac_f32_e32 v3, v11, v4
	v_add_f32_e32 v35, v35, v2
	v_mul_f32_e32 v2, v11, v7
	v_add_f32_e32 v50, v50, v3
	v_fma_f32 v2, v10, v6, -v2
	v_mul_f32_e32 v3, v10, v7
	v_fmac_f32_e32 v3, v11, v6
	v_add_f32_e32 v56, v8, v2
	v_mul_f32_e32 v2, v73, v5
	v_add_f32_e32 v58, v9, v3
	;; [unrolled: 6-line block ×3, first 2 shown]
	v_fma_f32 v4, v72, v6, -v0
	ds_read_b128 v[0:3], v57 offset:224
	ds_read2_b64 v[8:11], v65 offset0:128 offset1:144
	v_mul_f32_e32 v5, v72, v7
	v_fmac_f32_e32 v5, v73, v6
	v_add_f32_e32 v52, v52, v4
	v_add_f32_e32 v54, v54, v5
	s_waitcnt lgkmcnt(0)
	v_mul_f32_e32 v66, v0, v9
	v_fmac_f32_e32 v66, v1, v8
	ds_read_b128 v[4:7], v57 offset:240
	v_add_f32_e32 v50, v50, v66
	ds_read_b128 v[66:69], v57 offset:4320
	v_mul_f32_e32 v64, v1, v9
	v_fma_f32 v64, v0, v8, -v64
	v_add_f32_e32 v35, v35, v64
	v_mul_f32_e32 v64, v1, v11
	v_fma_f32 v64, v0, v10, -v64
	v_mul_f32_e32 v0, v0, v11
	ds_read2_b64 v[74:77], v65 offset0:160 offset1:176
	v_fmac_f32_e32 v0, v1, v10
	v_add_f32_e32 v1, v56, v64
	s_waitcnt lgkmcnt(1)
	v_mul_f32_e32 v56, v67, v9
	v_fma_f32 v56, v66, v8, -v56
	v_mul_f32_e32 v9, v66, v9
	v_fmac_f32_e32 v9, v67, v8
	v_add_f32_e32 v8, v60, v56
	v_mul_f32_e32 v56, v67, v11
	v_fma_f32 v56, v66, v10, -v56
	v_mul_f32_e32 v11, v66, v11
	v_fmac_f32_e32 v11, v67, v10
	v_add_f32_e32 v10, v52, v56
	s_waitcnt lgkmcnt(0)
	v_mul_f32_e32 v52, v3, v75
	v_fma_f32 v52, v2, v74, -v52
	v_add_f32_e32 v35, v35, v52
	v_mul_f32_e32 v52, v3, v77
	v_add_f32_e32 v11, v54, v11
	v_mul_f32_e32 v54, v2, v75
	v_fma_f32 v52, v2, v76, -v52
	v_mul_f32_e32 v2, v2, v77
	v_add_f32_e32 v0, v58, v0
	v_fmac_f32_e32 v54, v3, v74
	v_fmac_f32_e32 v2, v3, v76
	v_add_f32_e32 v50, v50, v54
	v_add_f32_e32 v54, v0, v2
	v_mul_f32_e32 v0, v69, v75
	v_add_f32_e32 v52, v1, v52
	v_fma_f32 v0, v68, v74, -v0
	v_mul_f32_e32 v1, v68, v75
	v_add_f32_e32 v9, v62, v9
	v_fmac_f32_e32 v1, v69, v74
	v_add_f32_e32 v8, v8, v0
	v_mul_f32_e32 v0, v69, v77
	v_add_f32_e32 v9, v9, v1
	v_fma_f32 v56, v68, v76, -v0
	ds_read2_b64 v[0:3], v65 offset0:192 offset1:208
	ds_read_b128 v[70:73], v57 offset:4336
	v_add_f32_e32 v56, v10, v56
	v_mul_f32_e32 v58, v68, v77
	v_fmac_f32_e32 v58, v69, v76
	s_waitcnt lgkmcnt(1)
	v_mul_f32_e32 v10, v5, v1
	v_fma_f32 v10, v4, v0, -v10
	v_add_f32_e32 v35, v35, v10
	v_mul_f32_e32 v10, v5, v3
	v_add_f32_e32 v58, v11, v58
	v_mul_f32_e32 v11, v4, v1
	v_fma_f32 v10, v4, v2, -v10
	v_mul_f32_e32 v4, v4, v3
	v_fmac_f32_e32 v11, v5, v0
	v_fmac_f32_e32 v4, v5, v2
	v_add_f32_e32 v5, v52, v10
	s_waitcnt lgkmcnt(0)
	v_mul_f32_e32 v10, v71, v1
	v_fma_f32 v10, v70, v0, -v10
	v_mul_f32_e32 v1, v70, v1
	v_fmac_f32_e32 v1, v71, v0
	v_add_f32_e32 v0, v8, v10
	v_mul_f32_e32 v8, v71, v3
	v_add_f32_e32 v50, v50, v11
	v_add_f32_e32 v1, v9, v1
	v_fma_f32 v52, v70, v2, -v8
	ds_read2_b64 v[8:11], v65 offset0:224 offset1:240
	v_mul_f32_e32 v3, v70, v3
	v_fmac_f32_e32 v3, v71, v2
	v_add_f32_e32 v2, v56, v52
	v_add_f32_e32 v4, v54, v4
	s_waitcnt lgkmcnt(0)
	v_mul_f32_e32 v52, v7, v9
	v_fma_f32 v52, v6, v8, -v52
	v_add_f32_e32 v62, v35, v52
	v_mul_f32_e32 v35, v7, v11
	v_mul_f32_e32 v54, v6, v9
	v_fma_f32 v35, v6, v10, -v35
	v_mul_f32_e32 v6, v6, v11
	v_fmac_f32_e32 v6, v7, v10
	v_add_f32_e32 v3, v58, v3
	v_add_f32_e32 v58, v5, v35
	;; [unrolled: 1-line block ×3, first 2 shown]
	v_mul_f32_e32 v4, v73, v9
	v_mul_f32_e32 v5, v72, v9
	v_fmac_f32_e32 v54, v7, v8
	v_fma_f32 v4, v72, v8, -v4
	v_fmac_f32_e32 v5, v73, v8
	v_add_f32_e32 v64, v50, v54
	v_add_f32_e32 v54, v0, v4
	v_add_f32_e32 v56, v1, v5
	v_mul_f32_e32 v0, v73, v11
	v_mul_f32_e32 v1, v72, v11
	s_add_u32 s30, s30, 32
	v_fma_f32 v0, v72, v10, -v0
	v_fmac_f32_e32 v1, v73, v10
	s_addc_u32 s31, s31, 0
	v_add_f32_e32 v52, v2, v0
	v_add_f32_e32 v50, v3, v1
	v_lshl_add_u64 v[48:49], v[48:49], 0, s[42:43]
	v_lshl_add_u64 v[42:43], v[42:43], 0, s[28:29]
	;; [unrolled: 1-line block ×3, first 2 shown]
	s_cmp_ge_i32 s30, s2
	v_lshl_add_u64 v[44:45], v[44:45], 0, s[28:29]
	s_barrier
	s_cbranch_scc1 .LBB74_52
.LBB74_7:                               ;   Parent Loop BB74_4 Depth=1
                                        ; =>  This Inner Loop Header: Depth=2
	v_lshl_add_u64 v[0:1], v[12:13], 0, s[30:31]
	v_cmp_le_i64_e64 s[12:13], s[40:41], v[0:1]
	v_cmp_eq_u64_e64 s[4:5], s[30:31], v[22:23]
	v_cmp_lt_i64_e64 s[10:11], v[0:1], v[14:15]
	s_and_b64 s[52:53], s[34:35], s[4:5]
	s_or_b64 s[4:5], s[12:13], s[10:11]
	s_or_b64 s[4:5], s[4:5], s[52:53]
	v_lshl_add_u64 v[2:3], v[46:47], 0, v[28:29]
	s_nor_b64 s[4:5], s[0:1], s[4:5]
	s_and_saveexec_b64 s[38:39], s[4:5]
	s_xor_b64 s[4:5], exec, s[38:39]
	s_cbranch_execz .LBB74_9
; %bb.8:                                ;   in Loop: Header=BB74_7 Depth=2
	global_load_dwordx2 v[4:5], v[2:3], off
	s_waitcnt vmcnt(0)
	ds_write_b64 v55, v[4:5]
.LBB74_9:                               ;   in Loop: Header=BB74_7 Depth=2
	s_or_saveexec_b64 s[4:5], s[4:5]
	s_xor_b64 s[38:39], s[52:53], -1
	s_xor_b64 exec, exec, s[4:5]
	s_cbranch_execz .LBB74_15
; %bb.10:                               ;   in Loop: Header=BB74_7 Depth=2
	s_and_saveexec_b64 s[54:55], s[38:39]
	s_xor_b64 s[54:55], exec, s[54:55]
; %bb.11:                               ;   in Loop: Header=BB74_7 Depth=2
	ds_write_b64 v55, v[36:37]
; %bb.12:                               ;   in Loop: Header=BB74_7 Depth=2
	s_andn2_saveexec_b64 s[54:55], s[54:55]
; %bb.13:                               ;   in Loop: Header=BB74_7 Depth=2
	ds_write_b64 v55, v[38:39]
; %bb.14:                               ;   in Loop: Header=BB74_7 Depth=2
	s_or_b64 exec, exec, s[54:55]
.LBB74_15:                              ;   in Loop: Header=BB74_7 Depth=2
	s_or_b64 exec, exec, s[4:5]
	v_cmp_eq_u64_e64 s[4:5], s[30:31], v[24:25]
	s_and_b64 s[54:55], s[34:35], s[4:5]
	v_cmp_gt_i64_e64 s[4:5], v[18:19], v[0:1]
	s_or_b64 s[4:5], s[12:13], s[4:5]
	s_or_b64 s[4:5], s[4:5], s[54:55]
	s_nor_b64 s[4:5], s[14:15], s[4:5]
	s_and_saveexec_b64 s[12:13], s[4:5]
	s_xor_b64 s[4:5], exec, s[12:13]
	s_cbranch_execz .LBB74_17
; %bb.16:                               ;   in Loop: Header=BB74_7 Depth=2
	global_load_dwordx2 v[2:3], v[2:3], off offset:128
	s_waitcnt vmcnt(0)
	ds_write_b64 v55, v[2:3] offset:128
.LBB74_17:                              ;   in Loop: Header=BB74_7 Depth=2
	s_andn2_saveexec_b64 s[4:5], s[4:5]
	s_cbranch_execz .LBB74_23
; %bb.18:                               ;   in Loop: Header=BB74_7 Depth=2
	s_xor_b64 s[12:13], s[54:55], -1
	s_and_saveexec_b64 s[54:55], s[12:13]
	s_xor_b64 s[12:13], exec, s[54:55]
; %bb.19:                               ;   in Loop: Header=BB74_7 Depth=2
	ds_write_b64 v55, v[36:37] offset:128
; %bb.20:                               ;   in Loop: Header=BB74_7 Depth=2
	s_andn2_saveexec_b64 s[12:13], s[12:13]
; %bb.21:                               ;   in Loop: Header=BB74_7 Depth=2
	ds_write_b64 v55, v[38:39] offset:128
; %bb.22:                               ;   in Loop: Header=BB74_7 Depth=2
	s_or_b64 exec, exec, s[12:13]
.LBB74_23:                              ;   in Loop: Header=BB74_7 Depth=2
	s_or_b64 exec, exec, s[4:5]
	v_lshl_add_u64 v[2:3], v[0:1], 0, 16
	v_cmp_eq_u64_e64 s[4:5], s[30:31], v[26:27]
	v_cmp_le_i64_e64 s[12:13], s[40:41], v[2:3]
	s_and_b64 s[54:55], s[34:35], s[4:5]
	v_cmp_lt_i64_e64 s[4:5], v[2:3], v[14:15]
	s_or_b64 s[4:5], s[12:13], s[4:5]
	s_or_b64 s[4:5], s[4:5], s[54:55]
	v_lshl_add_u64 v[0:1], v[48:49], 0, v[28:29]
	s_nor_b64 s[4:5], s[0:1], s[4:5]
	s_and_saveexec_b64 s[58:59], s[4:5]
	s_xor_b64 s[4:5], exec, s[58:59]
	s_cbranch_execz .LBB74_25
; %bb.24:                               ;   in Loop: Header=BB74_7 Depth=2
	global_load_dwordx2 v[2:3], v[0:1], off
	s_waitcnt vmcnt(0)
	ds_write_b64 v55, v[2:3] offset:4096
.LBB74_25:                              ;   in Loop: Header=BB74_7 Depth=2
	s_andn2_saveexec_b64 s[4:5], s[4:5]
	s_cbranch_execz .LBB74_31
; %bb.26:                               ;   in Loop: Header=BB74_7 Depth=2
	s_xor_b64 s[54:55], s[54:55], -1
	s_and_saveexec_b64 s[58:59], s[54:55]
	s_xor_b64 s[54:55], exec, s[58:59]
; %bb.27:                               ;   in Loop: Header=BB74_7 Depth=2
	ds_write_b64 v55, v[36:37] offset:4096
; %bb.28:                               ;   in Loop: Header=BB74_7 Depth=2
	s_andn2_saveexec_b64 s[54:55], s[54:55]
; %bb.29:                               ;   in Loop: Header=BB74_7 Depth=2
	ds_write_b64 v55, v[38:39] offset:4096
; %bb.30:                               ;   in Loop: Header=BB74_7 Depth=2
	s_or_b64 exec, exec, s[54:55]
.LBB74_31:                              ;   in Loop: Header=BB74_7 Depth=2
	s_or_b64 exec, exec, s[4:5]
	s_or_b64 s[4:5], s[12:13], s[10:11]
	s_or_b64 s[4:5], s[4:5], s[52:53]
	s_nor_b64 s[4:5], s[14:15], s[4:5]
	s_and_saveexec_b64 s[10:11], s[4:5]
	s_xor_b64 s[4:5], exec, s[10:11]
	s_cbranch_execz .LBB74_33
; %bb.32:                               ;   in Loop: Header=BB74_7 Depth=2
	global_load_dwordx2 v[0:1], v[0:1], off offset:128
	s_waitcnt vmcnt(0)
	ds_write_b64 v55, v[0:1] offset:4224
.LBB74_33:                              ;   in Loop: Header=BB74_7 Depth=2
	s_andn2_saveexec_b64 s[4:5], s[4:5]
	s_cbranch_execz .LBB74_39
; %bb.34:                               ;   in Loop: Header=BB74_7 Depth=2
	s_and_saveexec_b64 s[10:11], s[38:39]
	s_xor_b64 s[10:11], exec, s[10:11]
; %bb.35:                               ;   in Loop: Header=BB74_7 Depth=2
	ds_write_b64 v55, v[36:37] offset:4224
; %bb.36:                               ;   in Loop: Header=BB74_7 Depth=2
	s_andn2_saveexec_b64 s[10:11], s[10:11]
; %bb.37:                               ;   in Loop: Header=BB74_7 Depth=2
	ds_write_b64 v55, v[38:39] offset:4224
; %bb.38:                               ;   in Loop: Header=BB74_7 Depth=2
	s_or_b64 exec, exec, s[10:11]
.LBB74_39:                              ;   in Loop: Header=BB74_7 Depth=2
	s_or_b64 exec, exec, s[4:5]
	v_lshl_add_u64 v[2:3], v[14:15], 0, s[30:31]
	v_cmp_gt_i64_e64 s[10:11], s[40:41], v[2:3]
	v_lshl_add_u64 v[0:1], v[42:43], 0, v[28:29]
	s_and_b64 s[12:13], vcc, s[10:11]
	v_mov_b32_e32 v4, 0
	v_mov_b32_e32 v5, 0
	s_and_saveexec_b64 s[4:5], s[12:13]
	s_cbranch_execz .LBB74_41
; %bb.40:                               ;   in Loop: Header=BB74_7 Depth=2
	global_load_dwordx2 v[4:5], v[0:1], off
.LBB74_41:                              ;   in Loop: Header=BB74_7 Depth=2
	s_or_b64 exec, exec, s[4:5]
	v_cmp_gt_i64_e64 s[12:13], s[50:51], v[2:3]
	s_and_b64 s[4:5], vcc, s[12:13]
	s_xor_b64 s[4:5], s[4:5], -1
	s_waitcnt vmcnt(0)
	ds_write_b64 v59, v[4:5]
	s_and_saveexec_b64 s[38:39], s[4:5]
	s_xor_b64 s[4:5], exec, s[38:39]
; %bb.42:                               ;   in Loop: Header=BB74_7 Depth=2
	ds_write_b64 v59, v[36:37] offset:128
                                        ; implicit-def: $vgpr0_vgpr1
; %bb.43:                               ;   in Loop: Header=BB74_7 Depth=2
	s_andn2_saveexec_b64 s[4:5], s[4:5]
	s_cbranch_execz .LBB74_45
; %bb.44:                               ;   in Loop: Header=BB74_7 Depth=2
	global_load_dwordx2 v[0:1], v[0:1], off offset:128
	s_waitcnt vmcnt(0)
	ds_write_b64 v59, v[0:1] offset:128
.LBB74_45:                              ;   in Loop: Header=BB74_7 Depth=2
	s_or_b64 exec, exec, s[4:5]
	v_lshl_add_u64 v[0:1], v[44:45], 0, v[28:29]
	s_and_b64 s[10:11], s[8:9], s[10:11]
	v_mov_b32_e32 v2, 0
	v_mov_b32_e32 v3, 0
	s_and_saveexec_b64 s[4:5], s[10:11]
	s_cbranch_execz .LBB74_47
; %bb.46:                               ;   in Loop: Header=BB74_7 Depth=2
	global_load_dwordx2 v[2:3], v[0:1], off
.LBB74_47:                              ;   in Loop: Header=BB74_7 Depth=2
	s_or_b64 exec, exec, s[4:5]
	s_and_b64 s[4:5], s[8:9], s[12:13]
	s_xor_b64 s[4:5], s[4:5], -1
	s_waitcnt vmcnt(0)
	ds_write_b64 v59, v[2:3] offset:4096
	s_and_saveexec_b64 s[10:11], s[4:5]
	s_xor_b64 s[4:5], exec, s[10:11]
; %bb.48:                               ;   in Loop: Header=BB74_7 Depth=2
	ds_write_b64 v59, v[36:37] offset:4224
                                        ; implicit-def: $vgpr0_vgpr1
; %bb.49:                               ;   in Loop: Header=BB74_7 Depth=2
	s_andn2_saveexec_b64 s[4:5], s[4:5]
	s_cbranch_execz .LBB74_6
; %bb.50:                               ;   in Loop: Header=BB74_7 Depth=2
	global_load_dwordx2 v[0:1], v[0:1], off offset:128
	s_waitcnt vmcnt(0)
	ds_write_b64 v59, v[0:1] offset:4224
	s_branch .LBB74_6
.LBB74_51:                              ;   in Loop: Header=BB74_4 Depth=1
	v_mov_b32_e32 v62, 0
	v_mov_b32_e32 v64, 0
	;; [unrolled: 1-line block ×8, first 2 shown]
.LBB74_52:                              ;   in Loop: Header=BB74_4 Depth=1
	v_mul_lo_u32 v2, s49, v40
	v_mul_lo_u32 v3, s48, v41
	v_mad_u64_u32 v[0:1], s[4:5], s48, v40, 0
	v_cmp_gt_i32_e32 vcc, s46, v40
	v_add3_u32 v1, v1, v3, v2
	v_lshl_add_u64 v[0:1], v[0:1], 3, s[22:23]
	s_and_b64 s[8:9], s[16:17], vcc
	s_and_saveexec_b64 s[4:5], s[8:9]
	s_cbranch_execz .LBB74_54
; %bb.53:                               ;   in Loop: Header=BB74_4 Depth=1
	v_lshl_add_u64 v[2:3], v[14:15], 3, v[0:1]
	global_load_dwordx2 v[4:5], v[2:3], off
	v_pk_mul_f32 v[6:7], v[64:65], s[44:45] op_sel_hi:[0,1]
	v_pk_fma_f32 v[8:9], v[62:63], s[18:19], v[6:7] neg_lo:[0,0,1] neg_hi:[0,0,1]
	v_pk_fma_f32 v[6:7], v[62:63], s[18:19], v[6:7] op_sel_hi:[0,1,1]
	v_mov_b32_e32 v9, v7
	s_waitcnt vmcnt(0)
	v_pk_add_f32 v[4:5], v[4:5], v[8:9]
	global_store_dwordx2 v[2:3], v[4:5], off
.LBB74_54:                              ;   in Loop: Header=BB74_4 Depth=1
	s_or_b64 exec, exec, s[4:5]
	s_and_b64 s[8:9], s[6:7], vcc
	s_and_saveexec_b64 s[4:5], s[8:9]
	s_cbranch_execz .LBB74_56
; %bb.55:                               ;   in Loop: Header=BB74_4 Depth=1
	v_lshl_add_u64 v[0:1], v[20:21], 3, v[0:1]
	global_load_dwordx2 v[2:3], v[0:1], off
	v_pk_mul_f32 v[4:5], v[60:61], s[44:45] op_sel_hi:[0,1]
	v_pk_fma_f32 v[6:7], v[58:59], s[18:19], v[4:5] neg_lo:[0,0,1] neg_hi:[0,0,1]
	v_pk_fma_f32 v[4:5], v[58:59], s[18:19], v[4:5] op_sel_hi:[0,1,1]
	v_mov_b32_e32 v7, v5
	s_waitcnt vmcnt(0)
	v_pk_add_f32 v[2:3], v[2:3], v[6:7]
	global_store_dwordx2 v[0:1], v[2:3], off
.LBB74_56:                              ;   in Loop: Header=BB74_4 Depth=1
	s_or_b64 exec, exec, s[4:5]
	v_add_u32_e32 v0, 16, v40
	v_ashrrev_i32_e32 v1, 31, v0
	v_cmp_gt_i32_e32 vcc, s46, v0
	v_mul_lo_u32 v2, s48, v1
	v_mul_lo_u32 v3, s49, v0
	v_mad_u64_u32 v[0:1], s[4:5], s48, v0, 0
	v_add3_u32 v1, v1, v2, v3
	v_lshl_add_u64 v[0:1], v[0:1], 3, s[22:23]
	s_and_b64 s[8:9], s[16:17], vcc
	s_and_saveexec_b64 s[4:5], s[8:9]
	s_cbranch_execz .LBB74_58
; %bb.57:                               ;   in Loop: Header=BB74_4 Depth=1
	v_lshl_add_u64 v[2:3], v[14:15], 3, v[0:1]
	global_load_dwordx2 v[4:5], v[2:3], off
	v_pk_mul_f32 v[6:7], v[56:57], s[44:45] op_sel_hi:[0,1]
	v_pk_fma_f32 v[8:9], v[54:55], s[18:19], v[6:7] neg_lo:[0,0,1] neg_hi:[0,0,1]
	v_pk_fma_f32 v[6:7], v[54:55], s[18:19], v[6:7] op_sel_hi:[0,1,1]
	v_mov_b32_e32 v9, v7
	s_waitcnt vmcnt(0)
	v_pk_add_f32 v[4:5], v[4:5], v[8:9]
	global_store_dwordx2 v[2:3], v[4:5], off
.LBB74_58:                              ;   in Loop: Header=BB74_4 Depth=1
	s_or_b64 exec, exec, s[4:5]
	s_and_b64 s[8:9], s[6:7], vcc
	s_and_saveexec_b64 s[4:5], s[8:9]
	s_cbranch_execz .LBB74_3
; %bb.59:                               ;   in Loop: Header=BB74_4 Depth=1
	v_lshl_add_u64 v[0:1], v[20:21], 3, v[0:1]
	global_load_dwordx2 v[2:3], v[0:1], off
	v_pk_mul_f32 v[4:5], v[50:51], s[44:45] op_sel_hi:[0,1]
	v_pk_fma_f32 v[6:7], v[52:53], s[18:19], v[4:5] neg_lo:[0,0,1] neg_hi:[0,0,1]
	v_pk_fma_f32 v[4:5], v[52:53], s[18:19], v[4:5] op_sel_hi:[0,1,1]
	v_mov_b32_e32 v7, v5
	s_waitcnt vmcnt(0)
	v_pk_add_f32 v[2:3], v[2:3], v[6:7]
	global_store_dwordx2 v[0:1], v[2:3], off
	s_branch .LBB74_3
.LBB74_60:
	s_endpgm
	.section	.rodata,"a",@progbits
	.p2align	6, 0x0
	.amdhsa_kernel _ZL30rocblas_trmm_outofplace_kernelI19rocblas_complex_numIfELi32ELi2ELb1ELb1ELb0ELb0EPKS1_S2_S1_Ev17rocblas_diagonal_iiT6_lPT7_lllS7_lllPT8_llli
		.amdhsa_group_segment_fixed_size 16384
		.amdhsa_private_segment_fixed_size 0
		.amdhsa_kernarg_size 392
		.amdhsa_user_sgpr_count 2
		.amdhsa_user_sgpr_dispatch_ptr 0
		.amdhsa_user_sgpr_queue_ptr 0
		.amdhsa_user_sgpr_kernarg_segment_ptr 1
		.amdhsa_user_sgpr_dispatch_id 0
		.amdhsa_user_sgpr_kernarg_preload_length 0
		.amdhsa_user_sgpr_kernarg_preload_offset 0
		.amdhsa_user_sgpr_private_segment_size 0
		.amdhsa_uses_dynamic_stack 0
		.amdhsa_enable_private_segment 0
		.amdhsa_system_sgpr_workgroup_id_x 1
		.amdhsa_system_sgpr_workgroup_id_y 1
		.amdhsa_system_sgpr_workgroup_id_z 1
		.amdhsa_system_sgpr_workgroup_info 0
		.amdhsa_system_vgpr_workitem_id 1
		.amdhsa_next_free_vgpr 86
		.amdhsa_next_free_sgpr 60
		.amdhsa_accum_offset 88
		.amdhsa_reserve_vcc 1
		.amdhsa_float_round_mode_32 0
		.amdhsa_float_round_mode_16_64 0
		.amdhsa_float_denorm_mode_32 3
		.amdhsa_float_denorm_mode_16_64 3
		.amdhsa_dx10_clamp 1
		.amdhsa_ieee_mode 1
		.amdhsa_fp16_overflow 0
		.amdhsa_tg_split 0
		.amdhsa_exception_fp_ieee_invalid_op 0
		.amdhsa_exception_fp_denorm_src 0
		.amdhsa_exception_fp_ieee_div_zero 0
		.amdhsa_exception_fp_ieee_overflow 0
		.amdhsa_exception_fp_ieee_underflow 0
		.amdhsa_exception_fp_ieee_inexact 0
		.amdhsa_exception_int_div_zero 0
	.end_amdhsa_kernel
	.section	.text._ZL30rocblas_trmm_outofplace_kernelI19rocblas_complex_numIfELi32ELi2ELb1ELb1ELb0ELb0EPKS1_S2_S1_Ev17rocblas_diagonal_iiT6_lPT7_lllS7_lllPT8_llli,"axG",@progbits,_ZL30rocblas_trmm_outofplace_kernelI19rocblas_complex_numIfELi32ELi2ELb1ELb1ELb0ELb0EPKS1_S2_S1_Ev17rocblas_diagonal_iiT6_lPT7_lllS7_lllPT8_llli,comdat
.Lfunc_end74:
	.size	_ZL30rocblas_trmm_outofplace_kernelI19rocblas_complex_numIfELi32ELi2ELb1ELb1ELb0ELb0EPKS1_S2_S1_Ev17rocblas_diagonal_iiT6_lPT7_lllS7_lllPT8_llli, .Lfunc_end74-_ZL30rocblas_trmm_outofplace_kernelI19rocblas_complex_numIfELi32ELi2ELb1ELb1ELb0ELb0EPKS1_S2_S1_Ev17rocblas_diagonal_iiT6_lPT7_lllS7_lllPT8_llli
                                        ; -- End function
	.set _ZL30rocblas_trmm_outofplace_kernelI19rocblas_complex_numIfELi32ELi2ELb1ELb1ELb0ELb0EPKS1_S2_S1_Ev17rocblas_diagonal_iiT6_lPT7_lllS7_lllPT8_llli.num_vgpr, 86
	.set _ZL30rocblas_trmm_outofplace_kernelI19rocblas_complex_numIfELi32ELi2ELb1ELb1ELb0ELb0EPKS1_S2_S1_Ev17rocblas_diagonal_iiT6_lPT7_lllS7_lllPT8_llli.num_agpr, 0
	.set _ZL30rocblas_trmm_outofplace_kernelI19rocblas_complex_numIfELi32ELi2ELb1ELb1ELb0ELb0EPKS1_S2_S1_Ev17rocblas_diagonal_iiT6_lPT7_lllS7_lllPT8_llli.numbered_sgpr, 60
	.set _ZL30rocblas_trmm_outofplace_kernelI19rocblas_complex_numIfELi32ELi2ELb1ELb1ELb0ELb0EPKS1_S2_S1_Ev17rocblas_diagonal_iiT6_lPT7_lllS7_lllPT8_llli.num_named_barrier, 0
	.set _ZL30rocblas_trmm_outofplace_kernelI19rocblas_complex_numIfELi32ELi2ELb1ELb1ELb0ELb0EPKS1_S2_S1_Ev17rocblas_diagonal_iiT6_lPT7_lllS7_lllPT8_llli.private_seg_size, 0
	.set _ZL30rocblas_trmm_outofplace_kernelI19rocblas_complex_numIfELi32ELi2ELb1ELb1ELb0ELb0EPKS1_S2_S1_Ev17rocblas_diagonal_iiT6_lPT7_lllS7_lllPT8_llli.uses_vcc, 1
	.set _ZL30rocblas_trmm_outofplace_kernelI19rocblas_complex_numIfELi32ELi2ELb1ELb1ELb0ELb0EPKS1_S2_S1_Ev17rocblas_diagonal_iiT6_lPT7_lllS7_lllPT8_llli.uses_flat_scratch, 0
	.set _ZL30rocblas_trmm_outofplace_kernelI19rocblas_complex_numIfELi32ELi2ELb1ELb1ELb0ELb0EPKS1_S2_S1_Ev17rocblas_diagonal_iiT6_lPT7_lllS7_lllPT8_llli.has_dyn_sized_stack, 0
	.set _ZL30rocblas_trmm_outofplace_kernelI19rocblas_complex_numIfELi32ELi2ELb1ELb1ELb0ELb0EPKS1_S2_S1_Ev17rocblas_diagonal_iiT6_lPT7_lllS7_lllPT8_llli.has_recursion, 0
	.set _ZL30rocblas_trmm_outofplace_kernelI19rocblas_complex_numIfELi32ELi2ELb1ELb1ELb0ELb0EPKS1_S2_S1_Ev17rocblas_diagonal_iiT6_lPT7_lllS7_lllPT8_llli.has_indirect_call, 0
	.section	.AMDGPU.csdata,"",@progbits
; Kernel info:
; codeLenInByte = 6324
; TotalNumSgprs: 66
; NumVgprs: 86
; NumAgprs: 0
; TotalNumVgprs: 86
; ScratchSize: 0
; MemoryBound: 1
; FloatMode: 240
; IeeeMode: 1
; LDSByteSize: 16384 bytes/workgroup (compile time only)
; SGPRBlocks: 8
; VGPRBlocks: 10
; NumSGPRsForWavesPerEU: 66
; NumVGPRsForWavesPerEU: 86
; AccumOffset: 88
; Occupancy: 5
; WaveLimiterHint : 0
; COMPUTE_PGM_RSRC2:SCRATCH_EN: 0
; COMPUTE_PGM_RSRC2:USER_SGPR: 2
; COMPUTE_PGM_RSRC2:TRAP_HANDLER: 0
; COMPUTE_PGM_RSRC2:TGID_X_EN: 1
; COMPUTE_PGM_RSRC2:TGID_Y_EN: 1
; COMPUTE_PGM_RSRC2:TGID_Z_EN: 1
; COMPUTE_PGM_RSRC2:TIDIG_COMP_CNT: 1
; COMPUTE_PGM_RSRC3_GFX90A:ACCUM_OFFSET: 21
; COMPUTE_PGM_RSRC3_GFX90A:TG_SPLIT: 0
	.section	.text._ZL30rocblas_trmm_outofplace_kernelI19rocblas_complex_numIfELi32ELi2ELb1ELb1ELb0ELb0ES1_KS1_S1_Ev17rocblas_diagonal_iiT6_lPT7_lllS6_lllPT8_llli,"axG",@progbits,_ZL30rocblas_trmm_outofplace_kernelI19rocblas_complex_numIfELi32ELi2ELb1ELb1ELb0ELb0ES1_KS1_S1_Ev17rocblas_diagonal_iiT6_lPT7_lllS6_lllPT8_llli,comdat
	.globl	_ZL30rocblas_trmm_outofplace_kernelI19rocblas_complex_numIfELi32ELi2ELb1ELb1ELb0ELb0ES1_KS1_S1_Ev17rocblas_diagonal_iiT6_lPT7_lllS6_lllPT8_llli ; -- Begin function _ZL30rocblas_trmm_outofplace_kernelI19rocblas_complex_numIfELi32ELi2ELb1ELb1ELb0ELb0ES1_KS1_S1_Ev17rocblas_diagonal_iiT6_lPT7_lllS6_lllPT8_llli
	.p2align	8
	.type	_ZL30rocblas_trmm_outofplace_kernelI19rocblas_complex_numIfELi32ELi2ELb1ELb1ELb0ELb0ES1_KS1_S1_Ev17rocblas_diagonal_iiT6_lPT7_lllS6_lllPT8_llli,@function
_ZL30rocblas_trmm_outofplace_kernelI19rocblas_complex_numIfELi32ELi2ELb1ELb1ELb0ELb0ES1_KS1_S1_Ev17rocblas_diagonal_iiT6_lPT7_lllS6_lllPT8_llli: ; @_ZL30rocblas_trmm_outofplace_kernelI19rocblas_complex_numIfELi32ELi2ELb1ELb1ELb0ELb0ES1_KS1_S1_Ev17rocblas_diagonal_iiT6_lPT7_lllS6_lllPT8_llli
; %bb.0:
	s_load_dwordx4 s[24:27], s[0:1], 0x0
	s_load_dword s29, s[0:1], 0x10
	s_waitcnt lgkmcnt(0)
	s_or_b32 s5, s27, s29
	s_bitset0_b32 s5, 31
	s_cmp_eq_u32 s5, 0
	s_cbranch_scc1 .LBB75_60
; %bb.1:
	s_add_i32 s5, s26, -1
	s_ashr_i32 s6, s5, 31
	s_lshr_b32 s6, s6, 27
	s_add_i32 s5, s5, s6
	s_ashr_i32 s33, s5, 5
	s_cmp_gt_i32 s3, s33
	s_cbranch_scc1 .LBB75_60
; %bb.2:
	s_load_dwordx16 s[36:51], s[0:1], 0x20
	s_load_dwordx8 s[16:23], s[0:1], 0x60
	v_bfe_u32 v51, v0, 10, 10
	v_and_b32_e32 v2, 0x3ff, v0
	v_lshlrev_b32_e32 v53, 3, v2
	s_waitcnt lgkmcnt(0)
	s_mul_i32 s5, s43, s4
	s_mul_hi_u32 s6, s42, s4
	s_add_i32 s7, s6, s5
	s_mul_i32 s6, s42, s4
	s_lshl_b64 s[8:9], s[6:7], 3
	s_add_u32 s5, s36, s8
	s_addc_u32 s7, s37, s9
	s_lshl_b64 s[10:11], s[38:39], 3
	s_add_u32 s6, s5, s10
	s_mul_i32 s5, s23, s4
	s_mul_hi_u32 s12, s22, s4
	s_addc_u32 s7, s7, s11
	s_add_i32 s13, s12, s5
	s_mul_i32 s12, s22, s4
	s_lshl_b64 s[12:13], s[12:13], 3
	s_add_u32 s5, s16, s12
	s_addc_u32 s14, s17, s13
	s_lshl_b64 s[12:13], s[18:19], 3
	s_add_u32 s18, s5, s12
	s_addc_u32 s19, s14, s13
	s_lshl_b32 s2, s2, 5
	v_add_u32_e32 v12, s2, v51
	v_add_u32_e32 v14, s2, v2
	s_sub_i32 s2, s25, s2
	s_cmp_gt_i32 s2, 0
	s_cselect_b64 s[22:23], -1, 0
	s_cmpk_eq_i32 s24, 0x84
	s_cselect_b64 s[30:31], -1, 0
	s_ashr_i32 s35, s25, 31
	s_ashr_i32 s56, s26, 31
	s_lshl_b64 s[38:39], s[40:41], 8
	s_add_u32 s42, s25, -16
	s_addc_u32 s43, s35, -1
	v_ashrrev_i32_e32 v13, 31, v12
	s_add_u32 s5, s36, s10
	v_mul_lo_u32 v3, s40, v13
	v_mul_lo_u32 v4, s41, v12
	v_mad_u64_u32 v[0:1], s[12:13], s40, v12, 0
	s_addc_u32 s10, s37, s11
	v_add3_u32 v1, v1, v3, v4
	s_add_u32 s8, s5, s8
	v_lshl_add_u64 v[16:17], v[0:1], 3, s[6:7]
	v_lshlrev_b32_e32 v0, 8, v51
	v_mov_b64_e32 v[30:31], 0x80
	s_addc_u32 s9, s10, s9
	v_add_u32_e32 v55, v53, v0
	v_add_u32_e32 v57, 0x2000, v0
	v_lshl_add_u64 v[0:1], v[12:13], 3, v[30:31]
	v_mov_b64_e32 v[2:3], s[8:9]
	v_mad_u64_u32 v[32:33], s[8:9], s40, v0, v[2:3]
	s_mul_i32 s5, s51, s4
	s_mul_hi_u32 s8, s50, s4
	s_load_dword s58, s[0:1], 0x8c
	s_add_i32 s5, s8, s5
	s_mul_i32 s4, s50, s4
	s_lshl_b64 s[4:5], s[4:5], 3
	s_lshl_b64 s[8:9], s[46:47], 3
	s_add_u32 s4, s4, s8
	v_ashrrev_i32_e32 v15, 31, v14
	v_sub_co_u32_e32 v22, vcc, v14, v12
	s_addc_u32 s5, s5, s9
	s_mov_b32 s34, s25
	v_lshl_add_u64 v[18:19], v[14:15], 0, 16
	v_add_u32_e32 v20, 16, v14
	v_subb_co_u32_e32 v23, vcc, v15, v13, vcc
	v_mul_lo_u32 v1, s40, v1
	v_mul_lo_u32 v0, s41, v0
	s_add_u32 s36, s44, s4
	v_mov_b32_e32 v36, 0
	s_mov_b32 s28, s27
	s_mov_b32 s57, s26
	v_add_u32_e32 v59, v57, v53
	v_cmp_le_i32_e64 s[0:1], s25, v14
	v_cmp_le_i64_e64 s[14:15], s[34:35], v[18:19]
	v_cmp_gt_i32_e64 s[16:17], s25, v14
	v_cmp_gt_i32_e64 s[6:7], s25, v20
	v_ashrrev_i32_e32 v21, 31, v20
	s_mov_b32 s24, s29
	s_mov_b32 s25, s27
	v_lshl_add_u64 v[24:25], v[22:23], 0, 16
	v_lshl_add_u64 v[26:27], v[22:23], 0, -16
	v_lshlrev_b64 v[28:29], 3, v[14:15]
	v_add3_u32 v33, v0, v33, v1
	s_addc_u32 s37, s45, s5
	s_lshl_b64 s[40:41], s[48:49], 3
	v_lshl_add_u32 v34, s3, 5, v51
	s_waitcnt lgkmcnt(0)
	s_lshl_b32 s27, s58, 5
	s_mov_b64 s[44:45], 0x100
	v_mov_b32_e32 v37, v36
	v_mov_b32_e32 v38, 1.0
	v_mov_b32_e32 v39, v36
	v_add_u32_e32 v61, 0x800, v53
	v_add_u32_e32 v63, 0x1000, v53
	;; [unrolled: 1-line block ×3, first 2 shown]
	s_branch .LBB75_4
.LBB75_3:                               ;   in Loop: Header=BB75_4 Depth=1
	s_or_b64 exec, exec, s[4:5]
	s_add_i32 s3, s58, s3
	s_cmp_le_i32 s3, s33
	v_add_u32_e32 v34, s27, v34
	s_cbranch_scc0 .LBB75_60
.LBB75_4:                               ; =>This Loop Header: Depth=1
                                        ;     Child Loop BB75_7 Depth 2
	v_lshl_add_u32 v40, s3, 5, v51
	s_andn2_b64 vcc, exec, s[22:23]
	v_ashrrev_i32_e32 v41, 31, v40
	s_cbranch_vccnz .LBB75_51
; %bb.5:                                ;   in Loop: Header=BB75_4 Depth=1
	v_ashrrev_i32_e32 v35, 31, v34
	v_mov_b64_e32 v[0:1], s[36:37]
	v_mad_u64_u32 v[42:43], s[4:5], s40, v34, v[0:1]
	v_mul_lo_u32 v2, s41, v34
	v_mul_lo_u32 v3, s40, v35
	v_add3_u32 v43, v2, v43, v3
	v_lshl_add_u64 v[2:3], v[34:35], 3, v[30:31]
	v_mad_u64_u32 v[44:45], s[4:5], s48, v2, v[0:1]
	v_mov_b32_e32 v1, s56
	v_sub_co_u32_e32 v0, vcc, s57, v40
	v_mul_lo_u32 v3, s48, v3
	v_mul_lo_u32 v4, s49, v2
	v_subb_co_u32_e32 v1, vcc, v1, v41, vcc
	v_add3_u32 v45, v4, v45, v3
	s_mov_b64 s[46:47], 0
	v_cmp_lt_i64_e32 vcc, 0, v[0:1]
	v_cmp_lt_i64_e64 s[8:9], 16, v[0:1]
	v_mov_b32_e32 v50, 0
	v_mov_b64_e32 v[46:47], v[16:17]
	v_mov_b64_e32 v[48:49], v[32:33]
	v_mov_b32_e32 v52, 0
	v_mov_b32_e32 v56, 0
	;; [unrolled: 1-line block ×7, first 2 shown]
	s_branch .LBB75_7
.LBB75_6:                               ;   in Loop: Header=BB75_7 Depth=2
	s_or_b64 exec, exec, s[4:5]
	s_waitcnt lgkmcnt(0)
	s_barrier
	ds_read2_b64 v[66:69], v53 offset1:16
	ds_read_b128 v[70:73], v57
	ds_read_b128 v[8:11], v57 offset:16
	ds_read_b128 v[4:7], v57 offset:32
	;; [unrolled: 1-line block ×3, first 2 shown]
	ds_read2_b64 v[82:85], v53 offset0:32 offset1:48
	s_waitcnt lgkmcnt(4)
	v_mul_f32_e32 v35, v71, v67
	v_mul_f32_e32 v74, v70, v67
	v_fma_f32 v35, v70, v66, -v35
	v_fmac_f32_e32 v74, v71, v66
	v_add_f32_e32 v35, v62, v35
	v_add_f32_e32 v62, v64, v74
	ds_read_b128 v[74:77], v57 offset:4096
	ds_read_b128 v[78:81], v57 offset:4112
	v_mul_f32_e32 v64, v71, v69
	v_fma_f32 v64, v70, v68, -v64
	v_add_f32_e32 v58, v58, v64
	s_waitcnt lgkmcnt(1)
	v_mul_f32_e32 v64, v75, v67
	v_mul_f32_e32 v67, v74, v67
	v_fma_f32 v64, v74, v66, -v64
	v_fmac_f32_e32 v67, v75, v66
	v_mul_f32_e32 v66, v74, v69
	v_fmac_f32_e32 v66, v75, v68
	v_add_f32_e32 v50, v50, v66
	v_mul_f32_e32 v66, v72, v83
	v_mul_f32_e32 v70, v70, v69
	v_add_f32_e32 v54, v54, v64
	v_mul_f32_e32 v64, v75, v69
	v_fmac_f32_e32 v66, v73, v82
	v_fmac_f32_e32 v70, v71, v68
	v_fma_f32 v64, v74, v68, -v64
	v_add_f32_e32 v62, v62, v66
	v_mul_f32_e32 v66, v72, v85
	v_add_f32_e32 v60, v60, v70
	v_add_f32_e32 v52, v52, v64
	v_mul_f32_e32 v64, v73, v83
	v_fmac_f32_e32 v66, v73, v84
	v_fma_f32 v64, v72, v82, -v64
	v_add_f32_e32 v60, v60, v66
	v_mul_f32_e32 v66, v76, v83
	v_add_f32_e32 v56, v56, v67
	v_add_f32_e32 v35, v35, v64
	v_mul_f32_e32 v64, v73, v85
	v_fmac_f32_e32 v66, v77, v82
	v_fma_f32 v64, v72, v84, -v64
	v_add_f32_e32 v56, v56, v66
	ds_read2_b64 v[66:69], v53 offset0:64 offset1:80
	v_add_f32_e32 v58, v58, v64
	v_mul_f32_e32 v64, v77, v83
	v_fma_f32 v64, v76, v82, -v64
	v_add_f32_e32 v54, v54, v64
	v_mul_f32_e32 v64, v77, v85
	v_fma_f32 v64, v76, v84, -v64
	v_mul_f32_e32 v70, v76, v85
	v_add_f32_e32 v52, v52, v64
	s_waitcnt lgkmcnt(0)
	v_mul_f32_e32 v64, v9, v67
	v_fmac_f32_e32 v70, v77, v84
	v_fma_f32 v64, v8, v66, -v64
	v_add_f32_e32 v50, v50, v70
	v_mul_f32_e32 v70, v8, v67
	v_add_f32_e32 v35, v35, v64
	v_mul_f32_e32 v64, v9, v69
	v_fmac_f32_e32 v70, v9, v66
	v_fma_f32 v64, v8, v68, -v64
	v_mul_f32_e32 v8, v8, v69
	v_add_f32_e32 v62, v62, v70
	v_fmac_f32_e32 v8, v9, v68
	ds_read2_b64 v[70:73], v53 offset0:96 offset1:112
	v_add_f32_e32 v9, v58, v64
	v_add_f32_e32 v8, v60, v8
	v_mul_f32_e32 v58, v79, v67
	v_mul_f32_e32 v60, v78, v67
	v_fma_f32 v58, v78, v66, -v58
	v_fmac_f32_e32 v60, v79, v66
	v_add_f32_e32 v54, v54, v58
	v_add_f32_e32 v56, v56, v60
	v_mul_f32_e32 v58, v79, v69
	v_mul_f32_e32 v60, v78, v69
	v_fma_f32 v58, v78, v68, -v58
	v_fmac_f32_e32 v60, v79, v68
	v_add_f32_e32 v52, v52, v58
	v_add_f32_e32 v50, v50, v60
	s_waitcnt lgkmcnt(0)
	v_mul_f32_e32 v58, v11, v71
	v_mul_f32_e32 v60, v10, v71
	v_fma_f32 v58, v10, v70, -v58
	v_fmac_f32_e32 v60, v11, v70
	v_add_f32_e32 v35, v35, v58
	v_add_f32_e32 v58, v62, v60
	v_mul_f32_e32 v60, v11, v73
	v_fma_f32 v60, v10, v72, -v60
	v_mul_f32_e32 v10, v10, v73
	v_fmac_f32_e32 v10, v11, v72
	v_add_f32_e32 v62, v8, v10
	v_mul_f32_e32 v8, v81, v71
	v_add_f32_e32 v60, v9, v60
	v_fma_f32 v8, v80, v70, -v8
	v_mul_f32_e32 v9, v80, v71
	v_fmac_f32_e32 v9, v81, v70
	v_add_f32_e32 v54, v54, v8
	v_mul_f32_e32 v8, v81, v73
	v_add_f32_e32 v56, v56, v9
	v_fma_f32 v64, v80, v72, -v8
	ds_read2_b64 v[8:11], v53 offset0:128 offset1:144
	v_mul_f32_e32 v66, v80, v73
	v_fmac_f32_e32 v66, v81, v72
	v_add_f32_e32 v50, v50, v66
	v_add_f32_e32 v52, v52, v64
	s_waitcnt lgkmcnt(0)
	v_mul_f32_e32 v66, v4, v9
	v_fmac_f32_e32 v66, v5, v8
	v_add_f32_e32 v58, v58, v66
	ds_read_b128 v[66:69], v57 offset:4128
	ds_read_b128 v[70:73], v57 offset:4144
	v_mul_f32_e32 v64, v5, v9
	v_fma_f32 v64, v4, v8, -v64
	v_add_f32_e32 v35, v35, v64
	v_mul_f32_e32 v64, v5, v11
	v_fma_f32 v64, v4, v10, -v64
	v_mul_f32_e32 v4, v4, v11
	ds_read2_b64 v[74:77], v53 offset0:160 offset1:176
	v_fmac_f32_e32 v4, v5, v10
	v_add_f32_e32 v5, v60, v64
	s_waitcnt lgkmcnt(2)
	v_mul_f32_e32 v60, v67, v9
	v_fma_f32 v60, v66, v8, -v60
	v_mul_f32_e32 v9, v66, v9
	v_fmac_f32_e32 v9, v67, v8
	v_add_f32_e32 v8, v54, v60
	v_mul_f32_e32 v54, v67, v11
	v_mul_f32_e32 v11, v66, v11
	v_fma_f32 v54, v66, v10, -v54
	v_fmac_f32_e32 v11, v67, v10
	v_add_f32_e32 v10, v52, v54
	v_add_f32_e32 v11, v50, v11
	s_waitcnt lgkmcnt(0)
	v_mul_f32_e32 v50, v7, v75
	v_mul_f32_e32 v52, v6, v75
	v_fma_f32 v50, v6, v74, -v50
	v_fmac_f32_e32 v52, v7, v74
	v_add_f32_e32 v35, v35, v50
	v_add_f32_e32 v50, v58, v52
	v_mul_f32_e32 v52, v7, v77
	v_fma_f32 v52, v6, v76, -v52
	v_mul_f32_e32 v6, v6, v77
	v_add_f32_e32 v4, v62, v4
	v_fmac_f32_e32 v6, v7, v76
	v_add_f32_e32 v54, v4, v6
	v_mul_f32_e32 v4, v69, v75
	v_add_f32_e32 v52, v5, v52
	v_fma_f32 v4, v68, v74, -v4
	v_mul_f32_e32 v5, v68, v75
	v_add_f32_e32 v9, v56, v9
	v_fmac_f32_e32 v5, v69, v74
	v_add_f32_e32 v8, v8, v4
	v_mul_f32_e32 v4, v69, v77
	v_add_f32_e32 v9, v9, v5
	v_fma_f32 v56, v68, v76, -v4
	ds_read2_b64 v[4:7], v53 offset0:192 offset1:208
	v_add_f32_e32 v56, v10, v56
	v_mul_f32_e32 v58, v68, v77
	v_fmac_f32_e32 v58, v69, v76
	v_add_f32_e32 v58, v11, v58
	s_waitcnt lgkmcnt(0)
	v_mul_f32_e32 v10, v1, v5
	v_fma_f32 v10, v0, v4, -v10
	v_add_f32_e32 v35, v35, v10
	v_mul_f32_e32 v10, v1, v7
	v_mul_f32_e32 v11, v0, v5
	v_fma_f32 v10, v0, v6, -v10
	v_mul_f32_e32 v0, v0, v7
	v_fmac_f32_e32 v11, v1, v4
	v_fmac_f32_e32 v0, v1, v6
	v_add_f32_e32 v1, v52, v10
	v_mul_f32_e32 v10, v71, v5
	v_fma_f32 v10, v70, v4, -v10
	v_mul_f32_e32 v5, v70, v5
	v_fmac_f32_e32 v5, v71, v4
	v_add_f32_e32 v4, v8, v10
	v_mul_f32_e32 v8, v71, v7
	v_add_f32_e32 v50, v50, v11
	v_add_f32_e32 v5, v9, v5
	v_fma_f32 v52, v70, v6, -v8
	ds_read2_b64 v[8:11], v53 offset0:224 offset1:240
	v_mul_f32_e32 v7, v70, v7
	v_fmac_f32_e32 v7, v71, v6
	v_add_f32_e32 v0, v54, v0
	v_add_f32_e32 v54, v58, v7
	s_waitcnt lgkmcnt(0)
	v_mul_f32_e32 v6, v3, v9
	v_fma_f32 v6, v2, v8, -v6
	v_add_f32_e32 v35, v35, v6
	v_mul_f32_e32 v6, v3, v11
	v_mul_f32_e32 v7, v2, v9
	v_fma_f32 v6, v2, v10, -v6
	v_mul_f32_e32 v2, v2, v11
	v_fmac_f32_e32 v2, v3, v10
	v_add_f32_e32 v58, v0, v2
	v_mul_f32_e32 v0, v73, v9
	v_add_f32_e32 v52, v56, v52
	v_add_f32_e32 v56, v1, v6
	v_fma_f32 v0, v72, v8, -v0
	v_mul_f32_e32 v1, v72, v9
	v_fmac_f32_e32 v7, v3, v8
	v_fmac_f32_e32 v1, v73, v8
	v_add_f32_e32 v60, v4, v0
	v_mul_f32_e32 v0, v73, v11
	v_add_f32_e32 v50, v50, v7
	v_add_f32_e32 v62, v5, v1
	v_fma_f32 v8, v72, v10, -v0
	ds_read_b128 v[0:3], v57 offset:64
	ds_read2_b64 v[4:7], v61 offset1:16
	v_mul_f32_e32 v9, v72, v11
	v_fmac_f32_e32 v9, v73, v10
	v_add_f32_e32 v52, v52, v8
	v_add_f32_e32 v54, v54, v9
	s_waitcnt lgkmcnt(0)
	v_mul_f32_e32 v66, v0, v5
	v_fmac_f32_e32 v66, v1, v4
	ds_read_b128 v[8:11], v57 offset:80
	v_add_f32_e32 v50, v50, v66
	ds_read_b128 v[66:69], v57 offset:4160
	v_mul_f32_e32 v64, v1, v5
	v_fma_f32 v64, v0, v4, -v64
	v_add_f32_e32 v35, v35, v64
	v_mul_f32_e32 v64, v1, v7
	v_fma_f32 v64, v0, v6, -v64
	v_mul_f32_e32 v0, v0, v7
	ds_read2_b64 v[74:77], v61 offset0:32 offset1:48
	v_fmac_f32_e32 v0, v1, v6
	v_add_f32_e32 v1, v56, v64
	s_waitcnt lgkmcnt(1)
	v_mul_f32_e32 v56, v67, v5
	v_fma_f32 v56, v66, v4, -v56
	v_mul_f32_e32 v5, v66, v5
	v_fmac_f32_e32 v5, v67, v4
	v_add_f32_e32 v4, v60, v56
	v_mul_f32_e32 v56, v67, v7
	v_fma_f32 v56, v66, v6, -v56
	v_mul_f32_e32 v7, v66, v7
	v_fmac_f32_e32 v7, v67, v6
	v_add_f32_e32 v6, v52, v56
	s_waitcnt lgkmcnt(0)
	v_mul_f32_e32 v52, v3, v75
	v_fma_f32 v52, v2, v74, -v52
	v_add_f32_e32 v35, v35, v52
	v_mul_f32_e32 v52, v3, v77
	v_add_f32_e32 v7, v54, v7
	v_mul_f32_e32 v54, v2, v75
	v_fma_f32 v52, v2, v76, -v52
	v_mul_f32_e32 v2, v2, v77
	v_add_f32_e32 v0, v58, v0
	v_fmac_f32_e32 v54, v3, v74
	v_fmac_f32_e32 v2, v3, v76
	v_add_f32_e32 v50, v50, v54
	v_add_f32_e32 v54, v0, v2
	v_mul_f32_e32 v0, v69, v75
	v_add_f32_e32 v52, v1, v52
	v_fma_f32 v0, v68, v74, -v0
	v_mul_f32_e32 v1, v68, v75
	v_add_f32_e32 v5, v62, v5
	v_fmac_f32_e32 v1, v69, v74
	v_add_f32_e32 v4, v4, v0
	v_mul_f32_e32 v0, v69, v77
	v_add_f32_e32 v5, v5, v1
	v_fma_f32 v56, v68, v76, -v0
	ds_read2_b64 v[0:3], v61 offset0:64 offset1:80
	ds_read_b128 v[70:73], v57 offset:4176
	v_mul_f32_e32 v58, v68, v77
	v_add_f32_e32 v56, v6, v56
	v_fmac_f32_e32 v58, v69, v76
	s_waitcnt lgkmcnt(1)
	v_mul_f32_e32 v6, v9, v1
	v_fma_f32 v6, v8, v0, -v6
	v_add_f32_e32 v58, v7, v58
	v_mul_f32_e32 v7, v8, v1
	v_add_f32_e32 v35, v35, v6
	v_mul_f32_e32 v6, v9, v3
	v_fmac_f32_e32 v7, v9, v0
	v_fma_f32 v6, v8, v2, -v6
	v_add_f32_e32 v50, v50, v7
	v_mul_f32_e32 v7, v8, v3
	v_add_f32_e32 v8, v52, v6
	s_waitcnt lgkmcnt(0)
	v_mul_f32_e32 v6, v71, v1
	v_fma_f32 v6, v70, v0, -v6
	v_mul_f32_e32 v1, v70, v1
	v_fmac_f32_e32 v7, v9, v2
	v_fmac_f32_e32 v1, v71, v0
	v_add_f32_e32 v0, v4, v6
	v_mul_f32_e32 v4, v71, v3
	v_add_f32_e32 v9, v54, v7
	v_add_f32_e32 v1, v5, v1
	v_fma_f32 v52, v70, v2, -v4
	ds_read2_b64 v[4:7], v61 offset0:96 offset1:112
	v_mul_f32_e32 v3, v70, v3
	v_fmac_f32_e32 v3, v71, v2
	v_add_f32_e32 v54, v58, v3
	v_add_f32_e32 v52, v56, v52
	s_waitcnt lgkmcnt(0)
	v_mul_f32_e32 v2, v11, v5
	v_fma_f32 v2, v10, v4, -v2
	v_mul_f32_e32 v3, v10, v5
	v_fmac_f32_e32 v3, v11, v4
	v_add_f32_e32 v35, v35, v2
	v_mul_f32_e32 v2, v11, v7
	v_add_f32_e32 v50, v50, v3
	v_fma_f32 v2, v10, v6, -v2
	v_mul_f32_e32 v3, v10, v7
	v_fmac_f32_e32 v3, v11, v6
	v_add_f32_e32 v56, v8, v2
	v_mul_f32_e32 v2, v73, v5
	v_add_f32_e32 v58, v9, v3
	v_fma_f32 v2, v72, v4, -v2
	v_mul_f32_e32 v3, v72, v5
	v_fmac_f32_e32 v3, v73, v4
	v_add_f32_e32 v60, v0, v2
	v_mul_f32_e32 v0, v73, v7
	v_add_f32_e32 v62, v1, v3
	v_fma_f32 v4, v72, v6, -v0
	ds_read_b128 v[0:3], v57 offset:96
	ds_read2_b64 v[8:11], v61 offset0:128 offset1:144
	v_mul_f32_e32 v5, v72, v7
	v_fmac_f32_e32 v5, v73, v6
	v_add_f32_e32 v52, v52, v4
	v_add_f32_e32 v54, v54, v5
	s_waitcnt lgkmcnt(0)
	v_mul_f32_e32 v66, v0, v9
	v_fmac_f32_e32 v66, v1, v8
	ds_read_b128 v[4:7], v57 offset:112
	v_add_f32_e32 v50, v50, v66
	ds_read_b128 v[66:69], v57 offset:4192
	v_mul_f32_e32 v64, v1, v9
	v_fma_f32 v64, v0, v8, -v64
	v_add_f32_e32 v35, v35, v64
	v_mul_f32_e32 v64, v1, v11
	v_fma_f32 v64, v0, v10, -v64
	v_mul_f32_e32 v0, v0, v11
	ds_read2_b64 v[74:77], v61 offset0:160 offset1:176
	v_fmac_f32_e32 v0, v1, v10
	v_add_f32_e32 v1, v56, v64
	s_waitcnt lgkmcnt(1)
	v_mul_f32_e32 v56, v67, v9
	v_fma_f32 v56, v66, v8, -v56
	v_mul_f32_e32 v9, v66, v9
	v_fmac_f32_e32 v9, v67, v8
	v_add_f32_e32 v8, v60, v56
	v_mul_f32_e32 v56, v67, v11
	v_fma_f32 v56, v66, v10, -v56
	v_mul_f32_e32 v11, v66, v11
	v_fmac_f32_e32 v11, v67, v10
	v_add_f32_e32 v10, v52, v56
	s_waitcnt lgkmcnt(0)
	v_mul_f32_e32 v52, v3, v75
	v_fma_f32 v52, v2, v74, -v52
	v_add_f32_e32 v35, v35, v52
	v_mul_f32_e32 v52, v3, v77
	v_add_f32_e32 v11, v54, v11
	v_mul_f32_e32 v54, v2, v75
	v_fma_f32 v52, v2, v76, -v52
	v_mul_f32_e32 v2, v2, v77
	v_add_f32_e32 v0, v58, v0
	v_fmac_f32_e32 v54, v3, v74
	v_fmac_f32_e32 v2, v3, v76
	v_add_f32_e32 v50, v50, v54
	v_add_f32_e32 v54, v0, v2
	v_mul_f32_e32 v0, v69, v75
	v_add_f32_e32 v52, v1, v52
	v_fma_f32 v0, v68, v74, -v0
	v_mul_f32_e32 v1, v68, v75
	v_add_f32_e32 v9, v62, v9
	v_fmac_f32_e32 v1, v69, v74
	v_add_f32_e32 v8, v8, v0
	v_mul_f32_e32 v0, v69, v77
	v_add_f32_e32 v9, v9, v1
	v_fma_f32 v56, v68, v76, -v0
	ds_read2_b64 v[0:3], v61 offset0:192 offset1:208
	ds_read_b128 v[70:73], v57 offset:4208
	v_add_f32_e32 v56, v10, v56
	v_mul_f32_e32 v58, v68, v77
	v_fmac_f32_e32 v58, v69, v76
	s_waitcnt lgkmcnt(1)
	v_mul_f32_e32 v10, v5, v1
	v_fma_f32 v10, v4, v0, -v10
	v_add_f32_e32 v35, v35, v10
	v_mul_f32_e32 v10, v5, v3
	v_add_f32_e32 v58, v11, v58
	v_mul_f32_e32 v11, v4, v1
	v_fma_f32 v10, v4, v2, -v10
	v_mul_f32_e32 v4, v4, v3
	v_fmac_f32_e32 v11, v5, v0
	v_fmac_f32_e32 v4, v5, v2
	v_add_f32_e32 v5, v52, v10
	s_waitcnt lgkmcnt(0)
	v_mul_f32_e32 v10, v71, v1
	v_fma_f32 v10, v70, v0, -v10
	v_mul_f32_e32 v1, v70, v1
	v_fmac_f32_e32 v1, v71, v0
	v_add_f32_e32 v0, v8, v10
	v_mul_f32_e32 v8, v71, v3
	v_add_f32_e32 v50, v50, v11
	v_add_f32_e32 v1, v9, v1
	v_fma_f32 v52, v70, v2, -v8
	ds_read2_b64 v[8:11], v61 offset0:224 offset1:240
	v_mul_f32_e32 v3, v70, v3
	v_fmac_f32_e32 v3, v71, v2
	v_add_f32_e32 v4, v54, v4
	v_add_f32_e32 v54, v58, v3
	s_waitcnt lgkmcnt(0)
	v_mul_f32_e32 v2, v7, v9
	v_fma_f32 v2, v6, v8, -v2
	v_mul_f32_e32 v3, v6, v9
	v_fmac_f32_e32 v3, v7, v8
	v_add_f32_e32 v35, v35, v2
	v_mul_f32_e32 v2, v7, v11
	v_add_f32_e32 v50, v50, v3
	v_fma_f32 v2, v6, v10, -v2
	v_mul_f32_e32 v3, v6, v11
	v_add_f32_e32 v52, v56, v52
	v_fmac_f32_e32 v3, v7, v10
	v_add_f32_e32 v56, v5, v2
	v_mul_f32_e32 v2, v73, v9
	v_add_f32_e32 v58, v4, v3
	v_fma_f32 v2, v72, v8, -v2
	v_mul_f32_e32 v3, v72, v9
	v_fmac_f32_e32 v3, v73, v8
	v_add_f32_e32 v60, v0, v2
	v_mul_f32_e32 v0, v73, v11
	v_add_f32_e32 v62, v1, v3
	v_fma_f32 v8, v72, v10, -v0
	ds_read_b128 v[0:3], v57 offset:128
	ds_read2_b64 v[4:7], v63 offset1:16
	v_mul_f32_e32 v9, v72, v11
	v_fmac_f32_e32 v9, v73, v10
	v_add_f32_e32 v52, v52, v8
	v_add_f32_e32 v54, v54, v9
	s_waitcnt lgkmcnt(0)
	v_mul_f32_e32 v66, v0, v5
	v_fmac_f32_e32 v66, v1, v4
	ds_read_b128 v[8:11], v57 offset:144
	v_add_f32_e32 v50, v50, v66
	ds_read_b128 v[66:69], v57 offset:4224
	v_mul_f32_e32 v64, v1, v5
	v_fma_f32 v64, v0, v4, -v64
	v_add_f32_e32 v35, v35, v64
	v_mul_f32_e32 v64, v1, v7
	v_fma_f32 v64, v0, v6, -v64
	v_mul_f32_e32 v0, v0, v7
	ds_read2_b64 v[74:77], v63 offset0:32 offset1:48
	v_fmac_f32_e32 v0, v1, v6
	v_add_f32_e32 v1, v56, v64
	s_waitcnt lgkmcnt(1)
	v_mul_f32_e32 v56, v67, v5
	v_fma_f32 v56, v66, v4, -v56
	v_mul_f32_e32 v5, v66, v5
	v_fmac_f32_e32 v5, v67, v4
	v_add_f32_e32 v4, v60, v56
	v_mul_f32_e32 v56, v67, v7
	v_fma_f32 v56, v66, v6, -v56
	v_mul_f32_e32 v7, v66, v7
	v_fmac_f32_e32 v7, v67, v6
	v_add_f32_e32 v6, v52, v56
	s_waitcnt lgkmcnt(0)
	v_mul_f32_e32 v52, v3, v75
	v_fma_f32 v52, v2, v74, -v52
	v_add_f32_e32 v35, v35, v52
	v_mul_f32_e32 v52, v3, v77
	v_add_f32_e32 v7, v54, v7
	v_mul_f32_e32 v54, v2, v75
	v_fma_f32 v52, v2, v76, -v52
	v_mul_f32_e32 v2, v2, v77
	v_add_f32_e32 v0, v58, v0
	v_fmac_f32_e32 v54, v3, v74
	v_fmac_f32_e32 v2, v3, v76
	v_add_f32_e32 v50, v50, v54
	v_add_f32_e32 v54, v0, v2
	v_mul_f32_e32 v0, v69, v75
	v_add_f32_e32 v52, v1, v52
	v_fma_f32 v0, v68, v74, -v0
	v_mul_f32_e32 v1, v68, v75
	v_add_f32_e32 v5, v62, v5
	v_fmac_f32_e32 v1, v69, v74
	v_add_f32_e32 v4, v4, v0
	v_mul_f32_e32 v0, v69, v77
	v_add_f32_e32 v5, v5, v1
	v_fma_f32 v56, v68, v76, -v0
	ds_read2_b64 v[0:3], v63 offset0:64 offset1:80
	ds_read_b128 v[70:73], v57 offset:4240
	v_mul_f32_e32 v58, v68, v77
	v_add_f32_e32 v56, v6, v56
	v_fmac_f32_e32 v58, v69, v76
	s_waitcnt lgkmcnt(1)
	v_mul_f32_e32 v6, v9, v1
	v_fma_f32 v6, v8, v0, -v6
	v_add_f32_e32 v58, v7, v58
	v_mul_f32_e32 v7, v8, v1
	v_add_f32_e32 v35, v35, v6
	v_mul_f32_e32 v6, v9, v3
	v_fmac_f32_e32 v7, v9, v0
	v_fma_f32 v6, v8, v2, -v6
	v_add_f32_e32 v50, v50, v7
	v_mul_f32_e32 v7, v8, v3
	v_add_f32_e32 v8, v52, v6
	s_waitcnt lgkmcnt(0)
	v_mul_f32_e32 v6, v71, v1
	v_fma_f32 v6, v70, v0, -v6
	v_mul_f32_e32 v1, v70, v1
	v_fmac_f32_e32 v7, v9, v2
	v_fmac_f32_e32 v1, v71, v0
	v_add_f32_e32 v0, v4, v6
	v_mul_f32_e32 v4, v71, v3
	v_add_f32_e32 v9, v54, v7
	v_add_f32_e32 v1, v5, v1
	v_fma_f32 v52, v70, v2, -v4
	ds_read2_b64 v[4:7], v63 offset0:96 offset1:112
	v_mul_f32_e32 v3, v70, v3
	v_fmac_f32_e32 v3, v71, v2
	v_add_f32_e32 v54, v58, v3
	v_add_f32_e32 v52, v56, v52
	s_waitcnt lgkmcnt(0)
	v_mul_f32_e32 v2, v11, v5
	v_fma_f32 v2, v10, v4, -v2
	v_mul_f32_e32 v3, v10, v5
	v_fmac_f32_e32 v3, v11, v4
	v_add_f32_e32 v35, v35, v2
	v_mul_f32_e32 v2, v11, v7
	v_add_f32_e32 v50, v50, v3
	v_fma_f32 v2, v10, v6, -v2
	v_mul_f32_e32 v3, v10, v7
	v_fmac_f32_e32 v3, v11, v6
	v_add_f32_e32 v56, v8, v2
	v_mul_f32_e32 v2, v73, v5
	v_add_f32_e32 v58, v9, v3
	;; [unrolled: 6-line block ×3, first 2 shown]
	v_fma_f32 v4, v72, v6, -v0
	ds_read_b128 v[0:3], v57 offset:160
	ds_read2_b64 v[8:11], v63 offset0:128 offset1:144
	v_mul_f32_e32 v5, v72, v7
	v_fmac_f32_e32 v5, v73, v6
	v_add_f32_e32 v52, v52, v4
	v_add_f32_e32 v54, v54, v5
	s_waitcnt lgkmcnt(0)
	v_mul_f32_e32 v66, v0, v9
	v_fmac_f32_e32 v66, v1, v8
	ds_read_b128 v[4:7], v57 offset:176
	v_add_f32_e32 v50, v50, v66
	ds_read_b128 v[66:69], v57 offset:4256
	v_mul_f32_e32 v64, v1, v9
	v_fma_f32 v64, v0, v8, -v64
	v_add_f32_e32 v35, v35, v64
	v_mul_f32_e32 v64, v1, v11
	v_fma_f32 v64, v0, v10, -v64
	v_mul_f32_e32 v0, v0, v11
	ds_read2_b64 v[74:77], v63 offset0:160 offset1:176
	v_fmac_f32_e32 v0, v1, v10
	v_add_f32_e32 v1, v56, v64
	s_waitcnt lgkmcnt(1)
	v_mul_f32_e32 v56, v67, v9
	v_fma_f32 v56, v66, v8, -v56
	v_mul_f32_e32 v9, v66, v9
	v_fmac_f32_e32 v9, v67, v8
	v_add_f32_e32 v8, v60, v56
	v_mul_f32_e32 v56, v67, v11
	v_fma_f32 v56, v66, v10, -v56
	v_mul_f32_e32 v11, v66, v11
	v_fmac_f32_e32 v11, v67, v10
	v_add_f32_e32 v10, v52, v56
	s_waitcnt lgkmcnt(0)
	v_mul_f32_e32 v52, v3, v75
	v_fma_f32 v52, v2, v74, -v52
	v_add_f32_e32 v35, v35, v52
	v_mul_f32_e32 v52, v3, v77
	v_add_f32_e32 v11, v54, v11
	v_mul_f32_e32 v54, v2, v75
	v_fma_f32 v52, v2, v76, -v52
	v_mul_f32_e32 v2, v2, v77
	v_add_f32_e32 v0, v58, v0
	v_fmac_f32_e32 v54, v3, v74
	v_fmac_f32_e32 v2, v3, v76
	v_add_f32_e32 v50, v50, v54
	v_add_f32_e32 v54, v0, v2
	v_mul_f32_e32 v0, v69, v75
	v_add_f32_e32 v52, v1, v52
	v_fma_f32 v0, v68, v74, -v0
	v_mul_f32_e32 v1, v68, v75
	v_add_f32_e32 v9, v62, v9
	v_fmac_f32_e32 v1, v69, v74
	v_add_f32_e32 v8, v8, v0
	v_mul_f32_e32 v0, v69, v77
	v_add_f32_e32 v9, v9, v1
	v_fma_f32 v56, v68, v76, -v0
	ds_read2_b64 v[0:3], v63 offset0:192 offset1:208
	ds_read_b128 v[70:73], v57 offset:4272
	v_add_f32_e32 v56, v10, v56
	v_mul_f32_e32 v58, v68, v77
	v_fmac_f32_e32 v58, v69, v76
	s_waitcnt lgkmcnt(1)
	v_mul_f32_e32 v10, v5, v1
	v_fma_f32 v10, v4, v0, -v10
	v_add_f32_e32 v35, v35, v10
	v_mul_f32_e32 v10, v5, v3
	v_add_f32_e32 v58, v11, v58
	v_mul_f32_e32 v11, v4, v1
	v_fma_f32 v10, v4, v2, -v10
	v_mul_f32_e32 v4, v4, v3
	v_fmac_f32_e32 v11, v5, v0
	v_fmac_f32_e32 v4, v5, v2
	v_add_f32_e32 v5, v52, v10
	s_waitcnt lgkmcnt(0)
	v_mul_f32_e32 v10, v71, v1
	v_fma_f32 v10, v70, v0, -v10
	v_mul_f32_e32 v1, v70, v1
	v_fmac_f32_e32 v1, v71, v0
	v_add_f32_e32 v0, v8, v10
	v_mul_f32_e32 v8, v71, v3
	v_add_f32_e32 v50, v50, v11
	v_add_f32_e32 v1, v9, v1
	v_fma_f32 v52, v70, v2, -v8
	ds_read2_b64 v[8:11], v63 offset0:224 offset1:240
	v_mul_f32_e32 v3, v70, v3
	v_fmac_f32_e32 v3, v71, v2
	v_add_f32_e32 v4, v54, v4
	v_add_f32_e32 v54, v58, v3
	s_waitcnt lgkmcnt(0)
	v_mul_f32_e32 v2, v7, v9
	v_fma_f32 v2, v6, v8, -v2
	v_mul_f32_e32 v3, v6, v9
	v_fmac_f32_e32 v3, v7, v8
	v_add_f32_e32 v35, v35, v2
	v_mul_f32_e32 v2, v7, v11
	v_add_f32_e32 v50, v50, v3
	v_fma_f32 v2, v6, v10, -v2
	v_mul_f32_e32 v3, v6, v11
	v_add_f32_e32 v52, v56, v52
	v_fmac_f32_e32 v3, v7, v10
	v_add_f32_e32 v56, v5, v2
	v_mul_f32_e32 v2, v73, v9
	v_add_f32_e32 v58, v4, v3
	v_fma_f32 v2, v72, v8, -v2
	v_mul_f32_e32 v3, v72, v9
	v_fmac_f32_e32 v3, v73, v8
	v_add_f32_e32 v60, v0, v2
	v_mul_f32_e32 v0, v73, v11
	v_add_f32_e32 v62, v1, v3
	v_fma_f32 v8, v72, v10, -v0
	ds_read_b128 v[0:3], v57 offset:192
	ds_read2_b64 v[4:7], v65 offset1:16
	v_mul_f32_e32 v9, v72, v11
	v_fmac_f32_e32 v9, v73, v10
	v_add_f32_e32 v52, v52, v8
	v_add_f32_e32 v54, v54, v9
	s_waitcnt lgkmcnt(0)
	v_mul_f32_e32 v66, v0, v5
	v_fmac_f32_e32 v66, v1, v4
	ds_read_b128 v[8:11], v57 offset:208
	v_add_f32_e32 v50, v50, v66
	ds_read_b128 v[66:69], v57 offset:4288
	v_mul_f32_e32 v64, v1, v5
	v_fma_f32 v64, v0, v4, -v64
	v_add_f32_e32 v35, v35, v64
	v_mul_f32_e32 v64, v1, v7
	v_fma_f32 v64, v0, v6, -v64
	v_mul_f32_e32 v0, v0, v7
	ds_read2_b64 v[74:77], v65 offset0:32 offset1:48
	v_fmac_f32_e32 v0, v1, v6
	v_add_f32_e32 v1, v56, v64
	s_waitcnt lgkmcnt(1)
	v_mul_f32_e32 v56, v67, v5
	v_fma_f32 v56, v66, v4, -v56
	v_mul_f32_e32 v5, v66, v5
	v_fmac_f32_e32 v5, v67, v4
	v_add_f32_e32 v4, v60, v56
	v_mul_f32_e32 v56, v67, v7
	v_fma_f32 v56, v66, v6, -v56
	v_mul_f32_e32 v7, v66, v7
	v_fmac_f32_e32 v7, v67, v6
	v_add_f32_e32 v6, v52, v56
	s_waitcnt lgkmcnt(0)
	v_mul_f32_e32 v52, v3, v75
	v_fma_f32 v52, v2, v74, -v52
	v_add_f32_e32 v35, v35, v52
	v_mul_f32_e32 v52, v3, v77
	v_add_f32_e32 v7, v54, v7
	v_mul_f32_e32 v54, v2, v75
	v_fma_f32 v52, v2, v76, -v52
	v_mul_f32_e32 v2, v2, v77
	v_add_f32_e32 v0, v58, v0
	v_fmac_f32_e32 v54, v3, v74
	v_fmac_f32_e32 v2, v3, v76
	v_add_f32_e32 v50, v50, v54
	v_add_f32_e32 v54, v0, v2
	v_mul_f32_e32 v0, v69, v75
	v_add_f32_e32 v52, v1, v52
	v_fma_f32 v0, v68, v74, -v0
	v_mul_f32_e32 v1, v68, v75
	v_add_f32_e32 v5, v62, v5
	v_fmac_f32_e32 v1, v69, v74
	v_add_f32_e32 v4, v4, v0
	v_mul_f32_e32 v0, v69, v77
	v_add_f32_e32 v5, v5, v1
	v_fma_f32 v56, v68, v76, -v0
	ds_read2_b64 v[0:3], v65 offset0:64 offset1:80
	ds_read_b128 v[70:73], v57 offset:4304
	v_mul_f32_e32 v58, v68, v77
	v_add_f32_e32 v56, v6, v56
	v_fmac_f32_e32 v58, v69, v76
	s_waitcnt lgkmcnt(1)
	v_mul_f32_e32 v6, v9, v1
	v_fma_f32 v6, v8, v0, -v6
	v_add_f32_e32 v58, v7, v58
	v_mul_f32_e32 v7, v8, v1
	v_add_f32_e32 v35, v35, v6
	v_mul_f32_e32 v6, v9, v3
	v_fmac_f32_e32 v7, v9, v0
	v_fma_f32 v6, v8, v2, -v6
	v_add_f32_e32 v50, v50, v7
	v_mul_f32_e32 v7, v8, v3
	v_add_f32_e32 v8, v52, v6
	s_waitcnt lgkmcnt(0)
	v_mul_f32_e32 v6, v71, v1
	v_fma_f32 v6, v70, v0, -v6
	v_mul_f32_e32 v1, v70, v1
	v_fmac_f32_e32 v7, v9, v2
	v_fmac_f32_e32 v1, v71, v0
	v_add_f32_e32 v0, v4, v6
	v_mul_f32_e32 v4, v71, v3
	v_add_f32_e32 v9, v54, v7
	v_add_f32_e32 v1, v5, v1
	v_fma_f32 v52, v70, v2, -v4
	ds_read2_b64 v[4:7], v65 offset0:96 offset1:112
	v_mul_f32_e32 v3, v70, v3
	v_fmac_f32_e32 v3, v71, v2
	v_add_f32_e32 v54, v58, v3
	v_add_f32_e32 v52, v56, v52
	s_waitcnt lgkmcnt(0)
	v_mul_f32_e32 v2, v11, v5
	v_fma_f32 v2, v10, v4, -v2
	v_mul_f32_e32 v3, v10, v5
	v_fmac_f32_e32 v3, v11, v4
	v_add_f32_e32 v35, v35, v2
	v_mul_f32_e32 v2, v11, v7
	v_add_f32_e32 v50, v50, v3
	v_fma_f32 v2, v10, v6, -v2
	v_mul_f32_e32 v3, v10, v7
	v_fmac_f32_e32 v3, v11, v6
	v_add_f32_e32 v56, v8, v2
	v_mul_f32_e32 v2, v73, v5
	v_add_f32_e32 v58, v9, v3
	;; [unrolled: 6-line block ×3, first 2 shown]
	v_fma_f32 v4, v72, v6, -v0
	ds_read_b128 v[0:3], v57 offset:224
	ds_read2_b64 v[8:11], v65 offset0:128 offset1:144
	v_mul_f32_e32 v5, v72, v7
	v_fmac_f32_e32 v5, v73, v6
	v_add_f32_e32 v52, v52, v4
	v_add_f32_e32 v54, v54, v5
	s_waitcnt lgkmcnt(0)
	v_mul_f32_e32 v66, v0, v9
	v_fmac_f32_e32 v66, v1, v8
	ds_read_b128 v[4:7], v57 offset:240
	v_add_f32_e32 v50, v50, v66
	ds_read_b128 v[66:69], v57 offset:4320
	v_mul_f32_e32 v64, v1, v9
	v_fma_f32 v64, v0, v8, -v64
	v_add_f32_e32 v35, v35, v64
	v_mul_f32_e32 v64, v1, v11
	v_fma_f32 v64, v0, v10, -v64
	v_mul_f32_e32 v0, v0, v11
	ds_read2_b64 v[74:77], v65 offset0:160 offset1:176
	v_fmac_f32_e32 v0, v1, v10
	v_add_f32_e32 v1, v56, v64
	s_waitcnt lgkmcnt(1)
	v_mul_f32_e32 v56, v67, v9
	v_fma_f32 v56, v66, v8, -v56
	v_mul_f32_e32 v9, v66, v9
	v_fmac_f32_e32 v9, v67, v8
	v_add_f32_e32 v8, v60, v56
	v_mul_f32_e32 v56, v67, v11
	v_fma_f32 v56, v66, v10, -v56
	v_mul_f32_e32 v11, v66, v11
	v_fmac_f32_e32 v11, v67, v10
	v_add_f32_e32 v10, v52, v56
	s_waitcnt lgkmcnt(0)
	v_mul_f32_e32 v52, v3, v75
	v_fma_f32 v52, v2, v74, -v52
	v_add_f32_e32 v35, v35, v52
	v_mul_f32_e32 v52, v3, v77
	v_add_f32_e32 v11, v54, v11
	v_mul_f32_e32 v54, v2, v75
	v_fma_f32 v52, v2, v76, -v52
	v_mul_f32_e32 v2, v2, v77
	v_add_f32_e32 v0, v58, v0
	v_fmac_f32_e32 v54, v3, v74
	v_fmac_f32_e32 v2, v3, v76
	v_add_f32_e32 v50, v50, v54
	v_add_f32_e32 v54, v0, v2
	v_mul_f32_e32 v0, v69, v75
	v_add_f32_e32 v52, v1, v52
	v_fma_f32 v0, v68, v74, -v0
	v_mul_f32_e32 v1, v68, v75
	v_add_f32_e32 v9, v62, v9
	v_fmac_f32_e32 v1, v69, v74
	v_add_f32_e32 v8, v8, v0
	v_mul_f32_e32 v0, v69, v77
	v_add_f32_e32 v9, v9, v1
	v_fma_f32 v56, v68, v76, -v0
	ds_read2_b64 v[0:3], v65 offset0:192 offset1:208
	ds_read_b128 v[70:73], v57 offset:4336
	v_add_f32_e32 v56, v10, v56
	v_mul_f32_e32 v58, v68, v77
	v_fmac_f32_e32 v58, v69, v76
	s_waitcnt lgkmcnt(1)
	v_mul_f32_e32 v10, v5, v1
	v_fma_f32 v10, v4, v0, -v10
	v_add_f32_e32 v35, v35, v10
	v_mul_f32_e32 v10, v5, v3
	v_add_f32_e32 v58, v11, v58
	v_mul_f32_e32 v11, v4, v1
	v_fma_f32 v10, v4, v2, -v10
	v_mul_f32_e32 v4, v4, v3
	v_fmac_f32_e32 v11, v5, v0
	v_fmac_f32_e32 v4, v5, v2
	v_add_f32_e32 v5, v52, v10
	s_waitcnt lgkmcnt(0)
	v_mul_f32_e32 v10, v71, v1
	v_fma_f32 v10, v70, v0, -v10
	v_mul_f32_e32 v1, v70, v1
	v_fmac_f32_e32 v1, v71, v0
	v_add_f32_e32 v0, v8, v10
	v_mul_f32_e32 v8, v71, v3
	v_add_f32_e32 v50, v50, v11
	v_add_f32_e32 v1, v9, v1
	v_fma_f32 v52, v70, v2, -v8
	ds_read2_b64 v[8:11], v65 offset0:224 offset1:240
	v_mul_f32_e32 v3, v70, v3
	v_fmac_f32_e32 v3, v71, v2
	v_add_f32_e32 v2, v56, v52
	v_add_f32_e32 v4, v54, v4
	s_waitcnt lgkmcnt(0)
	v_mul_f32_e32 v52, v7, v9
	v_fma_f32 v52, v6, v8, -v52
	v_add_f32_e32 v62, v35, v52
	v_mul_f32_e32 v35, v7, v11
	v_mul_f32_e32 v54, v6, v9
	v_fma_f32 v35, v6, v10, -v35
	v_mul_f32_e32 v6, v6, v11
	v_fmac_f32_e32 v6, v7, v10
	v_add_f32_e32 v3, v58, v3
	v_add_f32_e32 v58, v5, v35
	;; [unrolled: 1-line block ×3, first 2 shown]
	v_mul_f32_e32 v4, v73, v9
	v_mul_f32_e32 v5, v72, v9
	v_fmac_f32_e32 v54, v7, v8
	v_fma_f32 v4, v72, v8, -v4
	v_fmac_f32_e32 v5, v73, v8
	v_add_f32_e32 v64, v50, v54
	v_add_f32_e32 v54, v0, v4
	;; [unrolled: 1-line block ×3, first 2 shown]
	v_mul_f32_e32 v0, v73, v11
	v_mul_f32_e32 v1, v72, v11
	s_add_u32 s46, s46, 32
	v_fma_f32 v0, v72, v10, -v0
	v_fmac_f32_e32 v1, v73, v10
	s_addc_u32 s47, s47, 0
	v_add_f32_e32 v52, v2, v0
	v_add_f32_e32 v50, v3, v1
	v_lshl_add_u64 v[48:49], v[48:49], 0, s[38:39]
	v_lshl_add_u64 v[42:43], v[42:43], 0, s[44:45]
	;; [unrolled: 1-line block ×3, first 2 shown]
	s_cmp_ge_i32 s46, s2
	v_lshl_add_u64 v[44:45], v[44:45], 0, s[44:45]
	s_barrier
	s_cbranch_scc1 .LBB75_52
.LBB75_7:                               ;   Parent Loop BB75_4 Depth=1
                                        ; =>  This Inner Loop Header: Depth=2
	v_lshl_add_u64 v[0:1], v[12:13], 0, s[46:47]
	v_cmp_le_i64_e64 s[12:13], s[34:35], v[0:1]
	v_cmp_eq_u64_e64 s[4:5], s[46:47], v[22:23]
	v_cmp_lt_i64_e64 s[10:11], v[0:1], v[14:15]
	s_and_b64 s[52:53], s[30:31], s[4:5]
	s_or_b64 s[4:5], s[12:13], s[10:11]
	s_or_b64 s[4:5], s[4:5], s[52:53]
	v_lshl_add_u64 v[2:3], v[46:47], 0, v[28:29]
	s_nor_b64 s[4:5], s[0:1], s[4:5]
	s_and_saveexec_b64 s[50:51], s[4:5]
	s_xor_b64 s[4:5], exec, s[50:51]
	s_cbranch_execz .LBB75_9
; %bb.8:                                ;   in Loop: Header=BB75_7 Depth=2
	global_load_dwordx2 v[4:5], v[2:3], off
	s_waitcnt vmcnt(0)
	ds_write_b64 v55, v[4:5]
.LBB75_9:                               ;   in Loop: Header=BB75_7 Depth=2
	s_or_saveexec_b64 s[4:5], s[4:5]
	s_xor_b64 s[50:51], s[52:53], -1
	s_xor_b64 exec, exec, s[4:5]
	s_cbranch_execz .LBB75_15
; %bb.10:                               ;   in Loop: Header=BB75_7 Depth=2
	s_and_saveexec_b64 s[54:55], s[50:51]
	s_xor_b64 s[54:55], exec, s[54:55]
; %bb.11:                               ;   in Loop: Header=BB75_7 Depth=2
	ds_write_b64 v55, v[36:37]
; %bb.12:                               ;   in Loop: Header=BB75_7 Depth=2
	s_andn2_saveexec_b64 s[54:55], s[54:55]
; %bb.13:                               ;   in Loop: Header=BB75_7 Depth=2
	ds_write_b64 v55, v[38:39]
; %bb.14:                               ;   in Loop: Header=BB75_7 Depth=2
	s_or_b64 exec, exec, s[54:55]
.LBB75_15:                              ;   in Loop: Header=BB75_7 Depth=2
	s_or_b64 exec, exec, s[4:5]
	v_cmp_eq_u64_e64 s[4:5], s[46:47], v[24:25]
	s_and_b64 s[54:55], s[30:31], s[4:5]
	v_cmp_gt_i64_e64 s[4:5], v[18:19], v[0:1]
	s_or_b64 s[4:5], s[12:13], s[4:5]
	s_or_b64 s[4:5], s[4:5], s[54:55]
	s_nor_b64 s[4:5], s[14:15], s[4:5]
	s_and_saveexec_b64 s[12:13], s[4:5]
	s_xor_b64 s[4:5], exec, s[12:13]
	s_cbranch_execz .LBB75_17
; %bb.16:                               ;   in Loop: Header=BB75_7 Depth=2
	global_load_dwordx2 v[2:3], v[2:3], off offset:128
	s_waitcnt vmcnt(0)
	ds_write_b64 v55, v[2:3] offset:128
.LBB75_17:                              ;   in Loop: Header=BB75_7 Depth=2
	s_andn2_saveexec_b64 s[4:5], s[4:5]
	s_cbranch_execz .LBB75_23
; %bb.18:                               ;   in Loop: Header=BB75_7 Depth=2
	s_xor_b64 s[12:13], s[54:55], -1
	s_and_saveexec_b64 s[54:55], s[12:13]
	s_xor_b64 s[12:13], exec, s[54:55]
; %bb.19:                               ;   in Loop: Header=BB75_7 Depth=2
	ds_write_b64 v55, v[36:37] offset:128
; %bb.20:                               ;   in Loop: Header=BB75_7 Depth=2
	s_andn2_saveexec_b64 s[12:13], s[12:13]
; %bb.21:                               ;   in Loop: Header=BB75_7 Depth=2
	ds_write_b64 v55, v[38:39] offset:128
; %bb.22:                               ;   in Loop: Header=BB75_7 Depth=2
	s_or_b64 exec, exec, s[12:13]
.LBB75_23:                              ;   in Loop: Header=BB75_7 Depth=2
	s_or_b64 exec, exec, s[4:5]
	v_lshl_add_u64 v[2:3], v[0:1], 0, 16
	v_cmp_eq_u64_e64 s[4:5], s[46:47], v[26:27]
	v_cmp_le_i64_e64 s[12:13], s[34:35], v[2:3]
	s_and_b64 s[54:55], s[30:31], s[4:5]
	v_cmp_lt_i64_e64 s[4:5], v[2:3], v[14:15]
	s_or_b64 s[4:5], s[12:13], s[4:5]
	s_or_b64 s[4:5], s[4:5], s[54:55]
	v_lshl_add_u64 v[0:1], v[48:49], 0, v[28:29]
	s_nor_b64 s[4:5], s[0:1], s[4:5]
	s_and_saveexec_b64 s[60:61], s[4:5]
	s_xor_b64 s[4:5], exec, s[60:61]
	s_cbranch_execz .LBB75_25
; %bb.24:                               ;   in Loop: Header=BB75_7 Depth=2
	global_load_dwordx2 v[2:3], v[0:1], off
	s_waitcnt vmcnt(0)
	ds_write_b64 v55, v[2:3] offset:4096
.LBB75_25:                              ;   in Loop: Header=BB75_7 Depth=2
	s_andn2_saveexec_b64 s[4:5], s[4:5]
	s_cbranch_execz .LBB75_31
; %bb.26:                               ;   in Loop: Header=BB75_7 Depth=2
	s_xor_b64 s[54:55], s[54:55], -1
	s_and_saveexec_b64 s[60:61], s[54:55]
	s_xor_b64 s[54:55], exec, s[60:61]
; %bb.27:                               ;   in Loop: Header=BB75_7 Depth=2
	ds_write_b64 v55, v[36:37] offset:4096
; %bb.28:                               ;   in Loop: Header=BB75_7 Depth=2
	s_andn2_saveexec_b64 s[54:55], s[54:55]
; %bb.29:                               ;   in Loop: Header=BB75_7 Depth=2
	ds_write_b64 v55, v[38:39] offset:4096
; %bb.30:                               ;   in Loop: Header=BB75_7 Depth=2
	s_or_b64 exec, exec, s[54:55]
.LBB75_31:                              ;   in Loop: Header=BB75_7 Depth=2
	s_or_b64 exec, exec, s[4:5]
	s_or_b64 s[4:5], s[12:13], s[10:11]
	s_or_b64 s[4:5], s[4:5], s[52:53]
	s_nor_b64 s[4:5], s[14:15], s[4:5]
	s_and_saveexec_b64 s[10:11], s[4:5]
	s_xor_b64 s[4:5], exec, s[10:11]
	s_cbranch_execz .LBB75_33
; %bb.32:                               ;   in Loop: Header=BB75_7 Depth=2
	global_load_dwordx2 v[0:1], v[0:1], off offset:128
	s_waitcnt vmcnt(0)
	ds_write_b64 v55, v[0:1] offset:4224
.LBB75_33:                              ;   in Loop: Header=BB75_7 Depth=2
	s_andn2_saveexec_b64 s[4:5], s[4:5]
	s_cbranch_execz .LBB75_39
; %bb.34:                               ;   in Loop: Header=BB75_7 Depth=2
	s_and_saveexec_b64 s[10:11], s[50:51]
	s_xor_b64 s[10:11], exec, s[10:11]
; %bb.35:                               ;   in Loop: Header=BB75_7 Depth=2
	ds_write_b64 v55, v[36:37] offset:4224
; %bb.36:                               ;   in Loop: Header=BB75_7 Depth=2
	s_andn2_saveexec_b64 s[10:11], s[10:11]
; %bb.37:                               ;   in Loop: Header=BB75_7 Depth=2
	ds_write_b64 v55, v[38:39] offset:4224
; %bb.38:                               ;   in Loop: Header=BB75_7 Depth=2
	s_or_b64 exec, exec, s[10:11]
.LBB75_39:                              ;   in Loop: Header=BB75_7 Depth=2
	s_or_b64 exec, exec, s[4:5]
	v_lshl_add_u64 v[2:3], v[14:15], 0, s[46:47]
	v_cmp_gt_i64_e64 s[10:11], s[34:35], v[2:3]
	v_lshl_add_u64 v[0:1], v[42:43], 0, v[28:29]
	s_and_b64 s[12:13], vcc, s[10:11]
	v_mov_b32_e32 v4, 0
	v_mov_b32_e32 v5, 0
	s_and_saveexec_b64 s[4:5], s[12:13]
	s_cbranch_execz .LBB75_41
; %bb.40:                               ;   in Loop: Header=BB75_7 Depth=2
	global_load_dwordx2 v[4:5], v[0:1], off
.LBB75_41:                              ;   in Loop: Header=BB75_7 Depth=2
	s_or_b64 exec, exec, s[4:5]
	v_cmp_gt_i64_e64 s[12:13], s[42:43], v[2:3]
	s_and_b64 s[4:5], vcc, s[12:13]
	s_xor_b64 s[4:5], s[4:5], -1
	s_waitcnt vmcnt(0)
	ds_write_b64 v59, v[4:5]
	s_and_saveexec_b64 s[50:51], s[4:5]
	s_xor_b64 s[4:5], exec, s[50:51]
; %bb.42:                               ;   in Loop: Header=BB75_7 Depth=2
	ds_write_b64 v59, v[36:37] offset:128
                                        ; implicit-def: $vgpr0_vgpr1
; %bb.43:                               ;   in Loop: Header=BB75_7 Depth=2
	s_andn2_saveexec_b64 s[4:5], s[4:5]
	s_cbranch_execz .LBB75_45
; %bb.44:                               ;   in Loop: Header=BB75_7 Depth=2
	global_load_dwordx2 v[0:1], v[0:1], off offset:128
	s_waitcnt vmcnt(0)
	ds_write_b64 v59, v[0:1] offset:128
.LBB75_45:                              ;   in Loop: Header=BB75_7 Depth=2
	s_or_b64 exec, exec, s[4:5]
	v_lshl_add_u64 v[0:1], v[44:45], 0, v[28:29]
	s_and_b64 s[10:11], s[8:9], s[10:11]
	v_mov_b32_e32 v2, 0
	v_mov_b32_e32 v3, 0
	s_and_saveexec_b64 s[4:5], s[10:11]
	s_cbranch_execz .LBB75_47
; %bb.46:                               ;   in Loop: Header=BB75_7 Depth=2
	global_load_dwordx2 v[2:3], v[0:1], off
.LBB75_47:                              ;   in Loop: Header=BB75_7 Depth=2
	s_or_b64 exec, exec, s[4:5]
	s_and_b64 s[4:5], s[8:9], s[12:13]
	s_xor_b64 s[4:5], s[4:5], -1
	s_waitcnt vmcnt(0)
	ds_write_b64 v59, v[2:3] offset:4096
	s_and_saveexec_b64 s[10:11], s[4:5]
	s_xor_b64 s[4:5], exec, s[10:11]
; %bb.48:                               ;   in Loop: Header=BB75_7 Depth=2
	ds_write_b64 v59, v[36:37] offset:4224
                                        ; implicit-def: $vgpr0_vgpr1
; %bb.49:                               ;   in Loop: Header=BB75_7 Depth=2
	s_andn2_saveexec_b64 s[4:5], s[4:5]
	s_cbranch_execz .LBB75_6
; %bb.50:                               ;   in Loop: Header=BB75_7 Depth=2
	global_load_dwordx2 v[0:1], v[0:1], off offset:128
	s_waitcnt vmcnt(0)
	ds_write_b64 v59, v[0:1] offset:4224
	s_branch .LBB75_6
.LBB75_51:                              ;   in Loop: Header=BB75_4 Depth=1
	v_mov_b32_e32 v62, 0
	v_mov_b32_e32 v64, 0
	;; [unrolled: 1-line block ×8, first 2 shown]
.LBB75_52:                              ;   in Loop: Header=BB75_4 Depth=1
	v_mul_lo_u32 v2, s21, v40
	v_mul_lo_u32 v3, s20, v41
	v_mad_u64_u32 v[0:1], s[4:5], s20, v40, 0
	v_cmp_gt_i32_e32 vcc, s26, v40
	v_add3_u32 v1, v1, v3, v2
	v_lshl_add_u64 v[0:1], v[0:1], 3, s[18:19]
	s_and_b64 s[8:9], s[16:17], vcc
	s_and_saveexec_b64 s[4:5], s[8:9]
	s_cbranch_execz .LBB75_54
; %bb.53:                               ;   in Loop: Header=BB75_4 Depth=1
	v_lshl_add_u64 v[2:3], v[14:15], 3, v[0:1]
	global_load_dwordx2 v[4:5], v[2:3], off
	v_pk_mul_f32 v[6:7], v[64:65], s[24:25] op_sel_hi:[0,1]
	v_pk_fma_f32 v[8:9], v[62:63], s[28:29], v[6:7] neg_lo:[0,0,1] neg_hi:[0,0,1]
	v_pk_fma_f32 v[6:7], v[62:63], s[28:29], v[6:7] op_sel_hi:[0,1,1]
	v_mov_b32_e32 v9, v7
	s_waitcnt vmcnt(0)
	v_pk_add_f32 v[4:5], v[4:5], v[8:9]
	global_store_dwordx2 v[2:3], v[4:5], off
.LBB75_54:                              ;   in Loop: Header=BB75_4 Depth=1
	s_or_b64 exec, exec, s[4:5]
	s_and_b64 s[8:9], s[6:7], vcc
	s_and_saveexec_b64 s[4:5], s[8:9]
	s_cbranch_execz .LBB75_56
; %bb.55:                               ;   in Loop: Header=BB75_4 Depth=1
	v_lshl_add_u64 v[0:1], v[20:21], 3, v[0:1]
	global_load_dwordx2 v[2:3], v[0:1], off
	v_pk_mul_f32 v[4:5], v[60:61], s[24:25] op_sel_hi:[0,1]
	v_pk_fma_f32 v[6:7], v[58:59], s[28:29], v[4:5] neg_lo:[0,0,1] neg_hi:[0,0,1]
	v_pk_fma_f32 v[4:5], v[58:59], s[28:29], v[4:5] op_sel_hi:[0,1,1]
	v_mov_b32_e32 v7, v5
	s_waitcnt vmcnt(0)
	v_pk_add_f32 v[2:3], v[2:3], v[6:7]
	global_store_dwordx2 v[0:1], v[2:3], off
.LBB75_56:                              ;   in Loop: Header=BB75_4 Depth=1
	s_or_b64 exec, exec, s[4:5]
	v_add_u32_e32 v0, 16, v40
	v_ashrrev_i32_e32 v1, 31, v0
	v_cmp_gt_i32_e32 vcc, s26, v0
	v_mul_lo_u32 v2, s20, v1
	v_mul_lo_u32 v3, s21, v0
	v_mad_u64_u32 v[0:1], s[4:5], s20, v0, 0
	v_add3_u32 v1, v1, v2, v3
	v_lshl_add_u64 v[0:1], v[0:1], 3, s[18:19]
	s_and_b64 s[8:9], s[16:17], vcc
	s_and_saveexec_b64 s[4:5], s[8:9]
	s_cbranch_execz .LBB75_58
; %bb.57:                               ;   in Loop: Header=BB75_4 Depth=1
	v_lshl_add_u64 v[2:3], v[14:15], 3, v[0:1]
	global_load_dwordx2 v[4:5], v[2:3], off
	v_pk_mul_f32 v[6:7], v[56:57], s[24:25] op_sel_hi:[0,1]
	v_pk_fma_f32 v[8:9], v[54:55], s[28:29], v[6:7] neg_lo:[0,0,1] neg_hi:[0,0,1]
	v_pk_fma_f32 v[6:7], v[54:55], s[28:29], v[6:7] op_sel_hi:[0,1,1]
	v_mov_b32_e32 v9, v7
	s_waitcnt vmcnt(0)
	v_pk_add_f32 v[4:5], v[4:5], v[8:9]
	global_store_dwordx2 v[2:3], v[4:5], off
.LBB75_58:                              ;   in Loop: Header=BB75_4 Depth=1
	s_or_b64 exec, exec, s[4:5]
	s_and_b64 s[8:9], s[6:7], vcc
	s_and_saveexec_b64 s[4:5], s[8:9]
	s_cbranch_execz .LBB75_3
; %bb.59:                               ;   in Loop: Header=BB75_4 Depth=1
	v_lshl_add_u64 v[0:1], v[20:21], 3, v[0:1]
	global_load_dwordx2 v[2:3], v[0:1], off
	v_pk_mul_f32 v[4:5], v[50:51], s[24:25] op_sel_hi:[0,1]
	v_pk_fma_f32 v[6:7], v[52:53], s[28:29], v[4:5] neg_lo:[0,0,1] neg_hi:[0,0,1]
	v_pk_fma_f32 v[4:5], v[52:53], s[28:29], v[4:5] op_sel_hi:[0,1,1]
	v_mov_b32_e32 v7, v5
	s_waitcnt vmcnt(0)
	v_pk_add_f32 v[2:3], v[2:3], v[6:7]
	global_store_dwordx2 v[0:1], v[2:3], off
	s_branch .LBB75_3
.LBB75_60:
	s_endpgm
	.section	.rodata,"a",@progbits
	.p2align	6, 0x0
	.amdhsa_kernel _ZL30rocblas_trmm_outofplace_kernelI19rocblas_complex_numIfELi32ELi2ELb1ELb1ELb0ELb0ES1_KS1_S1_Ev17rocblas_diagonal_iiT6_lPT7_lllS6_lllPT8_llli
		.amdhsa_group_segment_fixed_size 16384
		.amdhsa_private_segment_fixed_size 0
		.amdhsa_kernarg_size 392
		.amdhsa_user_sgpr_count 2
		.amdhsa_user_sgpr_dispatch_ptr 0
		.amdhsa_user_sgpr_queue_ptr 0
		.amdhsa_user_sgpr_kernarg_segment_ptr 1
		.amdhsa_user_sgpr_dispatch_id 0
		.amdhsa_user_sgpr_kernarg_preload_length 0
		.amdhsa_user_sgpr_kernarg_preload_offset 0
		.amdhsa_user_sgpr_private_segment_size 0
		.amdhsa_uses_dynamic_stack 0
		.amdhsa_enable_private_segment 0
		.amdhsa_system_sgpr_workgroup_id_x 1
		.amdhsa_system_sgpr_workgroup_id_y 1
		.amdhsa_system_sgpr_workgroup_id_z 1
		.amdhsa_system_sgpr_workgroup_info 0
		.amdhsa_system_vgpr_workitem_id 1
		.amdhsa_next_free_vgpr 86
		.amdhsa_next_free_sgpr 62
		.amdhsa_accum_offset 88
		.amdhsa_reserve_vcc 1
		.amdhsa_float_round_mode_32 0
		.amdhsa_float_round_mode_16_64 0
		.amdhsa_float_denorm_mode_32 3
		.amdhsa_float_denorm_mode_16_64 3
		.amdhsa_dx10_clamp 1
		.amdhsa_ieee_mode 1
		.amdhsa_fp16_overflow 0
		.amdhsa_tg_split 0
		.amdhsa_exception_fp_ieee_invalid_op 0
		.amdhsa_exception_fp_denorm_src 0
		.amdhsa_exception_fp_ieee_div_zero 0
		.amdhsa_exception_fp_ieee_overflow 0
		.amdhsa_exception_fp_ieee_underflow 0
		.amdhsa_exception_fp_ieee_inexact 0
		.amdhsa_exception_int_div_zero 0
	.end_amdhsa_kernel
	.section	.text._ZL30rocblas_trmm_outofplace_kernelI19rocblas_complex_numIfELi32ELi2ELb1ELb1ELb0ELb0ES1_KS1_S1_Ev17rocblas_diagonal_iiT6_lPT7_lllS6_lllPT8_llli,"axG",@progbits,_ZL30rocblas_trmm_outofplace_kernelI19rocblas_complex_numIfELi32ELi2ELb1ELb1ELb0ELb0ES1_KS1_S1_Ev17rocblas_diagonal_iiT6_lPT7_lllS6_lllPT8_llli,comdat
.Lfunc_end75:
	.size	_ZL30rocblas_trmm_outofplace_kernelI19rocblas_complex_numIfELi32ELi2ELb1ELb1ELb0ELb0ES1_KS1_S1_Ev17rocblas_diagonal_iiT6_lPT7_lllS6_lllPT8_llli, .Lfunc_end75-_ZL30rocblas_trmm_outofplace_kernelI19rocblas_complex_numIfELi32ELi2ELb1ELb1ELb0ELb0ES1_KS1_S1_Ev17rocblas_diagonal_iiT6_lPT7_lllS6_lllPT8_llli
                                        ; -- End function
	.set _ZL30rocblas_trmm_outofplace_kernelI19rocblas_complex_numIfELi32ELi2ELb1ELb1ELb0ELb0ES1_KS1_S1_Ev17rocblas_diagonal_iiT6_lPT7_lllS6_lllPT8_llli.num_vgpr, 86
	.set _ZL30rocblas_trmm_outofplace_kernelI19rocblas_complex_numIfELi32ELi2ELb1ELb1ELb0ELb0ES1_KS1_S1_Ev17rocblas_diagonal_iiT6_lPT7_lllS6_lllPT8_llli.num_agpr, 0
	.set _ZL30rocblas_trmm_outofplace_kernelI19rocblas_complex_numIfELi32ELi2ELb1ELb1ELb0ELb0ES1_KS1_S1_Ev17rocblas_diagonal_iiT6_lPT7_lllS6_lllPT8_llli.numbered_sgpr, 62
	.set _ZL30rocblas_trmm_outofplace_kernelI19rocblas_complex_numIfELi32ELi2ELb1ELb1ELb0ELb0ES1_KS1_S1_Ev17rocblas_diagonal_iiT6_lPT7_lllS6_lllPT8_llli.num_named_barrier, 0
	.set _ZL30rocblas_trmm_outofplace_kernelI19rocblas_complex_numIfELi32ELi2ELb1ELb1ELb0ELb0ES1_KS1_S1_Ev17rocblas_diagonal_iiT6_lPT7_lllS6_lllPT8_llli.private_seg_size, 0
	.set _ZL30rocblas_trmm_outofplace_kernelI19rocblas_complex_numIfELi32ELi2ELb1ELb1ELb0ELb0ES1_KS1_S1_Ev17rocblas_diagonal_iiT6_lPT7_lllS6_lllPT8_llli.uses_vcc, 1
	.set _ZL30rocblas_trmm_outofplace_kernelI19rocblas_complex_numIfELi32ELi2ELb1ELb1ELb0ELb0ES1_KS1_S1_Ev17rocblas_diagonal_iiT6_lPT7_lllS6_lllPT8_llli.uses_flat_scratch, 0
	.set _ZL30rocblas_trmm_outofplace_kernelI19rocblas_complex_numIfELi32ELi2ELb1ELb1ELb0ELb0ES1_KS1_S1_Ev17rocblas_diagonal_iiT6_lPT7_lllS6_lllPT8_llli.has_dyn_sized_stack, 0
	.set _ZL30rocblas_trmm_outofplace_kernelI19rocblas_complex_numIfELi32ELi2ELb1ELb1ELb0ELb0ES1_KS1_S1_Ev17rocblas_diagonal_iiT6_lPT7_lllS6_lllPT8_llli.has_recursion, 0
	.set _ZL30rocblas_trmm_outofplace_kernelI19rocblas_complex_numIfELi32ELi2ELb1ELb1ELb0ELb0ES1_KS1_S1_Ev17rocblas_diagonal_iiT6_lPT7_lllS6_lllPT8_llli.has_indirect_call, 0
	.section	.AMDGPU.csdata,"",@progbits
; Kernel info:
; codeLenInByte = 6292
; TotalNumSgprs: 68
; NumVgprs: 86
; NumAgprs: 0
; TotalNumVgprs: 86
; ScratchSize: 0
; MemoryBound: 1
; FloatMode: 240
; IeeeMode: 1
; LDSByteSize: 16384 bytes/workgroup (compile time only)
; SGPRBlocks: 8
; VGPRBlocks: 10
; NumSGPRsForWavesPerEU: 68
; NumVGPRsForWavesPerEU: 86
; AccumOffset: 88
; Occupancy: 5
; WaveLimiterHint : 0
; COMPUTE_PGM_RSRC2:SCRATCH_EN: 0
; COMPUTE_PGM_RSRC2:USER_SGPR: 2
; COMPUTE_PGM_RSRC2:TRAP_HANDLER: 0
; COMPUTE_PGM_RSRC2:TGID_X_EN: 1
; COMPUTE_PGM_RSRC2:TGID_Y_EN: 1
; COMPUTE_PGM_RSRC2:TGID_Z_EN: 1
; COMPUTE_PGM_RSRC2:TIDIG_COMP_CNT: 1
; COMPUTE_PGM_RSRC3_GFX90A:ACCUM_OFFSET: 21
; COMPUTE_PGM_RSRC3_GFX90A:TG_SPLIT: 0
	.section	.text._ZL30rocblas_trmm_outofplace_kernelI19rocblas_complex_numIfELi32ELi2ELb1ELb0ELb1ELb0EPKS1_S2_S1_Ev17rocblas_diagonal_iiT6_lPT7_lllS7_lllPT8_llli,"axG",@progbits,_ZL30rocblas_trmm_outofplace_kernelI19rocblas_complex_numIfELi32ELi2ELb1ELb0ELb1ELb0EPKS1_S2_S1_Ev17rocblas_diagonal_iiT6_lPT7_lllS7_lllPT8_llli,comdat
	.globl	_ZL30rocblas_trmm_outofplace_kernelI19rocblas_complex_numIfELi32ELi2ELb1ELb0ELb1ELb0EPKS1_S2_S1_Ev17rocblas_diagonal_iiT6_lPT7_lllS7_lllPT8_llli ; -- Begin function _ZL30rocblas_trmm_outofplace_kernelI19rocblas_complex_numIfELi32ELi2ELb1ELb0ELb1ELb0EPKS1_S2_S1_Ev17rocblas_diagonal_iiT6_lPT7_lllS7_lllPT8_llli
	.p2align	8
	.type	_ZL30rocblas_trmm_outofplace_kernelI19rocblas_complex_numIfELi32ELi2ELb1ELb0ELb1ELb0EPKS1_S2_S1_Ev17rocblas_diagonal_iiT6_lPT7_lllS7_lllPT8_llli,@function
_ZL30rocblas_trmm_outofplace_kernelI19rocblas_complex_numIfELi32ELi2ELb1ELb0ELb1ELb0EPKS1_S2_S1_Ev17rocblas_diagonal_iiT6_lPT7_lllS7_lllPT8_llli: ; @_ZL30rocblas_trmm_outofplace_kernelI19rocblas_complex_numIfELi32ELi2ELb1ELb0ELb1ELb0EPKS1_S2_S1_Ev17rocblas_diagonal_iiT6_lPT7_lllS7_lllPT8_llli
; %bb.0:
	s_load_dwordx16 s[16:31], s[0:1], 0x10
	s_waitcnt lgkmcnt(0)
	s_mul_i32 s5, s19, s4
	s_mul_hi_u32 s6, s18, s4
	s_add_i32 s7, s6, s5
	s_mul_i32 s6, s18, s4
	s_lshl_b64 s[6:7], s[6:7], 3
	s_add_u32 s6, s16, s6
	s_addc_u32 s7, s17, s7
	s_load_dwordx2 s[18:19], s[6:7], 0x0
	s_waitcnt lgkmcnt(0)
	s_or_b32 s5, s18, s19
	s_bitset0_b32 s5, 31
	s_cmp_eq_u32 s5, 0
	s_cbranch_scc1 .LBB76_60
; %bb.1:
	s_load_dwordx4 s[44:47], s[0:1], 0x0
	s_waitcnt lgkmcnt(0)
	s_add_i32 s5, s46, -1
	s_ashr_i32 s6, s5, 31
	s_lshr_b32 s6, s6, 27
	s_add_i32 s5, s5, s6
	s_ashr_i32 s33, s5, 5
	s_cmp_gt_i32 s3, s33
	s_cbranch_scc1 .LBB76_60
; %bb.2:
	s_load_dwordx8 s[36:43], s[0:1], 0x50
	s_load_dwordx4 s[48:51], s[0:1], 0x70
	s_mul_i32 s5, s27, s4
	s_mul_hi_u32 s6, s26, s4
	s_add_i32 s7, s6, s5
	s_mul_i32 s6, s26, s4
	s_lshl_b64 s[8:9], s[6:7], 3
	s_add_u32 s5, s20, s8
	s_addc_u32 s7, s21, s9
	s_lshl_b64 s[10:11], s[22:23], 3
	s_add_u32 s6, s5, s10
	s_load_dword s47, s[0:1], 0x8c
	s_waitcnt lgkmcnt(0)
	s_mul_i32 s0, s51, s4
	s_mul_hi_u32 s1, s50, s4
	s_addc_u32 s7, s7, s11
	s_add_i32 s1, s1, s0
	s_mul_i32 s0, s50, s4
	s_lshl_b64 s[0:1], s[0:1], 3
	s_add_u32 s5, s40, s0
	s_addc_u32 s12, s41, s1
	s_lshl_b64 s[0:1], s[42:43], 3
	s_add_u32 s22, s5, s0
	v_bfe_u32 v47, v0, 10, 10
	s_addc_u32 s23, s12, s1
	s_lshl_b32 s2, s2, 5
	v_and_b32_e32 v4, 0x3ff, v0
	v_add_u32_e32 v12, s2, v47
	v_add_u32_e32 v14, s2, v4
	s_sub_i32 s2, s45, s2
	s_cmp_gt_i32 s2, 0
	s_cselect_b64 s[26:27], -1, 0
	s_cmpk_eq_i32 s44, 0x84
	s_cselect_b64 s[34:35], -1, 0
	s_ashr_i32 s41, s45, 31
	s_ashr_i32 s52, s46, 31
	s_add_u32 s42, s45, -16
	s_mul_i32 s5, s39, s4
	s_mul_hi_u32 s12, s38, s4
	v_ashrrev_i32_e32 v15, 31, v14
	s_addc_u32 s43, s41, -1
	s_add_i32 s5, s12, s5
	s_mul_i32 s4, s38, s4
	v_mul_lo_u32 v2, s24, v15
	v_mul_lo_u32 v3, s25, v14
	v_mad_u64_u32 v[0:1], s[0:1], s24, v14, 0
	s_lshl_b64 s[4:5], s[4:5], 3
	s_lshl_b64 s[12:13], s[30:31], 3
	v_ashrrev_i32_e32 v13, 31, v12
	v_add3_u32 v1, v1, v2, v3
	s_add_u32 s4, s4, s12
	v_lshl_add_u64 v[0:1], v[0:1], 3, s[6:7]
	v_lshlrev_b64 v[2:3], 3, v[12:13]
	s_addc_u32 s5, s5, s13
	v_lshl_add_u64 v[16:17], v[0:1], 0, v[2:3]
	v_lshlrev_b32_e32 v0, 8, v47
	v_lshlrev_b32_e32 v49, 3, v4
	s_add_u32 s4, s28, s4
	v_add_u32_e32 v51, v49, v0
	v_add_u32_e32 v53, 0x2000, v0
	v_lshlrev_b64 v[0:1], 3, v[14:15]
	s_addc_u32 s5, s29, s5
	v_lshl_add_u64 v[28:29], s[4:5], 0, v[0:1]
	s_lshl_b64 s[28:29], s[36:37], 3
	s_lshl_b32 s53, s47, 5
	s_mov_b64 s[4:5], 0x80
	v_lshl_add_u64 v[0:1], v[0:1], 0, s[4:5]
	s_add_u32 s4, s10, s8
	s_addc_u32 s5, s11, s9
	v_mov_b64_e32 v[4:5], s[4:5]
	v_mul_lo_u32 v6, s24, v1
	v_mul_lo_u32 v7, s25, v0
	v_mad_u64_u32 v[0:1], s[4:5], s24, v0, v[4:5]
	v_sub_co_u32_e32 v22, vcc, v14, v12
	v_add3_u32 v1, v7, v1, v6
	s_mov_b32 s40, s45
	v_lshl_add_u64 v[18:19], v[14:15], 0, 16
	v_add_u32_e32 v20, 16, v14
	v_subb_co_u32_e32 v23, vcc, v15, v13, vcc
	v_lshl_add_u64 v[0:1], v[0:1], 0, v[2:3]
	v_mov_b32_e32 v36, 0
	v_add_u32_e32 v55, v53, v49
	v_cmp_le_i32_e64 s[0:1], s45, v14
	v_cmp_le_i64_e64 s[14:15], s[40:41], v[18:19]
	v_cmp_gt_i32_e64 s[16:17], s45, v14
	v_cmp_gt_i32_e64 s[6:7], s45, v20
	v_ashrrev_i32_e32 v21, 31, v20
	s_mov_b32 s44, s19
	s_mov_b32 s45, s18
	v_lshl_add_u64 v[24:25], v[22:23], 0, 16
	v_lshl_add_u64 v[26:27], v[22:23], 0, -16
	v_lshl_add_u32 v30, s3, 5, v47
	v_lshl_add_u64 v[32:33], s[20:21], 0, v[0:1]
	v_mov_b64_e32 v[34:35], 0x80
	v_mov_b32_e32 v37, v36
	v_mov_b32_e32 v38, 1.0
	v_mov_b32_e32 v39, v36
	v_add_u32_e32 v57, 0x800, v49
	v_add_u32_e32 v59, 0x1000, v49
	;; [unrolled: 1-line block ×3, first 2 shown]
	s_branch .LBB76_4
.LBB76_3:                               ;   in Loop: Header=BB76_4 Depth=1
	s_or_b64 exec, exec, s[4:5]
	s_add_i32 s3, s47, s3
	s_cmp_le_i32 s3, s33
	v_add_u32_e32 v30, s53, v30
	s_cbranch_scc0 .LBB76_60
.LBB76_4:                               ; =>This Loop Header: Depth=1
                                        ;     Child Loop BB76_7 Depth 2
	v_lshl_add_u32 v40, s3, 5, v47
	s_andn2_b64 vcc, exec, s[26:27]
	v_ashrrev_i32_e32 v41, 31, v40
	s_cbranch_vccnz .LBB76_51
; %bb.5:                                ;   in Loop: Header=BB76_4 Depth=1
	v_ashrrev_i32_e32 v31, 31, v30
	v_mad_u64_u32 v[42:43], s[4:5], s28, v30, v[28:29]
	v_mul_lo_u32 v0, s29, v30
	v_mul_lo_u32 v1, s28, v31
	v_add3_u32 v43, v0, v43, v1
	v_lshl_add_u64 v[0:1], v[30:31], 3, v[34:35]
	v_mul_lo_u32 v1, s36, v1
	v_mul_lo_u32 v2, s37, v0
	v_mad_u64_u32 v[44:45], s[4:5], s36, v0, v[28:29]
	v_add3_u32 v45, v2, v45, v1
	v_mov_b32_e32 v1, s52
	v_sub_co_u32_e32 v0, vcc, s46, v40
	s_mov_b64 s[20:21], 0
	s_nop 0
	v_subb_co_u32_e32 v1, vcc, v1, v41, vcc
	v_cmp_lt_i64_e32 vcc, 0, v[0:1]
	v_cmp_lt_i64_e64 s[8:9], 16, v[0:1]
	v_mov_b32_e32 v46, 0
	s_mov_b64 s[24:25], 0
	v_mov_b32_e32 v48, 0
	v_mov_b32_e32 v52, 0
	;; [unrolled: 1-line block ×7, first 2 shown]
	s_branch .LBB76_7
.LBB76_6:                               ;   in Loop: Header=BB76_7 Depth=2
	s_or_b64 exec, exec, s[4:5]
	s_waitcnt lgkmcnt(0)
	s_barrier
	ds_read2_b64 v[62:65], v49 offset1:16
	ds_read_b128 v[66:69], v53
	ds_read_b128 v[8:11], v53 offset:16
	ds_read_b128 v[4:7], v53 offset:32
	;; [unrolled: 1-line block ×3, first 2 shown]
	ds_read2_b64 v[78:81], v49 offset0:32 offset1:48
	s_waitcnt lgkmcnt(4)
	v_mul_f32_e32 v31, v67, v63
	v_mul_f32_e32 v70, v66, v63
	v_fma_f32 v31, v66, v62, -v31
	v_fmac_f32_e32 v70, v67, v62
	v_add_f32_e32 v31, v58, v31
	v_add_f32_e32 v58, v60, v70
	ds_read_b128 v[70:73], v53 offset:4096
	ds_read_b128 v[74:77], v53 offset:4112
	v_mul_f32_e32 v60, v67, v65
	v_fma_f32 v60, v66, v64, -v60
	v_add_f32_e32 v54, v54, v60
	s_waitcnt lgkmcnt(1)
	v_mul_f32_e32 v60, v71, v63
	v_mul_f32_e32 v63, v70, v63
	v_fma_f32 v60, v70, v62, -v60
	v_fmac_f32_e32 v63, v71, v62
	v_mul_f32_e32 v62, v70, v65
	v_fmac_f32_e32 v62, v71, v64
	v_add_f32_e32 v46, v46, v62
	v_mul_f32_e32 v62, v68, v79
	v_mul_f32_e32 v66, v66, v65
	v_add_f32_e32 v50, v50, v60
	v_mul_f32_e32 v60, v71, v65
	v_fmac_f32_e32 v62, v69, v78
	v_fmac_f32_e32 v66, v67, v64
	v_fma_f32 v60, v70, v64, -v60
	v_add_f32_e32 v58, v58, v62
	v_mul_f32_e32 v62, v68, v81
	v_add_f32_e32 v56, v56, v66
	v_add_f32_e32 v48, v48, v60
	v_mul_f32_e32 v60, v69, v79
	v_fmac_f32_e32 v62, v69, v80
	v_fma_f32 v60, v68, v78, -v60
	v_add_f32_e32 v56, v56, v62
	v_mul_f32_e32 v62, v72, v79
	v_add_f32_e32 v52, v52, v63
	v_add_f32_e32 v31, v31, v60
	v_mul_f32_e32 v60, v69, v81
	v_fmac_f32_e32 v62, v73, v78
	v_fma_f32 v60, v68, v80, -v60
	v_add_f32_e32 v52, v52, v62
	ds_read2_b64 v[62:65], v49 offset0:64 offset1:80
	v_add_f32_e32 v54, v54, v60
	v_mul_f32_e32 v60, v73, v79
	v_fma_f32 v60, v72, v78, -v60
	v_add_f32_e32 v50, v50, v60
	v_mul_f32_e32 v60, v73, v81
	v_fma_f32 v60, v72, v80, -v60
	v_mul_f32_e32 v66, v72, v81
	v_add_f32_e32 v48, v48, v60
	s_waitcnt lgkmcnt(0)
	v_mul_f32_e32 v60, v9, v63
	v_fmac_f32_e32 v66, v73, v80
	v_fma_f32 v60, v8, v62, -v60
	v_add_f32_e32 v46, v46, v66
	v_mul_f32_e32 v66, v8, v63
	v_add_f32_e32 v31, v31, v60
	v_mul_f32_e32 v60, v9, v65
	v_fmac_f32_e32 v66, v9, v62
	v_fma_f32 v60, v8, v64, -v60
	v_mul_f32_e32 v8, v8, v65
	v_add_f32_e32 v58, v58, v66
	v_fmac_f32_e32 v8, v9, v64
	ds_read2_b64 v[66:69], v49 offset0:96 offset1:112
	v_add_f32_e32 v9, v54, v60
	v_add_f32_e32 v8, v56, v8
	v_mul_f32_e32 v54, v75, v63
	v_mul_f32_e32 v56, v74, v63
	v_fma_f32 v54, v74, v62, -v54
	v_fmac_f32_e32 v56, v75, v62
	v_add_f32_e32 v50, v50, v54
	v_add_f32_e32 v52, v52, v56
	v_mul_f32_e32 v54, v75, v65
	v_mul_f32_e32 v56, v74, v65
	v_fma_f32 v54, v74, v64, -v54
	v_fmac_f32_e32 v56, v75, v64
	v_add_f32_e32 v48, v48, v54
	v_add_f32_e32 v46, v46, v56
	s_waitcnt lgkmcnt(0)
	v_mul_f32_e32 v54, v11, v67
	v_mul_f32_e32 v56, v10, v67
	v_fma_f32 v54, v10, v66, -v54
	v_fmac_f32_e32 v56, v11, v66
	v_add_f32_e32 v31, v31, v54
	v_add_f32_e32 v54, v58, v56
	v_mul_f32_e32 v56, v11, v69
	v_fma_f32 v56, v10, v68, -v56
	v_mul_f32_e32 v10, v10, v69
	v_fmac_f32_e32 v10, v11, v68
	v_add_f32_e32 v58, v8, v10
	v_mul_f32_e32 v8, v77, v67
	v_add_f32_e32 v56, v9, v56
	v_fma_f32 v8, v76, v66, -v8
	v_mul_f32_e32 v9, v76, v67
	v_fmac_f32_e32 v9, v77, v66
	v_add_f32_e32 v50, v50, v8
	v_mul_f32_e32 v8, v77, v69
	v_add_f32_e32 v52, v52, v9
	v_fma_f32 v60, v76, v68, -v8
	ds_read2_b64 v[8:11], v49 offset0:128 offset1:144
	v_mul_f32_e32 v62, v76, v69
	v_fmac_f32_e32 v62, v77, v68
	v_add_f32_e32 v46, v46, v62
	v_add_f32_e32 v48, v48, v60
	s_waitcnt lgkmcnt(0)
	v_mul_f32_e32 v62, v4, v9
	v_fmac_f32_e32 v62, v5, v8
	v_add_f32_e32 v54, v54, v62
	ds_read_b128 v[62:65], v53 offset:4128
	ds_read_b128 v[66:69], v53 offset:4144
	v_mul_f32_e32 v60, v5, v9
	v_fma_f32 v60, v4, v8, -v60
	v_add_f32_e32 v31, v31, v60
	v_mul_f32_e32 v60, v5, v11
	v_fma_f32 v60, v4, v10, -v60
	v_mul_f32_e32 v4, v4, v11
	ds_read2_b64 v[70:73], v49 offset0:160 offset1:176
	v_fmac_f32_e32 v4, v5, v10
	v_add_f32_e32 v5, v56, v60
	s_waitcnt lgkmcnt(2)
	v_mul_f32_e32 v56, v63, v9
	v_fma_f32 v56, v62, v8, -v56
	v_mul_f32_e32 v9, v62, v9
	v_fmac_f32_e32 v9, v63, v8
	v_add_f32_e32 v8, v50, v56
	v_mul_f32_e32 v50, v63, v11
	v_mul_f32_e32 v11, v62, v11
	v_fma_f32 v50, v62, v10, -v50
	v_fmac_f32_e32 v11, v63, v10
	v_add_f32_e32 v10, v48, v50
	v_add_f32_e32 v11, v46, v11
	s_waitcnt lgkmcnt(0)
	v_mul_f32_e32 v46, v7, v71
	v_mul_f32_e32 v48, v6, v71
	v_fma_f32 v46, v6, v70, -v46
	v_fmac_f32_e32 v48, v7, v70
	v_add_f32_e32 v31, v31, v46
	v_add_f32_e32 v46, v54, v48
	v_mul_f32_e32 v48, v7, v73
	v_fma_f32 v48, v6, v72, -v48
	v_mul_f32_e32 v6, v6, v73
	v_add_f32_e32 v4, v58, v4
	v_fmac_f32_e32 v6, v7, v72
	v_add_f32_e32 v50, v4, v6
	v_mul_f32_e32 v4, v65, v71
	v_add_f32_e32 v48, v5, v48
	v_fma_f32 v4, v64, v70, -v4
	v_mul_f32_e32 v5, v64, v71
	v_add_f32_e32 v9, v52, v9
	v_fmac_f32_e32 v5, v65, v70
	v_add_f32_e32 v8, v8, v4
	v_mul_f32_e32 v4, v65, v73
	v_add_f32_e32 v9, v9, v5
	v_fma_f32 v52, v64, v72, -v4
	ds_read2_b64 v[4:7], v49 offset0:192 offset1:208
	v_add_f32_e32 v52, v10, v52
	v_mul_f32_e32 v54, v64, v73
	v_fmac_f32_e32 v54, v65, v72
	v_add_f32_e32 v54, v11, v54
	s_waitcnt lgkmcnt(0)
	v_mul_f32_e32 v10, v1, v5
	v_fma_f32 v10, v0, v4, -v10
	v_add_f32_e32 v31, v31, v10
	v_mul_f32_e32 v10, v1, v7
	v_mul_f32_e32 v11, v0, v5
	v_fma_f32 v10, v0, v6, -v10
	v_mul_f32_e32 v0, v0, v7
	v_fmac_f32_e32 v11, v1, v4
	v_fmac_f32_e32 v0, v1, v6
	v_add_f32_e32 v1, v48, v10
	v_mul_f32_e32 v10, v67, v5
	v_fma_f32 v10, v66, v4, -v10
	v_mul_f32_e32 v5, v66, v5
	v_fmac_f32_e32 v5, v67, v4
	v_add_f32_e32 v4, v8, v10
	v_mul_f32_e32 v8, v67, v7
	v_add_f32_e32 v46, v46, v11
	v_add_f32_e32 v5, v9, v5
	v_fma_f32 v48, v66, v6, -v8
	ds_read2_b64 v[8:11], v49 offset0:224 offset1:240
	v_mul_f32_e32 v7, v66, v7
	v_fmac_f32_e32 v7, v67, v6
	v_add_f32_e32 v0, v50, v0
	v_add_f32_e32 v50, v54, v7
	s_waitcnt lgkmcnt(0)
	v_mul_f32_e32 v6, v3, v9
	v_fma_f32 v6, v2, v8, -v6
	v_add_f32_e32 v31, v31, v6
	v_mul_f32_e32 v6, v3, v11
	v_mul_f32_e32 v7, v2, v9
	v_fma_f32 v6, v2, v10, -v6
	v_mul_f32_e32 v2, v2, v11
	v_fmac_f32_e32 v2, v3, v10
	v_add_f32_e32 v54, v0, v2
	v_mul_f32_e32 v0, v69, v9
	v_add_f32_e32 v48, v52, v48
	v_add_f32_e32 v52, v1, v6
	v_fma_f32 v0, v68, v8, -v0
	v_mul_f32_e32 v1, v68, v9
	v_fmac_f32_e32 v7, v3, v8
	v_fmac_f32_e32 v1, v69, v8
	v_add_f32_e32 v56, v4, v0
	v_mul_f32_e32 v0, v69, v11
	v_add_f32_e32 v46, v46, v7
	v_add_f32_e32 v58, v5, v1
	v_fma_f32 v8, v68, v10, -v0
	ds_read_b128 v[0:3], v53 offset:64
	ds_read2_b64 v[4:7], v57 offset1:16
	v_mul_f32_e32 v9, v68, v11
	v_fmac_f32_e32 v9, v69, v10
	v_add_f32_e32 v48, v48, v8
	v_add_f32_e32 v50, v50, v9
	s_waitcnt lgkmcnt(0)
	v_mul_f32_e32 v62, v0, v5
	v_fmac_f32_e32 v62, v1, v4
	ds_read_b128 v[8:11], v53 offset:80
	v_add_f32_e32 v46, v46, v62
	ds_read_b128 v[62:65], v53 offset:4160
	v_mul_f32_e32 v60, v1, v5
	v_fma_f32 v60, v0, v4, -v60
	v_add_f32_e32 v31, v31, v60
	v_mul_f32_e32 v60, v1, v7
	v_fma_f32 v60, v0, v6, -v60
	v_mul_f32_e32 v0, v0, v7
	ds_read2_b64 v[70:73], v57 offset0:32 offset1:48
	v_fmac_f32_e32 v0, v1, v6
	v_add_f32_e32 v1, v52, v60
	s_waitcnt lgkmcnt(1)
	v_mul_f32_e32 v52, v63, v5
	v_fma_f32 v52, v62, v4, -v52
	v_mul_f32_e32 v5, v62, v5
	v_fmac_f32_e32 v5, v63, v4
	v_add_f32_e32 v4, v56, v52
	v_mul_f32_e32 v52, v63, v7
	v_fma_f32 v52, v62, v6, -v52
	v_mul_f32_e32 v7, v62, v7
	v_fmac_f32_e32 v7, v63, v6
	v_add_f32_e32 v6, v48, v52
	s_waitcnt lgkmcnt(0)
	v_mul_f32_e32 v48, v3, v71
	v_fma_f32 v48, v2, v70, -v48
	v_add_f32_e32 v31, v31, v48
	v_mul_f32_e32 v48, v3, v73
	v_add_f32_e32 v7, v50, v7
	v_mul_f32_e32 v50, v2, v71
	v_fma_f32 v48, v2, v72, -v48
	v_mul_f32_e32 v2, v2, v73
	v_add_f32_e32 v0, v54, v0
	v_fmac_f32_e32 v50, v3, v70
	v_fmac_f32_e32 v2, v3, v72
	v_add_f32_e32 v46, v46, v50
	v_add_f32_e32 v50, v0, v2
	v_mul_f32_e32 v0, v65, v71
	v_add_f32_e32 v48, v1, v48
	v_fma_f32 v0, v64, v70, -v0
	v_mul_f32_e32 v1, v64, v71
	v_add_f32_e32 v5, v58, v5
	v_fmac_f32_e32 v1, v65, v70
	v_add_f32_e32 v4, v4, v0
	v_mul_f32_e32 v0, v65, v73
	v_add_f32_e32 v5, v5, v1
	v_fma_f32 v52, v64, v72, -v0
	ds_read2_b64 v[0:3], v57 offset0:64 offset1:80
	ds_read_b128 v[66:69], v53 offset:4176
	v_mul_f32_e32 v54, v64, v73
	v_add_f32_e32 v52, v6, v52
	v_fmac_f32_e32 v54, v65, v72
	s_waitcnt lgkmcnt(1)
	v_mul_f32_e32 v6, v9, v1
	v_fma_f32 v6, v8, v0, -v6
	v_add_f32_e32 v54, v7, v54
	v_mul_f32_e32 v7, v8, v1
	v_add_f32_e32 v31, v31, v6
	v_mul_f32_e32 v6, v9, v3
	v_fmac_f32_e32 v7, v9, v0
	v_fma_f32 v6, v8, v2, -v6
	v_add_f32_e32 v46, v46, v7
	v_mul_f32_e32 v7, v8, v3
	v_add_f32_e32 v8, v48, v6
	s_waitcnt lgkmcnt(0)
	v_mul_f32_e32 v6, v67, v1
	v_fma_f32 v6, v66, v0, -v6
	v_mul_f32_e32 v1, v66, v1
	v_fmac_f32_e32 v7, v9, v2
	v_fmac_f32_e32 v1, v67, v0
	v_add_f32_e32 v0, v4, v6
	v_mul_f32_e32 v4, v67, v3
	v_add_f32_e32 v9, v50, v7
	v_add_f32_e32 v1, v5, v1
	v_fma_f32 v48, v66, v2, -v4
	ds_read2_b64 v[4:7], v57 offset0:96 offset1:112
	v_mul_f32_e32 v3, v66, v3
	v_fmac_f32_e32 v3, v67, v2
	v_add_f32_e32 v50, v54, v3
	v_add_f32_e32 v48, v52, v48
	s_waitcnt lgkmcnt(0)
	v_mul_f32_e32 v2, v11, v5
	v_fma_f32 v2, v10, v4, -v2
	v_mul_f32_e32 v3, v10, v5
	v_fmac_f32_e32 v3, v11, v4
	v_add_f32_e32 v31, v31, v2
	v_mul_f32_e32 v2, v11, v7
	v_add_f32_e32 v46, v46, v3
	v_fma_f32 v2, v10, v6, -v2
	v_mul_f32_e32 v3, v10, v7
	v_fmac_f32_e32 v3, v11, v6
	v_add_f32_e32 v52, v8, v2
	v_mul_f32_e32 v2, v69, v5
	v_add_f32_e32 v54, v9, v3
	;; [unrolled: 6-line block ×3, first 2 shown]
	v_fma_f32 v4, v68, v6, -v0
	ds_read_b128 v[0:3], v53 offset:96
	ds_read2_b64 v[8:11], v57 offset0:128 offset1:144
	v_mul_f32_e32 v5, v68, v7
	v_fmac_f32_e32 v5, v69, v6
	v_add_f32_e32 v48, v48, v4
	v_add_f32_e32 v50, v50, v5
	s_waitcnt lgkmcnt(0)
	v_mul_f32_e32 v62, v0, v9
	v_fmac_f32_e32 v62, v1, v8
	ds_read_b128 v[4:7], v53 offset:112
	v_add_f32_e32 v46, v46, v62
	ds_read_b128 v[62:65], v53 offset:4192
	v_mul_f32_e32 v60, v1, v9
	v_fma_f32 v60, v0, v8, -v60
	v_add_f32_e32 v31, v31, v60
	v_mul_f32_e32 v60, v1, v11
	v_fma_f32 v60, v0, v10, -v60
	v_mul_f32_e32 v0, v0, v11
	ds_read2_b64 v[70:73], v57 offset0:160 offset1:176
	v_fmac_f32_e32 v0, v1, v10
	v_add_f32_e32 v1, v52, v60
	s_waitcnt lgkmcnt(1)
	v_mul_f32_e32 v52, v63, v9
	v_fma_f32 v52, v62, v8, -v52
	v_mul_f32_e32 v9, v62, v9
	v_fmac_f32_e32 v9, v63, v8
	v_add_f32_e32 v8, v56, v52
	v_mul_f32_e32 v52, v63, v11
	v_fma_f32 v52, v62, v10, -v52
	v_mul_f32_e32 v11, v62, v11
	v_fmac_f32_e32 v11, v63, v10
	v_add_f32_e32 v10, v48, v52
	s_waitcnt lgkmcnt(0)
	v_mul_f32_e32 v48, v3, v71
	v_fma_f32 v48, v2, v70, -v48
	v_add_f32_e32 v31, v31, v48
	v_mul_f32_e32 v48, v3, v73
	v_add_f32_e32 v11, v50, v11
	v_mul_f32_e32 v50, v2, v71
	v_fma_f32 v48, v2, v72, -v48
	v_mul_f32_e32 v2, v2, v73
	v_add_f32_e32 v0, v54, v0
	v_fmac_f32_e32 v50, v3, v70
	v_fmac_f32_e32 v2, v3, v72
	v_add_f32_e32 v46, v46, v50
	v_add_f32_e32 v50, v0, v2
	v_mul_f32_e32 v0, v65, v71
	v_add_f32_e32 v48, v1, v48
	v_fma_f32 v0, v64, v70, -v0
	v_mul_f32_e32 v1, v64, v71
	v_add_f32_e32 v9, v58, v9
	v_fmac_f32_e32 v1, v65, v70
	v_add_f32_e32 v8, v8, v0
	v_mul_f32_e32 v0, v65, v73
	v_add_f32_e32 v9, v9, v1
	v_fma_f32 v52, v64, v72, -v0
	ds_read2_b64 v[0:3], v57 offset0:192 offset1:208
	ds_read_b128 v[66:69], v53 offset:4208
	v_add_f32_e32 v52, v10, v52
	v_mul_f32_e32 v54, v64, v73
	v_fmac_f32_e32 v54, v65, v72
	s_waitcnt lgkmcnt(1)
	v_mul_f32_e32 v10, v5, v1
	v_fma_f32 v10, v4, v0, -v10
	v_add_f32_e32 v31, v31, v10
	v_mul_f32_e32 v10, v5, v3
	v_add_f32_e32 v54, v11, v54
	v_mul_f32_e32 v11, v4, v1
	v_fma_f32 v10, v4, v2, -v10
	v_mul_f32_e32 v4, v4, v3
	v_fmac_f32_e32 v11, v5, v0
	v_fmac_f32_e32 v4, v5, v2
	v_add_f32_e32 v5, v48, v10
	s_waitcnt lgkmcnt(0)
	v_mul_f32_e32 v10, v67, v1
	v_fma_f32 v10, v66, v0, -v10
	v_mul_f32_e32 v1, v66, v1
	v_fmac_f32_e32 v1, v67, v0
	v_add_f32_e32 v0, v8, v10
	v_mul_f32_e32 v8, v67, v3
	v_add_f32_e32 v46, v46, v11
	v_add_f32_e32 v1, v9, v1
	v_fma_f32 v48, v66, v2, -v8
	ds_read2_b64 v[8:11], v57 offset0:224 offset1:240
	v_mul_f32_e32 v3, v66, v3
	v_fmac_f32_e32 v3, v67, v2
	v_add_f32_e32 v4, v50, v4
	v_add_f32_e32 v50, v54, v3
	s_waitcnt lgkmcnt(0)
	v_mul_f32_e32 v2, v7, v9
	v_fma_f32 v2, v6, v8, -v2
	v_mul_f32_e32 v3, v6, v9
	v_fmac_f32_e32 v3, v7, v8
	v_add_f32_e32 v31, v31, v2
	v_mul_f32_e32 v2, v7, v11
	v_add_f32_e32 v46, v46, v3
	v_fma_f32 v2, v6, v10, -v2
	v_mul_f32_e32 v3, v6, v11
	v_add_f32_e32 v48, v52, v48
	v_fmac_f32_e32 v3, v7, v10
	v_add_f32_e32 v52, v5, v2
	v_mul_f32_e32 v2, v69, v9
	v_add_f32_e32 v54, v4, v3
	v_fma_f32 v2, v68, v8, -v2
	v_mul_f32_e32 v3, v68, v9
	v_fmac_f32_e32 v3, v69, v8
	v_add_f32_e32 v56, v0, v2
	v_mul_f32_e32 v0, v69, v11
	v_add_f32_e32 v58, v1, v3
	v_fma_f32 v8, v68, v10, -v0
	ds_read_b128 v[0:3], v53 offset:128
	ds_read2_b64 v[4:7], v59 offset1:16
	v_mul_f32_e32 v9, v68, v11
	v_fmac_f32_e32 v9, v69, v10
	v_add_f32_e32 v48, v48, v8
	v_add_f32_e32 v50, v50, v9
	s_waitcnt lgkmcnt(0)
	v_mul_f32_e32 v62, v0, v5
	v_fmac_f32_e32 v62, v1, v4
	ds_read_b128 v[8:11], v53 offset:144
	v_add_f32_e32 v46, v46, v62
	ds_read_b128 v[62:65], v53 offset:4224
	v_mul_f32_e32 v60, v1, v5
	v_fma_f32 v60, v0, v4, -v60
	v_add_f32_e32 v31, v31, v60
	v_mul_f32_e32 v60, v1, v7
	v_fma_f32 v60, v0, v6, -v60
	v_mul_f32_e32 v0, v0, v7
	ds_read2_b64 v[70:73], v59 offset0:32 offset1:48
	v_fmac_f32_e32 v0, v1, v6
	v_add_f32_e32 v1, v52, v60
	s_waitcnt lgkmcnt(1)
	v_mul_f32_e32 v52, v63, v5
	v_fma_f32 v52, v62, v4, -v52
	v_mul_f32_e32 v5, v62, v5
	v_fmac_f32_e32 v5, v63, v4
	v_add_f32_e32 v4, v56, v52
	v_mul_f32_e32 v52, v63, v7
	v_fma_f32 v52, v62, v6, -v52
	v_mul_f32_e32 v7, v62, v7
	v_fmac_f32_e32 v7, v63, v6
	v_add_f32_e32 v6, v48, v52
	s_waitcnt lgkmcnt(0)
	v_mul_f32_e32 v48, v3, v71
	v_fma_f32 v48, v2, v70, -v48
	v_add_f32_e32 v31, v31, v48
	v_mul_f32_e32 v48, v3, v73
	v_add_f32_e32 v7, v50, v7
	v_mul_f32_e32 v50, v2, v71
	v_fma_f32 v48, v2, v72, -v48
	v_mul_f32_e32 v2, v2, v73
	v_add_f32_e32 v0, v54, v0
	v_fmac_f32_e32 v50, v3, v70
	v_fmac_f32_e32 v2, v3, v72
	v_add_f32_e32 v46, v46, v50
	v_add_f32_e32 v50, v0, v2
	v_mul_f32_e32 v0, v65, v71
	v_add_f32_e32 v48, v1, v48
	v_fma_f32 v0, v64, v70, -v0
	v_mul_f32_e32 v1, v64, v71
	v_add_f32_e32 v5, v58, v5
	v_fmac_f32_e32 v1, v65, v70
	v_add_f32_e32 v4, v4, v0
	v_mul_f32_e32 v0, v65, v73
	v_add_f32_e32 v5, v5, v1
	v_fma_f32 v52, v64, v72, -v0
	ds_read2_b64 v[0:3], v59 offset0:64 offset1:80
	ds_read_b128 v[66:69], v53 offset:4240
	v_mul_f32_e32 v54, v64, v73
	v_add_f32_e32 v52, v6, v52
	v_fmac_f32_e32 v54, v65, v72
	s_waitcnt lgkmcnt(1)
	v_mul_f32_e32 v6, v9, v1
	v_fma_f32 v6, v8, v0, -v6
	v_add_f32_e32 v54, v7, v54
	v_mul_f32_e32 v7, v8, v1
	v_add_f32_e32 v31, v31, v6
	v_mul_f32_e32 v6, v9, v3
	v_fmac_f32_e32 v7, v9, v0
	v_fma_f32 v6, v8, v2, -v6
	v_add_f32_e32 v46, v46, v7
	v_mul_f32_e32 v7, v8, v3
	v_add_f32_e32 v8, v48, v6
	s_waitcnt lgkmcnt(0)
	v_mul_f32_e32 v6, v67, v1
	v_fma_f32 v6, v66, v0, -v6
	v_mul_f32_e32 v1, v66, v1
	v_fmac_f32_e32 v7, v9, v2
	v_fmac_f32_e32 v1, v67, v0
	v_add_f32_e32 v0, v4, v6
	v_mul_f32_e32 v4, v67, v3
	v_add_f32_e32 v9, v50, v7
	v_add_f32_e32 v1, v5, v1
	v_fma_f32 v48, v66, v2, -v4
	ds_read2_b64 v[4:7], v59 offset0:96 offset1:112
	v_mul_f32_e32 v3, v66, v3
	v_fmac_f32_e32 v3, v67, v2
	v_add_f32_e32 v50, v54, v3
	v_add_f32_e32 v48, v52, v48
	s_waitcnt lgkmcnt(0)
	v_mul_f32_e32 v2, v11, v5
	v_fma_f32 v2, v10, v4, -v2
	v_mul_f32_e32 v3, v10, v5
	v_fmac_f32_e32 v3, v11, v4
	v_add_f32_e32 v31, v31, v2
	v_mul_f32_e32 v2, v11, v7
	v_add_f32_e32 v46, v46, v3
	v_fma_f32 v2, v10, v6, -v2
	v_mul_f32_e32 v3, v10, v7
	v_fmac_f32_e32 v3, v11, v6
	v_add_f32_e32 v52, v8, v2
	v_mul_f32_e32 v2, v69, v5
	v_add_f32_e32 v54, v9, v3
	;; [unrolled: 6-line block ×3, first 2 shown]
	v_fma_f32 v4, v68, v6, -v0
	ds_read_b128 v[0:3], v53 offset:160
	ds_read2_b64 v[8:11], v59 offset0:128 offset1:144
	v_mul_f32_e32 v5, v68, v7
	v_fmac_f32_e32 v5, v69, v6
	v_add_f32_e32 v48, v48, v4
	v_add_f32_e32 v50, v50, v5
	s_waitcnt lgkmcnt(0)
	v_mul_f32_e32 v62, v0, v9
	v_fmac_f32_e32 v62, v1, v8
	ds_read_b128 v[4:7], v53 offset:176
	v_add_f32_e32 v46, v46, v62
	ds_read_b128 v[62:65], v53 offset:4256
	v_mul_f32_e32 v60, v1, v9
	v_fma_f32 v60, v0, v8, -v60
	v_add_f32_e32 v31, v31, v60
	v_mul_f32_e32 v60, v1, v11
	v_fma_f32 v60, v0, v10, -v60
	v_mul_f32_e32 v0, v0, v11
	ds_read2_b64 v[70:73], v59 offset0:160 offset1:176
	v_fmac_f32_e32 v0, v1, v10
	v_add_f32_e32 v1, v52, v60
	s_waitcnt lgkmcnt(1)
	v_mul_f32_e32 v52, v63, v9
	v_fma_f32 v52, v62, v8, -v52
	v_mul_f32_e32 v9, v62, v9
	v_fmac_f32_e32 v9, v63, v8
	v_add_f32_e32 v8, v56, v52
	v_mul_f32_e32 v52, v63, v11
	v_fma_f32 v52, v62, v10, -v52
	v_mul_f32_e32 v11, v62, v11
	v_fmac_f32_e32 v11, v63, v10
	v_add_f32_e32 v10, v48, v52
	s_waitcnt lgkmcnt(0)
	v_mul_f32_e32 v48, v3, v71
	v_fma_f32 v48, v2, v70, -v48
	v_add_f32_e32 v31, v31, v48
	v_mul_f32_e32 v48, v3, v73
	v_add_f32_e32 v11, v50, v11
	v_mul_f32_e32 v50, v2, v71
	v_fma_f32 v48, v2, v72, -v48
	v_mul_f32_e32 v2, v2, v73
	v_add_f32_e32 v0, v54, v0
	v_fmac_f32_e32 v50, v3, v70
	v_fmac_f32_e32 v2, v3, v72
	v_add_f32_e32 v46, v46, v50
	v_add_f32_e32 v50, v0, v2
	v_mul_f32_e32 v0, v65, v71
	v_add_f32_e32 v48, v1, v48
	v_fma_f32 v0, v64, v70, -v0
	v_mul_f32_e32 v1, v64, v71
	v_add_f32_e32 v9, v58, v9
	v_fmac_f32_e32 v1, v65, v70
	v_add_f32_e32 v8, v8, v0
	v_mul_f32_e32 v0, v65, v73
	v_add_f32_e32 v9, v9, v1
	v_fma_f32 v52, v64, v72, -v0
	ds_read2_b64 v[0:3], v59 offset0:192 offset1:208
	ds_read_b128 v[66:69], v53 offset:4272
	v_add_f32_e32 v52, v10, v52
	v_mul_f32_e32 v54, v64, v73
	v_fmac_f32_e32 v54, v65, v72
	s_waitcnt lgkmcnt(1)
	v_mul_f32_e32 v10, v5, v1
	v_fma_f32 v10, v4, v0, -v10
	v_add_f32_e32 v31, v31, v10
	v_mul_f32_e32 v10, v5, v3
	v_add_f32_e32 v54, v11, v54
	v_mul_f32_e32 v11, v4, v1
	v_fma_f32 v10, v4, v2, -v10
	v_mul_f32_e32 v4, v4, v3
	v_fmac_f32_e32 v11, v5, v0
	v_fmac_f32_e32 v4, v5, v2
	v_add_f32_e32 v5, v48, v10
	s_waitcnt lgkmcnt(0)
	v_mul_f32_e32 v10, v67, v1
	v_fma_f32 v10, v66, v0, -v10
	v_mul_f32_e32 v1, v66, v1
	v_fmac_f32_e32 v1, v67, v0
	v_add_f32_e32 v0, v8, v10
	v_mul_f32_e32 v8, v67, v3
	v_add_f32_e32 v46, v46, v11
	v_add_f32_e32 v1, v9, v1
	v_fma_f32 v48, v66, v2, -v8
	ds_read2_b64 v[8:11], v59 offset0:224 offset1:240
	v_mul_f32_e32 v3, v66, v3
	v_fmac_f32_e32 v3, v67, v2
	v_add_f32_e32 v4, v50, v4
	v_add_f32_e32 v50, v54, v3
	s_waitcnt lgkmcnt(0)
	v_mul_f32_e32 v2, v7, v9
	v_fma_f32 v2, v6, v8, -v2
	v_mul_f32_e32 v3, v6, v9
	v_fmac_f32_e32 v3, v7, v8
	v_add_f32_e32 v31, v31, v2
	v_mul_f32_e32 v2, v7, v11
	v_add_f32_e32 v46, v46, v3
	v_fma_f32 v2, v6, v10, -v2
	v_mul_f32_e32 v3, v6, v11
	v_add_f32_e32 v48, v52, v48
	v_fmac_f32_e32 v3, v7, v10
	v_add_f32_e32 v52, v5, v2
	v_mul_f32_e32 v2, v69, v9
	v_add_f32_e32 v54, v4, v3
	v_fma_f32 v2, v68, v8, -v2
	v_mul_f32_e32 v3, v68, v9
	v_fmac_f32_e32 v3, v69, v8
	v_add_f32_e32 v56, v0, v2
	v_mul_f32_e32 v0, v69, v11
	v_add_f32_e32 v58, v1, v3
	v_fma_f32 v8, v68, v10, -v0
	ds_read_b128 v[0:3], v53 offset:192
	ds_read2_b64 v[4:7], v61 offset1:16
	v_mul_f32_e32 v9, v68, v11
	v_fmac_f32_e32 v9, v69, v10
	v_add_f32_e32 v48, v48, v8
	v_add_f32_e32 v50, v50, v9
	s_waitcnt lgkmcnt(0)
	v_mul_f32_e32 v62, v0, v5
	v_fmac_f32_e32 v62, v1, v4
	ds_read_b128 v[8:11], v53 offset:208
	v_add_f32_e32 v46, v46, v62
	ds_read_b128 v[62:65], v53 offset:4288
	v_mul_f32_e32 v60, v1, v5
	v_fma_f32 v60, v0, v4, -v60
	v_add_f32_e32 v31, v31, v60
	v_mul_f32_e32 v60, v1, v7
	v_fma_f32 v60, v0, v6, -v60
	v_mul_f32_e32 v0, v0, v7
	ds_read2_b64 v[70:73], v61 offset0:32 offset1:48
	v_fmac_f32_e32 v0, v1, v6
	v_add_f32_e32 v1, v52, v60
	s_waitcnt lgkmcnt(1)
	v_mul_f32_e32 v52, v63, v5
	v_fma_f32 v52, v62, v4, -v52
	v_mul_f32_e32 v5, v62, v5
	v_fmac_f32_e32 v5, v63, v4
	v_add_f32_e32 v4, v56, v52
	v_mul_f32_e32 v52, v63, v7
	v_fma_f32 v52, v62, v6, -v52
	v_mul_f32_e32 v7, v62, v7
	v_fmac_f32_e32 v7, v63, v6
	v_add_f32_e32 v6, v48, v52
	s_waitcnt lgkmcnt(0)
	v_mul_f32_e32 v48, v3, v71
	v_fma_f32 v48, v2, v70, -v48
	v_add_f32_e32 v31, v31, v48
	v_mul_f32_e32 v48, v3, v73
	v_add_f32_e32 v7, v50, v7
	v_mul_f32_e32 v50, v2, v71
	v_fma_f32 v48, v2, v72, -v48
	v_mul_f32_e32 v2, v2, v73
	v_add_f32_e32 v0, v54, v0
	v_fmac_f32_e32 v50, v3, v70
	v_fmac_f32_e32 v2, v3, v72
	v_add_f32_e32 v46, v46, v50
	v_add_f32_e32 v50, v0, v2
	v_mul_f32_e32 v0, v65, v71
	v_add_f32_e32 v48, v1, v48
	v_fma_f32 v0, v64, v70, -v0
	v_mul_f32_e32 v1, v64, v71
	v_add_f32_e32 v5, v58, v5
	v_fmac_f32_e32 v1, v65, v70
	v_add_f32_e32 v4, v4, v0
	v_mul_f32_e32 v0, v65, v73
	v_add_f32_e32 v5, v5, v1
	v_fma_f32 v52, v64, v72, -v0
	ds_read2_b64 v[0:3], v61 offset0:64 offset1:80
	ds_read_b128 v[66:69], v53 offset:4304
	v_mul_f32_e32 v54, v64, v73
	v_add_f32_e32 v52, v6, v52
	v_fmac_f32_e32 v54, v65, v72
	s_waitcnt lgkmcnt(1)
	v_mul_f32_e32 v6, v9, v1
	v_fma_f32 v6, v8, v0, -v6
	v_add_f32_e32 v54, v7, v54
	v_mul_f32_e32 v7, v8, v1
	v_add_f32_e32 v31, v31, v6
	v_mul_f32_e32 v6, v9, v3
	v_fmac_f32_e32 v7, v9, v0
	v_fma_f32 v6, v8, v2, -v6
	v_add_f32_e32 v46, v46, v7
	v_mul_f32_e32 v7, v8, v3
	v_add_f32_e32 v8, v48, v6
	s_waitcnt lgkmcnt(0)
	v_mul_f32_e32 v6, v67, v1
	v_fma_f32 v6, v66, v0, -v6
	v_mul_f32_e32 v1, v66, v1
	v_fmac_f32_e32 v7, v9, v2
	v_fmac_f32_e32 v1, v67, v0
	v_add_f32_e32 v0, v4, v6
	v_mul_f32_e32 v4, v67, v3
	v_add_f32_e32 v9, v50, v7
	v_add_f32_e32 v1, v5, v1
	v_fma_f32 v48, v66, v2, -v4
	ds_read2_b64 v[4:7], v61 offset0:96 offset1:112
	v_mul_f32_e32 v3, v66, v3
	v_fmac_f32_e32 v3, v67, v2
	v_add_f32_e32 v50, v54, v3
	v_add_f32_e32 v48, v52, v48
	s_waitcnt lgkmcnt(0)
	v_mul_f32_e32 v2, v11, v5
	v_fma_f32 v2, v10, v4, -v2
	v_mul_f32_e32 v3, v10, v5
	v_fmac_f32_e32 v3, v11, v4
	v_add_f32_e32 v31, v31, v2
	v_mul_f32_e32 v2, v11, v7
	v_add_f32_e32 v46, v46, v3
	v_fma_f32 v2, v10, v6, -v2
	v_mul_f32_e32 v3, v10, v7
	v_fmac_f32_e32 v3, v11, v6
	v_add_f32_e32 v52, v8, v2
	v_mul_f32_e32 v2, v69, v5
	v_add_f32_e32 v54, v9, v3
	;; [unrolled: 6-line block ×3, first 2 shown]
	v_fma_f32 v4, v68, v6, -v0
	ds_read_b128 v[0:3], v53 offset:224
	ds_read2_b64 v[8:11], v61 offset0:128 offset1:144
	v_mul_f32_e32 v5, v68, v7
	v_fmac_f32_e32 v5, v69, v6
	v_add_f32_e32 v48, v48, v4
	v_add_f32_e32 v50, v50, v5
	s_waitcnt lgkmcnt(0)
	v_mul_f32_e32 v62, v0, v9
	v_fmac_f32_e32 v62, v1, v8
	ds_read_b128 v[4:7], v53 offset:240
	v_add_f32_e32 v46, v46, v62
	ds_read_b128 v[62:65], v53 offset:4320
	v_mul_f32_e32 v60, v1, v9
	v_fma_f32 v60, v0, v8, -v60
	v_add_f32_e32 v31, v31, v60
	v_mul_f32_e32 v60, v1, v11
	v_fma_f32 v60, v0, v10, -v60
	v_mul_f32_e32 v0, v0, v11
	ds_read2_b64 v[70:73], v61 offset0:160 offset1:176
	v_fmac_f32_e32 v0, v1, v10
	v_add_f32_e32 v1, v52, v60
	s_waitcnt lgkmcnt(1)
	v_mul_f32_e32 v52, v63, v9
	v_fma_f32 v52, v62, v8, -v52
	v_mul_f32_e32 v9, v62, v9
	v_fmac_f32_e32 v9, v63, v8
	v_add_f32_e32 v8, v56, v52
	v_mul_f32_e32 v52, v63, v11
	v_fma_f32 v52, v62, v10, -v52
	v_mul_f32_e32 v11, v62, v11
	v_fmac_f32_e32 v11, v63, v10
	v_add_f32_e32 v10, v48, v52
	s_waitcnt lgkmcnt(0)
	v_mul_f32_e32 v48, v3, v71
	v_fma_f32 v48, v2, v70, -v48
	v_add_f32_e32 v31, v31, v48
	v_mul_f32_e32 v48, v3, v73
	v_add_f32_e32 v11, v50, v11
	v_mul_f32_e32 v50, v2, v71
	v_fma_f32 v48, v2, v72, -v48
	v_mul_f32_e32 v2, v2, v73
	v_add_f32_e32 v0, v54, v0
	v_fmac_f32_e32 v50, v3, v70
	v_fmac_f32_e32 v2, v3, v72
	v_add_f32_e32 v46, v46, v50
	v_add_f32_e32 v50, v0, v2
	v_mul_f32_e32 v0, v65, v71
	v_add_f32_e32 v48, v1, v48
	v_fma_f32 v0, v64, v70, -v0
	v_mul_f32_e32 v1, v64, v71
	v_add_f32_e32 v9, v58, v9
	v_fmac_f32_e32 v1, v65, v70
	v_add_f32_e32 v8, v8, v0
	v_mul_f32_e32 v0, v65, v73
	v_add_f32_e32 v9, v9, v1
	v_fma_f32 v52, v64, v72, -v0
	ds_read2_b64 v[0:3], v61 offset0:192 offset1:208
	ds_read_b128 v[66:69], v53 offset:4336
	v_add_f32_e32 v52, v10, v52
	v_mul_f32_e32 v54, v64, v73
	v_fmac_f32_e32 v54, v65, v72
	s_waitcnt lgkmcnt(1)
	v_mul_f32_e32 v10, v5, v1
	v_fma_f32 v10, v4, v0, -v10
	v_add_f32_e32 v31, v31, v10
	v_mul_f32_e32 v10, v5, v3
	v_add_f32_e32 v54, v11, v54
	v_mul_f32_e32 v11, v4, v1
	v_fma_f32 v10, v4, v2, -v10
	v_mul_f32_e32 v4, v4, v3
	v_fmac_f32_e32 v11, v5, v0
	v_fmac_f32_e32 v4, v5, v2
	v_add_f32_e32 v5, v48, v10
	s_waitcnt lgkmcnt(0)
	v_mul_f32_e32 v10, v67, v1
	v_fma_f32 v10, v66, v0, -v10
	v_mul_f32_e32 v1, v66, v1
	v_fmac_f32_e32 v1, v67, v0
	v_add_f32_e32 v0, v8, v10
	v_mul_f32_e32 v8, v67, v3
	v_add_f32_e32 v46, v46, v11
	v_add_f32_e32 v1, v9, v1
	v_fma_f32 v48, v66, v2, -v8
	ds_read2_b64 v[8:11], v61 offset0:224 offset1:240
	v_mul_f32_e32 v3, v66, v3
	v_fmac_f32_e32 v3, v67, v2
	v_add_f32_e32 v2, v52, v48
	v_add_f32_e32 v4, v50, v4
	s_waitcnt lgkmcnt(0)
	v_mul_f32_e32 v48, v7, v9
	v_fma_f32 v48, v6, v8, -v48
	v_add_f32_e32 v58, v31, v48
	v_mul_f32_e32 v31, v7, v11
	v_mul_f32_e32 v50, v6, v9
	v_fma_f32 v31, v6, v10, -v31
	v_mul_f32_e32 v6, v6, v11
	v_fmac_f32_e32 v6, v7, v10
	v_add_f32_e32 v3, v54, v3
	v_add_f32_e32 v54, v5, v31
	;; [unrolled: 1-line block ×3, first 2 shown]
	v_mul_f32_e32 v4, v69, v9
	v_mul_f32_e32 v5, v68, v9
	s_add_u32 s24, s24, 32
	v_fmac_f32_e32 v50, v7, v8
	v_fma_f32 v4, v68, v8, -v4
	v_fmac_f32_e32 v5, v69, v8
	s_addc_u32 s25, s25, 0
	v_add_f32_e32 v60, v46, v50
	v_add_f32_e32 v50, v0, v4
	;; [unrolled: 1-line block ×3, first 2 shown]
	v_mul_f32_e32 v0, v69, v11
	v_mul_f32_e32 v1, v68, v11
	s_add_u32 s20, s20, 0x100
	v_fma_f32 v0, v68, v10, -v0
	v_fmac_f32_e32 v1, v69, v10
	s_addc_u32 s21, s21, 0
	v_add_f32_e32 v48, v2, v0
	v_add_f32_e32 v46, v3, v1
	s_cmp_ge_i32 s24, s2
	s_barrier
	s_cbranch_scc1 .LBB76_52
.LBB76_7:                               ;   Parent Loop BB76_4 Depth=1
                                        ; =>  This Inner Loop Header: Depth=2
	v_lshl_add_u64 v[4:5], v[12:13], 0, s[24:25]
	v_cmp_le_i64_e64 s[12:13], s[40:41], v[4:5]
	v_cmp_eq_u64_e64 s[4:5], s[24:25], v[22:23]
	v_cmp_lt_i64_e64 s[10:11], v[4:5], v[14:15]
	s_and_b64 s[38:39], s[34:35], s[4:5]
	s_or_b64 s[4:5], s[12:13], s[10:11]
	s_or_b64 s[4:5], s[4:5], s[38:39]
	v_lshl_add_u64 v[0:1], v[16:17], 0, s[20:21]
	s_nor_b64 s[4:5], s[0:1], s[4:5]
	s_and_saveexec_b64 s[30:31], s[4:5]
	s_xor_b64 s[4:5], exec, s[30:31]
	s_cbranch_execz .LBB76_9
; %bb.8:                                ;   in Loop: Header=BB76_7 Depth=2
	global_load_dwordx2 v[2:3], v[0:1], off
	s_waitcnt vmcnt(0)
	ds_write_b64 v51, v[2:3]
.LBB76_9:                               ;   in Loop: Header=BB76_7 Depth=2
	s_or_saveexec_b64 s[4:5], s[4:5]
	s_xor_b64 s[30:31], s[38:39], -1
	s_xor_b64 exec, exec, s[4:5]
	s_cbranch_execz .LBB76_15
; %bb.10:                               ;   in Loop: Header=BB76_7 Depth=2
	s_and_saveexec_b64 s[50:51], s[30:31]
	s_xor_b64 s[50:51], exec, s[50:51]
; %bb.11:                               ;   in Loop: Header=BB76_7 Depth=2
	ds_write_b64 v51, v[36:37]
; %bb.12:                               ;   in Loop: Header=BB76_7 Depth=2
	s_andn2_saveexec_b64 s[50:51], s[50:51]
; %bb.13:                               ;   in Loop: Header=BB76_7 Depth=2
	ds_write_b64 v51, v[38:39]
; %bb.14:                               ;   in Loop: Header=BB76_7 Depth=2
	s_or_b64 exec, exec, s[50:51]
.LBB76_15:                              ;   in Loop: Header=BB76_7 Depth=2
	s_or_b64 exec, exec, s[4:5]
	v_cmp_eq_u64_e64 s[4:5], s[24:25], v[24:25]
	s_and_b64 s[50:51], s[34:35], s[4:5]
	v_cmp_gt_i64_e64 s[4:5], v[18:19], v[4:5]
	s_or_b64 s[4:5], s[12:13], s[4:5]
	s_or_b64 s[4:5], s[4:5], s[50:51]
	s_nor_b64 s[4:5], s[14:15], s[4:5]
	v_lshl_add_u64 v[2:3], v[32:33], 0, s[20:21]
	s_and_saveexec_b64 s[12:13], s[4:5]
	s_xor_b64 s[4:5], exec, s[12:13]
	s_cbranch_execz .LBB76_17
; %bb.16:                               ;   in Loop: Header=BB76_7 Depth=2
	global_load_dwordx2 v[6:7], v[2:3], off
	s_waitcnt vmcnt(0)
	ds_write_b64 v51, v[6:7] offset:128
.LBB76_17:                              ;   in Loop: Header=BB76_7 Depth=2
	s_andn2_saveexec_b64 s[4:5], s[4:5]
	s_cbranch_execz .LBB76_23
; %bb.18:                               ;   in Loop: Header=BB76_7 Depth=2
	s_xor_b64 s[12:13], s[50:51], -1
	s_and_saveexec_b64 s[50:51], s[12:13]
	s_xor_b64 s[12:13], exec, s[50:51]
; %bb.19:                               ;   in Loop: Header=BB76_7 Depth=2
	ds_write_b64 v51, v[36:37] offset:128
; %bb.20:                               ;   in Loop: Header=BB76_7 Depth=2
	s_andn2_saveexec_b64 s[12:13], s[12:13]
; %bb.21:                               ;   in Loop: Header=BB76_7 Depth=2
	ds_write_b64 v51, v[38:39] offset:128
; %bb.22:                               ;   in Loop: Header=BB76_7 Depth=2
	s_or_b64 exec, exec, s[12:13]
.LBB76_23:                              ;   in Loop: Header=BB76_7 Depth=2
	s_or_b64 exec, exec, s[4:5]
	v_lshl_add_u64 v[4:5], v[4:5], 0, 16
	v_cmp_eq_u64_e64 s[4:5], s[24:25], v[26:27]
	v_cmp_le_i64_e64 s[12:13], s[40:41], v[4:5]
	s_and_b64 s[50:51], s[34:35], s[4:5]
	v_cmp_lt_i64_e64 s[4:5], v[4:5], v[14:15]
	s_or_b64 s[4:5], s[12:13], s[4:5]
	s_or_b64 s[4:5], s[4:5], s[50:51]
	s_nor_b64 s[4:5], s[0:1], s[4:5]
	s_and_saveexec_b64 s[54:55], s[4:5]
	s_xor_b64 s[4:5], exec, s[54:55]
	s_cbranch_execz .LBB76_25
; %bb.24:                               ;   in Loop: Header=BB76_7 Depth=2
	global_load_dwordx2 v[0:1], v[0:1], off offset:128
	s_waitcnt vmcnt(0)
	ds_write_b64 v51, v[0:1] offset:4096
.LBB76_25:                              ;   in Loop: Header=BB76_7 Depth=2
	s_andn2_saveexec_b64 s[4:5], s[4:5]
	s_cbranch_execz .LBB76_31
; %bb.26:                               ;   in Loop: Header=BB76_7 Depth=2
	s_xor_b64 s[50:51], s[50:51], -1
	s_and_saveexec_b64 s[54:55], s[50:51]
	s_xor_b64 s[50:51], exec, s[54:55]
; %bb.27:                               ;   in Loop: Header=BB76_7 Depth=2
	ds_write_b64 v51, v[36:37] offset:4096
; %bb.28:                               ;   in Loop: Header=BB76_7 Depth=2
	s_andn2_saveexec_b64 s[50:51], s[50:51]
; %bb.29:                               ;   in Loop: Header=BB76_7 Depth=2
	ds_write_b64 v51, v[38:39] offset:4096
; %bb.30:                               ;   in Loop: Header=BB76_7 Depth=2
	s_or_b64 exec, exec, s[50:51]
.LBB76_31:                              ;   in Loop: Header=BB76_7 Depth=2
	s_or_b64 exec, exec, s[4:5]
	s_or_b64 s[4:5], s[12:13], s[10:11]
	s_or_b64 s[4:5], s[4:5], s[38:39]
	s_nor_b64 s[4:5], s[14:15], s[4:5]
	s_and_saveexec_b64 s[10:11], s[4:5]
	s_xor_b64 s[4:5], exec, s[10:11]
	s_cbranch_execz .LBB76_33
; %bb.32:                               ;   in Loop: Header=BB76_7 Depth=2
	global_load_dwordx2 v[0:1], v[2:3], off offset:128
	s_waitcnt vmcnt(0)
	ds_write_b64 v51, v[0:1] offset:4224
.LBB76_33:                              ;   in Loop: Header=BB76_7 Depth=2
	s_andn2_saveexec_b64 s[4:5], s[4:5]
	s_cbranch_execz .LBB76_39
; %bb.34:                               ;   in Loop: Header=BB76_7 Depth=2
	s_and_saveexec_b64 s[10:11], s[30:31]
	s_xor_b64 s[10:11], exec, s[10:11]
; %bb.35:                               ;   in Loop: Header=BB76_7 Depth=2
	ds_write_b64 v51, v[36:37] offset:4224
; %bb.36:                               ;   in Loop: Header=BB76_7 Depth=2
	s_andn2_saveexec_b64 s[10:11], s[10:11]
; %bb.37:                               ;   in Loop: Header=BB76_7 Depth=2
	ds_write_b64 v51, v[38:39] offset:4224
; %bb.38:                               ;   in Loop: Header=BB76_7 Depth=2
	s_or_b64 exec, exec, s[10:11]
.LBB76_39:                              ;   in Loop: Header=BB76_7 Depth=2
	s_or_b64 exec, exec, s[4:5]
	v_lshl_add_u64 v[2:3], v[14:15], 0, s[24:25]
	v_cmp_gt_i64_e64 s[10:11], s[40:41], v[2:3]
	v_lshl_add_u64 v[0:1], v[42:43], 0, s[20:21]
	s_and_b64 s[12:13], vcc, s[10:11]
	v_mov_b32_e32 v4, 0
	v_mov_b32_e32 v5, 0
	s_and_saveexec_b64 s[4:5], s[12:13]
	s_cbranch_execz .LBB76_41
; %bb.40:                               ;   in Loop: Header=BB76_7 Depth=2
	global_load_dwordx2 v[4:5], v[0:1], off
.LBB76_41:                              ;   in Loop: Header=BB76_7 Depth=2
	s_or_b64 exec, exec, s[4:5]
	v_cmp_gt_i64_e64 s[12:13], s[42:43], v[2:3]
	s_and_b64 s[4:5], vcc, s[12:13]
	s_xor_b64 s[4:5], s[4:5], -1
	s_waitcnt vmcnt(0)
	ds_write_b64 v55, v[4:5]
	s_and_saveexec_b64 s[30:31], s[4:5]
	s_xor_b64 s[4:5], exec, s[30:31]
; %bb.42:                               ;   in Loop: Header=BB76_7 Depth=2
	ds_write_b64 v55, v[36:37] offset:128
                                        ; implicit-def: $vgpr0_vgpr1
; %bb.43:                               ;   in Loop: Header=BB76_7 Depth=2
	s_andn2_saveexec_b64 s[4:5], s[4:5]
	s_cbranch_execz .LBB76_45
; %bb.44:                               ;   in Loop: Header=BB76_7 Depth=2
	global_load_dwordx2 v[0:1], v[0:1], off offset:128
	s_waitcnt vmcnt(0)
	ds_write_b64 v55, v[0:1] offset:128
.LBB76_45:                              ;   in Loop: Header=BB76_7 Depth=2
	s_or_b64 exec, exec, s[4:5]
	v_lshl_add_u64 v[0:1], v[44:45], 0, s[20:21]
	s_and_b64 s[10:11], s[8:9], s[10:11]
	v_mov_b32_e32 v2, 0
	v_mov_b32_e32 v3, 0
	s_and_saveexec_b64 s[4:5], s[10:11]
	s_cbranch_execz .LBB76_47
; %bb.46:                               ;   in Loop: Header=BB76_7 Depth=2
	global_load_dwordx2 v[2:3], v[0:1], off
.LBB76_47:                              ;   in Loop: Header=BB76_7 Depth=2
	s_or_b64 exec, exec, s[4:5]
	s_and_b64 s[4:5], s[8:9], s[12:13]
	s_xor_b64 s[4:5], s[4:5], -1
	s_waitcnt vmcnt(0)
	ds_write_b64 v55, v[2:3] offset:4096
	s_and_saveexec_b64 s[10:11], s[4:5]
	s_xor_b64 s[4:5], exec, s[10:11]
; %bb.48:                               ;   in Loop: Header=BB76_7 Depth=2
	ds_write_b64 v55, v[36:37] offset:4224
                                        ; implicit-def: $vgpr0_vgpr1
; %bb.49:                               ;   in Loop: Header=BB76_7 Depth=2
	s_andn2_saveexec_b64 s[4:5], s[4:5]
	s_cbranch_execz .LBB76_6
; %bb.50:                               ;   in Loop: Header=BB76_7 Depth=2
	global_load_dwordx2 v[0:1], v[0:1], off offset:128
	s_waitcnt vmcnt(0)
	ds_write_b64 v55, v[0:1] offset:4224
	s_branch .LBB76_6
.LBB76_51:                              ;   in Loop: Header=BB76_4 Depth=1
	v_mov_b32_e32 v58, 0
	v_mov_b32_e32 v60, 0
	;; [unrolled: 1-line block ×8, first 2 shown]
.LBB76_52:                              ;   in Loop: Header=BB76_4 Depth=1
	v_mul_lo_u32 v2, s49, v40
	v_mul_lo_u32 v3, s48, v41
	v_mad_u64_u32 v[0:1], s[4:5], s48, v40, 0
	v_cmp_gt_i32_e32 vcc, s46, v40
	v_add3_u32 v1, v1, v3, v2
	v_lshl_add_u64 v[0:1], v[0:1], 3, s[22:23]
	s_and_b64 s[8:9], s[16:17], vcc
	s_and_saveexec_b64 s[4:5], s[8:9]
	s_cbranch_execz .LBB76_54
; %bb.53:                               ;   in Loop: Header=BB76_4 Depth=1
	v_lshl_add_u64 v[2:3], v[14:15], 3, v[0:1]
	global_load_dwordx2 v[4:5], v[2:3], off
	v_pk_mul_f32 v[6:7], v[60:61], s[44:45] op_sel_hi:[0,1]
	v_pk_fma_f32 v[8:9], v[58:59], s[18:19], v[6:7] neg_lo:[0,0,1] neg_hi:[0,0,1]
	v_pk_fma_f32 v[6:7], v[58:59], s[18:19], v[6:7] op_sel_hi:[0,1,1]
	v_mov_b32_e32 v9, v7
	s_waitcnt vmcnt(0)
	v_pk_add_f32 v[4:5], v[4:5], v[8:9]
	global_store_dwordx2 v[2:3], v[4:5], off
.LBB76_54:                              ;   in Loop: Header=BB76_4 Depth=1
	s_or_b64 exec, exec, s[4:5]
	s_and_b64 s[8:9], s[6:7], vcc
	s_and_saveexec_b64 s[4:5], s[8:9]
	s_cbranch_execz .LBB76_56
; %bb.55:                               ;   in Loop: Header=BB76_4 Depth=1
	v_lshl_add_u64 v[0:1], v[20:21], 3, v[0:1]
	global_load_dwordx2 v[2:3], v[0:1], off
	v_pk_mul_f32 v[4:5], v[56:57], s[44:45] op_sel_hi:[0,1]
	v_pk_fma_f32 v[6:7], v[54:55], s[18:19], v[4:5] neg_lo:[0,0,1] neg_hi:[0,0,1]
	v_pk_fma_f32 v[4:5], v[54:55], s[18:19], v[4:5] op_sel_hi:[0,1,1]
	v_mov_b32_e32 v7, v5
	s_waitcnt vmcnt(0)
	v_pk_add_f32 v[2:3], v[2:3], v[6:7]
	global_store_dwordx2 v[0:1], v[2:3], off
.LBB76_56:                              ;   in Loop: Header=BB76_4 Depth=1
	s_or_b64 exec, exec, s[4:5]
	v_add_u32_e32 v0, 16, v40
	v_ashrrev_i32_e32 v1, 31, v0
	v_cmp_gt_i32_e32 vcc, s46, v0
	v_mul_lo_u32 v2, s48, v1
	v_mul_lo_u32 v3, s49, v0
	v_mad_u64_u32 v[0:1], s[4:5], s48, v0, 0
	v_add3_u32 v1, v1, v2, v3
	v_lshl_add_u64 v[0:1], v[0:1], 3, s[22:23]
	s_and_b64 s[8:9], s[16:17], vcc
	s_and_saveexec_b64 s[4:5], s[8:9]
	s_cbranch_execz .LBB76_58
; %bb.57:                               ;   in Loop: Header=BB76_4 Depth=1
	v_lshl_add_u64 v[2:3], v[14:15], 3, v[0:1]
	global_load_dwordx2 v[4:5], v[2:3], off
	v_pk_mul_f32 v[6:7], v[52:53], s[44:45] op_sel_hi:[0,1]
	v_pk_fma_f32 v[8:9], v[50:51], s[18:19], v[6:7] neg_lo:[0,0,1] neg_hi:[0,0,1]
	v_pk_fma_f32 v[6:7], v[50:51], s[18:19], v[6:7] op_sel_hi:[0,1,1]
	v_mov_b32_e32 v9, v7
	s_waitcnt vmcnt(0)
	v_pk_add_f32 v[4:5], v[4:5], v[8:9]
	global_store_dwordx2 v[2:3], v[4:5], off
.LBB76_58:                              ;   in Loop: Header=BB76_4 Depth=1
	s_or_b64 exec, exec, s[4:5]
	s_and_b64 s[8:9], s[6:7], vcc
	s_and_saveexec_b64 s[4:5], s[8:9]
	s_cbranch_execz .LBB76_3
; %bb.59:                               ;   in Loop: Header=BB76_4 Depth=1
	v_lshl_add_u64 v[0:1], v[20:21], 3, v[0:1]
	global_load_dwordx2 v[2:3], v[0:1], off
	v_pk_mul_f32 v[4:5], v[46:47], s[44:45] op_sel_hi:[0,1]
	v_pk_fma_f32 v[6:7], v[48:49], s[18:19], v[4:5] neg_lo:[0,0,1] neg_hi:[0,0,1]
	v_pk_fma_f32 v[4:5], v[48:49], s[18:19], v[4:5] op_sel_hi:[0,1,1]
	v_mov_b32_e32 v7, v5
	s_waitcnt vmcnt(0)
	v_pk_add_f32 v[2:3], v[2:3], v[6:7]
	global_store_dwordx2 v[0:1], v[2:3], off
	s_branch .LBB76_3
.LBB76_60:
	s_endpgm
	.section	.rodata,"a",@progbits
	.p2align	6, 0x0
	.amdhsa_kernel _ZL30rocblas_trmm_outofplace_kernelI19rocblas_complex_numIfELi32ELi2ELb1ELb0ELb1ELb0EPKS1_S2_S1_Ev17rocblas_diagonal_iiT6_lPT7_lllS7_lllPT8_llli
		.amdhsa_group_segment_fixed_size 16384
		.amdhsa_private_segment_fixed_size 0
		.amdhsa_kernarg_size 392
		.amdhsa_user_sgpr_count 2
		.amdhsa_user_sgpr_dispatch_ptr 0
		.amdhsa_user_sgpr_queue_ptr 0
		.amdhsa_user_sgpr_kernarg_segment_ptr 1
		.amdhsa_user_sgpr_dispatch_id 0
		.amdhsa_user_sgpr_kernarg_preload_length 0
		.amdhsa_user_sgpr_kernarg_preload_offset 0
		.amdhsa_user_sgpr_private_segment_size 0
		.amdhsa_uses_dynamic_stack 0
		.amdhsa_enable_private_segment 0
		.amdhsa_system_sgpr_workgroup_id_x 1
		.amdhsa_system_sgpr_workgroup_id_y 1
		.amdhsa_system_sgpr_workgroup_id_z 1
		.amdhsa_system_sgpr_workgroup_info 0
		.amdhsa_system_vgpr_workitem_id 1
		.amdhsa_next_free_vgpr 82
		.amdhsa_next_free_sgpr 56
		.amdhsa_accum_offset 84
		.amdhsa_reserve_vcc 1
		.amdhsa_float_round_mode_32 0
		.amdhsa_float_round_mode_16_64 0
		.amdhsa_float_denorm_mode_32 3
		.amdhsa_float_denorm_mode_16_64 3
		.amdhsa_dx10_clamp 1
		.amdhsa_ieee_mode 1
		.amdhsa_fp16_overflow 0
		.amdhsa_tg_split 0
		.amdhsa_exception_fp_ieee_invalid_op 0
		.amdhsa_exception_fp_denorm_src 0
		.amdhsa_exception_fp_ieee_div_zero 0
		.amdhsa_exception_fp_ieee_overflow 0
		.amdhsa_exception_fp_ieee_underflow 0
		.amdhsa_exception_fp_ieee_inexact 0
		.amdhsa_exception_int_div_zero 0
	.end_amdhsa_kernel
	.section	.text._ZL30rocblas_trmm_outofplace_kernelI19rocblas_complex_numIfELi32ELi2ELb1ELb0ELb1ELb0EPKS1_S2_S1_Ev17rocblas_diagonal_iiT6_lPT7_lllS7_lllPT8_llli,"axG",@progbits,_ZL30rocblas_trmm_outofplace_kernelI19rocblas_complex_numIfELi32ELi2ELb1ELb0ELb1ELb0EPKS1_S2_S1_Ev17rocblas_diagonal_iiT6_lPT7_lllS7_lllPT8_llli,comdat
.Lfunc_end76:
	.size	_ZL30rocblas_trmm_outofplace_kernelI19rocblas_complex_numIfELi32ELi2ELb1ELb0ELb1ELb0EPKS1_S2_S1_Ev17rocblas_diagonal_iiT6_lPT7_lllS7_lllPT8_llli, .Lfunc_end76-_ZL30rocblas_trmm_outofplace_kernelI19rocblas_complex_numIfELi32ELi2ELb1ELb0ELb1ELb0EPKS1_S2_S1_Ev17rocblas_diagonal_iiT6_lPT7_lllS7_lllPT8_llli
                                        ; -- End function
	.set _ZL30rocblas_trmm_outofplace_kernelI19rocblas_complex_numIfELi32ELi2ELb1ELb0ELb1ELb0EPKS1_S2_S1_Ev17rocblas_diagonal_iiT6_lPT7_lllS7_lllPT8_llli.num_vgpr, 82
	.set _ZL30rocblas_trmm_outofplace_kernelI19rocblas_complex_numIfELi32ELi2ELb1ELb0ELb1ELb0EPKS1_S2_S1_Ev17rocblas_diagonal_iiT6_lPT7_lllS7_lllPT8_llli.num_agpr, 0
	.set _ZL30rocblas_trmm_outofplace_kernelI19rocblas_complex_numIfELi32ELi2ELb1ELb0ELb1ELb0EPKS1_S2_S1_Ev17rocblas_diagonal_iiT6_lPT7_lllS7_lllPT8_llli.numbered_sgpr, 56
	.set _ZL30rocblas_trmm_outofplace_kernelI19rocblas_complex_numIfELi32ELi2ELb1ELb0ELb1ELb0EPKS1_S2_S1_Ev17rocblas_diagonal_iiT6_lPT7_lllS7_lllPT8_llli.num_named_barrier, 0
	.set _ZL30rocblas_trmm_outofplace_kernelI19rocblas_complex_numIfELi32ELi2ELb1ELb0ELb1ELb0EPKS1_S2_S1_Ev17rocblas_diagonal_iiT6_lPT7_lllS7_lllPT8_llli.private_seg_size, 0
	.set _ZL30rocblas_trmm_outofplace_kernelI19rocblas_complex_numIfELi32ELi2ELb1ELb0ELb1ELb0EPKS1_S2_S1_Ev17rocblas_diagonal_iiT6_lPT7_lllS7_lllPT8_llli.uses_vcc, 1
	.set _ZL30rocblas_trmm_outofplace_kernelI19rocblas_complex_numIfELi32ELi2ELb1ELb0ELb1ELb0EPKS1_S2_S1_Ev17rocblas_diagonal_iiT6_lPT7_lllS7_lllPT8_llli.uses_flat_scratch, 0
	.set _ZL30rocblas_trmm_outofplace_kernelI19rocblas_complex_numIfELi32ELi2ELb1ELb0ELb1ELb0EPKS1_S2_S1_Ev17rocblas_diagonal_iiT6_lPT7_lllS7_lllPT8_llli.has_dyn_sized_stack, 0
	.set _ZL30rocblas_trmm_outofplace_kernelI19rocblas_complex_numIfELi32ELi2ELb1ELb0ELb1ELb0EPKS1_S2_S1_Ev17rocblas_diagonal_iiT6_lPT7_lllS7_lllPT8_llli.has_recursion, 0
	.set _ZL30rocblas_trmm_outofplace_kernelI19rocblas_complex_numIfELi32ELi2ELb1ELb0ELb1ELb0EPKS1_S2_S1_Ev17rocblas_diagonal_iiT6_lPT7_lllS7_lllPT8_llli.has_indirect_call, 0
	.section	.AMDGPU.csdata,"",@progbits
; Kernel info:
; codeLenInByte = 6328
; TotalNumSgprs: 62
; NumVgprs: 82
; NumAgprs: 0
; TotalNumVgprs: 82
; ScratchSize: 0
; MemoryBound: 1
; FloatMode: 240
; IeeeMode: 1
; LDSByteSize: 16384 bytes/workgroup (compile time only)
; SGPRBlocks: 7
; VGPRBlocks: 10
; NumSGPRsForWavesPerEU: 62
; NumVGPRsForWavesPerEU: 82
; AccumOffset: 84
; Occupancy: 5
; WaveLimiterHint : 0
; COMPUTE_PGM_RSRC2:SCRATCH_EN: 0
; COMPUTE_PGM_RSRC2:USER_SGPR: 2
; COMPUTE_PGM_RSRC2:TRAP_HANDLER: 0
; COMPUTE_PGM_RSRC2:TGID_X_EN: 1
; COMPUTE_PGM_RSRC2:TGID_Y_EN: 1
; COMPUTE_PGM_RSRC2:TGID_Z_EN: 1
; COMPUTE_PGM_RSRC2:TIDIG_COMP_CNT: 1
; COMPUTE_PGM_RSRC3_GFX90A:ACCUM_OFFSET: 20
; COMPUTE_PGM_RSRC3_GFX90A:TG_SPLIT: 0
	.section	.text._ZL30rocblas_trmm_outofplace_kernelI19rocblas_complex_numIfELi32ELi2ELb1ELb0ELb1ELb0ES1_KS1_S1_Ev17rocblas_diagonal_iiT6_lPT7_lllS6_lllPT8_llli,"axG",@progbits,_ZL30rocblas_trmm_outofplace_kernelI19rocblas_complex_numIfELi32ELi2ELb1ELb0ELb1ELb0ES1_KS1_S1_Ev17rocblas_diagonal_iiT6_lPT7_lllS6_lllPT8_llli,comdat
	.globl	_ZL30rocblas_trmm_outofplace_kernelI19rocblas_complex_numIfELi32ELi2ELb1ELb0ELb1ELb0ES1_KS1_S1_Ev17rocblas_diagonal_iiT6_lPT7_lllS6_lllPT8_llli ; -- Begin function _ZL30rocblas_trmm_outofplace_kernelI19rocblas_complex_numIfELi32ELi2ELb1ELb0ELb1ELb0ES1_KS1_S1_Ev17rocblas_diagonal_iiT6_lPT7_lllS6_lllPT8_llli
	.p2align	8
	.type	_ZL30rocblas_trmm_outofplace_kernelI19rocblas_complex_numIfELi32ELi2ELb1ELb0ELb1ELb0ES1_KS1_S1_Ev17rocblas_diagonal_iiT6_lPT7_lllS6_lllPT8_llli,@function
_ZL30rocblas_trmm_outofplace_kernelI19rocblas_complex_numIfELi32ELi2ELb1ELb0ELb1ELb0ES1_KS1_S1_Ev17rocblas_diagonal_iiT6_lPT7_lllS6_lllPT8_llli: ; @_ZL30rocblas_trmm_outofplace_kernelI19rocblas_complex_numIfELi32ELi2ELb1ELb0ELb1ELb0ES1_KS1_S1_Ev17rocblas_diagonal_iiT6_lPT7_lllS6_lllPT8_llli
; %bb.0:
	s_load_dwordx4 s[24:27], s[0:1], 0x0
	s_load_dword s29, s[0:1], 0x10
	s_waitcnt lgkmcnt(0)
	s_or_b32 s5, s27, s29
	s_bitset0_b32 s5, 31
	s_cmp_eq_u32 s5, 0
	s_cbranch_scc1 .LBB77_60
; %bb.1:
	s_add_i32 s5, s26, -1
	s_ashr_i32 s6, s5, 31
	s_lshr_b32 s6, s6, 27
	s_add_i32 s5, s5, s6
	s_ashr_i32 s33, s5, 5
	s_cmp_gt_i32 s3, s33
	s_cbranch_scc1 .LBB77_60
; %bb.2:
	s_load_dwordx16 s[36:51], s[0:1], 0x20
	s_load_dwordx8 s[16:23], s[0:1], 0x60
	v_bfe_u32 v47, v0, 10, 10
	v_and_b32_e32 v4, 0x3ff, v0
	s_load_dword s54, s[0:1], 0x8c
	s_waitcnt lgkmcnt(0)
	s_mul_i32 s5, s43, s4
	s_mul_hi_u32 s6, s42, s4
	s_add_i32 s7, s6, s5
	s_mul_i32 s6, s42, s4
	s_lshl_b64 s[8:9], s[6:7], 3
	s_add_u32 s5, s36, s8
	s_addc_u32 s7, s37, s9
	s_lshl_b64 s[10:11], s[38:39], 3
	s_add_u32 s6, s5, s10
	s_mul_i32 s5, s23, s4
	s_mul_hi_u32 s12, s22, s4
	s_addc_u32 s7, s7, s11
	s_add_i32 s13, s12, s5
	s_mul_i32 s12, s22, s4
	s_lshl_b64 s[12:13], s[12:13], 3
	s_add_u32 s5, s16, s12
	s_addc_u32 s14, s17, s13
	s_lshl_b64 s[12:13], s[18:19], 3
	s_add_u32 s22, s5, s12
	s_addc_u32 s23, s14, s13
	s_lshl_b32 s2, s2, 5
	v_add_u32_e32 v12, s2, v47
	v_add_u32_e32 v14, s2, v4
	s_sub_i32 s2, s25, s2
	v_mad_u64_u32 v[0:1], s[12:13], s40, v14, 0
	s_cmp_gt_i32 s2, 0
	s_cselect_b64 s[12:13], -1, 0
	s_cmpk_eq_i32 s24, 0x84
	s_cselect_b64 s[30:31], -1, 0
	s_ashr_i32 s35, s25, 31
	s_ashr_i32 s52, s26, 31
	s_add_u32 s38, s25, -16
	s_mul_i32 s5, s51, s4
	s_mul_hi_u32 s14, s50, s4
	v_ashrrev_i32_e32 v15, 31, v14
	s_addc_u32 s39, s35, -1
	s_add_i32 s5, s14, s5
	s_mul_i32 s4, s50, s4
	v_mul_lo_u32 v2, s40, v15
	v_mul_lo_u32 v3, s41, v14
	s_lshl_b64 s[4:5], s[4:5], 3
	s_lshl_b64 s[14:15], s[46:47], 3
	v_ashrrev_i32_e32 v13, 31, v12
	v_add3_u32 v1, v1, v2, v3
	s_add_u32 s4, s4, s14
	v_lshl_add_u64 v[0:1], v[0:1], 3, s[6:7]
	v_lshlrev_b64 v[2:3], 3, v[12:13]
	s_addc_u32 s5, s5, s15
	v_lshl_add_u64 v[16:17], v[0:1], 0, v[2:3]
	v_lshlrev_b32_e32 v0, 8, v47
	v_lshlrev_b32_e32 v49, 3, v4
	s_add_u32 s4, s44, s4
	v_add_u32_e32 v51, v49, v0
	v_add_u32_e32 v53, 0x2000, v0
	v_add_u32_e32 v20, 16, v14
	v_lshlrev_b64 v[0:1], 3, v[14:15]
	s_addc_u32 s5, s45, s5
	s_mov_b32 s28, s27
	s_mov_b32 s34, s25
	v_cmp_le_i32_e64 s[0:1], s25, v14
	v_cmp_gt_i32_e64 s[18:19], s25, v14
	v_cmp_gt_i32_e64 s[6:7], s25, v20
	s_mov_b32 s25, s27
	v_lshl_add_u64 v[28:29], s[4:5], 0, v[0:1]
	s_lshl_b64 s[42:43], s[48:49], 3
	s_lshl_b32 s27, s54, 5
	s_mov_b64 s[4:5], 0x80
	v_lshl_add_u64 v[0:1], v[0:1], 0, s[4:5]
	s_add_u32 s4, s10, s8
	s_addc_u32 s5, s11, s9
	v_mov_b64_e32 v[4:5], s[4:5]
	v_mul_lo_u32 v6, s40, v1
	v_mul_lo_u32 v7, s41, v0
	v_mad_u64_u32 v[0:1], s[4:5], s40, v0, v[4:5]
	v_add3_u32 v1, v7, v1, v6
	v_sub_co_u32_e32 v22, vcc, v14, v12
	v_lshl_add_u64 v[0:1], v[0:1], 0, v[2:3]
	v_lshl_add_u64 v[18:19], v[14:15], 0, 16
	v_subb_co_u32_e32 v23, vcc, v15, v13, vcc
	v_lshl_add_u64 v[32:33], s[36:37], 0, v[0:1]
	v_cndmask_b32_e64 v0, 0, 1, s[12:13]
	v_mov_b32_e32 v36, 0
	s_mov_b32 s53, s26
	v_add_u32_e32 v55, v53, v49
	v_cmp_le_i64_e64 s[16:17], s[34:35], v[18:19]
	v_ashrrev_i32_e32 v21, 31, v20
	s_mov_b32 s24, s29
	v_lshl_add_u64 v[24:25], v[22:23], 0, 16
	v_lshl_add_u64 v[26:27], v[22:23], 0, -16
	v_lshl_add_u32 v30, s3, 5, v47
	v_cmp_ne_u32_e64 s[8:9], 1, v0
	v_mov_b64_e32 v[34:35], 0x80
	v_mov_b32_e32 v37, v36
	v_mov_b32_e32 v38, 1.0
	v_mov_b32_e32 v39, v36
	v_add_u32_e32 v57, 0x800, v49
	v_add_u32_e32 v59, 0x1000, v49
	;; [unrolled: 1-line block ×3, first 2 shown]
	s_branch .LBB77_4
.LBB77_3:                               ;   in Loop: Header=BB77_4 Depth=1
	s_or_b64 exec, exec, s[4:5]
	s_add_i32 s3, s54, s3
	s_cmp_le_i32 s3, s33
	v_add_u32_e32 v30, s27, v30
	s_cbranch_scc0 .LBB77_60
.LBB77_4:                               ; =>This Loop Header: Depth=1
                                        ;     Child Loop BB77_7 Depth 2
	v_lshl_add_u32 v40, s3, 5, v47
	s_and_b64 vcc, exec, s[8:9]
	v_ashrrev_i32_e32 v41, 31, v40
	s_cbranch_vccnz .LBB77_51
; %bb.5:                                ;   in Loop: Header=BB77_4 Depth=1
	v_ashrrev_i32_e32 v31, 31, v30
	v_mad_u64_u32 v[42:43], s[4:5], s42, v30, v[28:29]
	v_mul_lo_u32 v0, s43, v30
	v_mul_lo_u32 v1, s42, v31
	v_add3_u32 v43, v0, v43, v1
	v_lshl_add_u64 v[0:1], v[30:31], 3, v[34:35]
	v_mul_lo_u32 v1, s48, v1
	v_mul_lo_u32 v2, s49, v0
	v_mad_u64_u32 v[44:45], s[4:5], s48, v0, v[28:29]
	v_add3_u32 v45, v2, v45, v1
	v_mov_b32_e32 v1, s52
	v_sub_co_u32_e32 v0, vcc, s53, v40
	s_mov_b64 s[36:37], 0
	s_nop 0
	v_subb_co_u32_e32 v1, vcc, v1, v41, vcc
	v_cmp_lt_i64_e32 vcc, 0, v[0:1]
	v_cmp_lt_i64_e64 s[10:11], 16, v[0:1]
	v_mov_b32_e32 v46, 0
	s_mov_b64 s[40:41], 0
	v_mov_b32_e32 v48, 0
	v_mov_b32_e32 v52, 0
	;; [unrolled: 1-line block ×7, first 2 shown]
	s_branch .LBB77_7
.LBB77_6:                               ;   in Loop: Header=BB77_7 Depth=2
	s_or_b64 exec, exec, s[4:5]
	s_waitcnt lgkmcnt(0)
	s_barrier
	ds_read2_b64 v[62:65], v49 offset1:16
	ds_read_b128 v[66:69], v53
	ds_read_b128 v[8:11], v53 offset:16
	ds_read_b128 v[4:7], v53 offset:32
	ds_read_b128 v[0:3], v53 offset:48
	ds_read2_b64 v[78:81], v49 offset0:32 offset1:48
	s_waitcnt lgkmcnt(4)
	v_mul_f32_e32 v31, v67, v63
	v_mul_f32_e32 v70, v66, v63
	v_fma_f32 v31, v66, v62, -v31
	v_fmac_f32_e32 v70, v67, v62
	v_add_f32_e32 v31, v58, v31
	v_add_f32_e32 v58, v60, v70
	ds_read_b128 v[70:73], v53 offset:4096
	ds_read_b128 v[74:77], v53 offset:4112
	v_mul_f32_e32 v60, v67, v65
	v_fma_f32 v60, v66, v64, -v60
	v_add_f32_e32 v54, v54, v60
	s_waitcnt lgkmcnt(1)
	v_mul_f32_e32 v60, v71, v63
	v_mul_f32_e32 v63, v70, v63
	v_fma_f32 v60, v70, v62, -v60
	v_fmac_f32_e32 v63, v71, v62
	v_mul_f32_e32 v62, v70, v65
	v_fmac_f32_e32 v62, v71, v64
	v_add_f32_e32 v46, v46, v62
	v_mul_f32_e32 v62, v68, v79
	v_mul_f32_e32 v66, v66, v65
	v_add_f32_e32 v50, v50, v60
	v_mul_f32_e32 v60, v71, v65
	v_fmac_f32_e32 v62, v69, v78
	v_fmac_f32_e32 v66, v67, v64
	v_fma_f32 v60, v70, v64, -v60
	v_add_f32_e32 v58, v58, v62
	v_mul_f32_e32 v62, v68, v81
	v_add_f32_e32 v56, v56, v66
	v_add_f32_e32 v48, v48, v60
	v_mul_f32_e32 v60, v69, v79
	v_fmac_f32_e32 v62, v69, v80
	v_fma_f32 v60, v68, v78, -v60
	v_add_f32_e32 v56, v56, v62
	v_mul_f32_e32 v62, v72, v79
	v_add_f32_e32 v52, v52, v63
	v_add_f32_e32 v31, v31, v60
	v_mul_f32_e32 v60, v69, v81
	v_fmac_f32_e32 v62, v73, v78
	v_fma_f32 v60, v68, v80, -v60
	v_add_f32_e32 v52, v52, v62
	ds_read2_b64 v[62:65], v49 offset0:64 offset1:80
	v_add_f32_e32 v54, v54, v60
	v_mul_f32_e32 v60, v73, v79
	v_fma_f32 v60, v72, v78, -v60
	v_add_f32_e32 v50, v50, v60
	v_mul_f32_e32 v60, v73, v81
	v_fma_f32 v60, v72, v80, -v60
	v_mul_f32_e32 v66, v72, v81
	v_add_f32_e32 v48, v48, v60
	s_waitcnt lgkmcnt(0)
	v_mul_f32_e32 v60, v9, v63
	v_fmac_f32_e32 v66, v73, v80
	v_fma_f32 v60, v8, v62, -v60
	v_add_f32_e32 v46, v46, v66
	v_mul_f32_e32 v66, v8, v63
	v_add_f32_e32 v31, v31, v60
	v_mul_f32_e32 v60, v9, v65
	v_fmac_f32_e32 v66, v9, v62
	v_fma_f32 v60, v8, v64, -v60
	v_mul_f32_e32 v8, v8, v65
	v_add_f32_e32 v58, v58, v66
	v_fmac_f32_e32 v8, v9, v64
	ds_read2_b64 v[66:69], v49 offset0:96 offset1:112
	v_add_f32_e32 v9, v54, v60
	v_add_f32_e32 v8, v56, v8
	v_mul_f32_e32 v54, v75, v63
	v_mul_f32_e32 v56, v74, v63
	v_fma_f32 v54, v74, v62, -v54
	v_fmac_f32_e32 v56, v75, v62
	v_add_f32_e32 v50, v50, v54
	v_add_f32_e32 v52, v52, v56
	v_mul_f32_e32 v54, v75, v65
	v_mul_f32_e32 v56, v74, v65
	v_fma_f32 v54, v74, v64, -v54
	v_fmac_f32_e32 v56, v75, v64
	v_add_f32_e32 v48, v48, v54
	v_add_f32_e32 v46, v46, v56
	s_waitcnt lgkmcnt(0)
	v_mul_f32_e32 v54, v11, v67
	v_mul_f32_e32 v56, v10, v67
	v_fma_f32 v54, v10, v66, -v54
	v_fmac_f32_e32 v56, v11, v66
	v_add_f32_e32 v31, v31, v54
	v_add_f32_e32 v54, v58, v56
	v_mul_f32_e32 v56, v11, v69
	v_fma_f32 v56, v10, v68, -v56
	v_mul_f32_e32 v10, v10, v69
	v_fmac_f32_e32 v10, v11, v68
	v_add_f32_e32 v58, v8, v10
	v_mul_f32_e32 v8, v77, v67
	v_add_f32_e32 v56, v9, v56
	v_fma_f32 v8, v76, v66, -v8
	v_mul_f32_e32 v9, v76, v67
	v_fmac_f32_e32 v9, v77, v66
	v_add_f32_e32 v50, v50, v8
	v_mul_f32_e32 v8, v77, v69
	v_add_f32_e32 v52, v52, v9
	v_fma_f32 v60, v76, v68, -v8
	ds_read2_b64 v[8:11], v49 offset0:128 offset1:144
	v_mul_f32_e32 v62, v76, v69
	v_fmac_f32_e32 v62, v77, v68
	v_add_f32_e32 v46, v46, v62
	v_add_f32_e32 v48, v48, v60
	s_waitcnt lgkmcnt(0)
	v_mul_f32_e32 v62, v4, v9
	v_fmac_f32_e32 v62, v5, v8
	v_add_f32_e32 v54, v54, v62
	ds_read_b128 v[62:65], v53 offset:4128
	ds_read_b128 v[66:69], v53 offset:4144
	v_mul_f32_e32 v60, v5, v9
	v_fma_f32 v60, v4, v8, -v60
	v_add_f32_e32 v31, v31, v60
	v_mul_f32_e32 v60, v5, v11
	v_fma_f32 v60, v4, v10, -v60
	v_mul_f32_e32 v4, v4, v11
	ds_read2_b64 v[70:73], v49 offset0:160 offset1:176
	v_fmac_f32_e32 v4, v5, v10
	v_add_f32_e32 v5, v56, v60
	s_waitcnt lgkmcnt(2)
	v_mul_f32_e32 v56, v63, v9
	v_fma_f32 v56, v62, v8, -v56
	v_mul_f32_e32 v9, v62, v9
	v_fmac_f32_e32 v9, v63, v8
	v_add_f32_e32 v8, v50, v56
	v_mul_f32_e32 v50, v63, v11
	v_mul_f32_e32 v11, v62, v11
	v_fma_f32 v50, v62, v10, -v50
	v_fmac_f32_e32 v11, v63, v10
	v_add_f32_e32 v10, v48, v50
	v_add_f32_e32 v11, v46, v11
	s_waitcnt lgkmcnt(0)
	v_mul_f32_e32 v46, v7, v71
	v_mul_f32_e32 v48, v6, v71
	v_fma_f32 v46, v6, v70, -v46
	v_fmac_f32_e32 v48, v7, v70
	v_add_f32_e32 v31, v31, v46
	v_add_f32_e32 v46, v54, v48
	v_mul_f32_e32 v48, v7, v73
	v_fma_f32 v48, v6, v72, -v48
	v_mul_f32_e32 v6, v6, v73
	v_add_f32_e32 v4, v58, v4
	v_fmac_f32_e32 v6, v7, v72
	v_add_f32_e32 v50, v4, v6
	v_mul_f32_e32 v4, v65, v71
	v_add_f32_e32 v48, v5, v48
	v_fma_f32 v4, v64, v70, -v4
	v_mul_f32_e32 v5, v64, v71
	v_add_f32_e32 v9, v52, v9
	v_fmac_f32_e32 v5, v65, v70
	v_add_f32_e32 v8, v8, v4
	v_mul_f32_e32 v4, v65, v73
	v_add_f32_e32 v9, v9, v5
	v_fma_f32 v52, v64, v72, -v4
	ds_read2_b64 v[4:7], v49 offset0:192 offset1:208
	v_add_f32_e32 v52, v10, v52
	v_mul_f32_e32 v54, v64, v73
	v_fmac_f32_e32 v54, v65, v72
	v_add_f32_e32 v54, v11, v54
	s_waitcnt lgkmcnt(0)
	v_mul_f32_e32 v10, v1, v5
	v_fma_f32 v10, v0, v4, -v10
	v_add_f32_e32 v31, v31, v10
	v_mul_f32_e32 v10, v1, v7
	v_mul_f32_e32 v11, v0, v5
	v_fma_f32 v10, v0, v6, -v10
	v_mul_f32_e32 v0, v0, v7
	v_fmac_f32_e32 v11, v1, v4
	v_fmac_f32_e32 v0, v1, v6
	v_add_f32_e32 v1, v48, v10
	v_mul_f32_e32 v10, v67, v5
	v_fma_f32 v10, v66, v4, -v10
	v_mul_f32_e32 v5, v66, v5
	v_fmac_f32_e32 v5, v67, v4
	v_add_f32_e32 v4, v8, v10
	v_mul_f32_e32 v8, v67, v7
	v_add_f32_e32 v46, v46, v11
	v_add_f32_e32 v5, v9, v5
	v_fma_f32 v48, v66, v6, -v8
	ds_read2_b64 v[8:11], v49 offset0:224 offset1:240
	v_mul_f32_e32 v7, v66, v7
	v_fmac_f32_e32 v7, v67, v6
	v_add_f32_e32 v0, v50, v0
	v_add_f32_e32 v50, v54, v7
	s_waitcnt lgkmcnt(0)
	v_mul_f32_e32 v6, v3, v9
	v_fma_f32 v6, v2, v8, -v6
	v_add_f32_e32 v31, v31, v6
	v_mul_f32_e32 v6, v3, v11
	v_mul_f32_e32 v7, v2, v9
	v_fma_f32 v6, v2, v10, -v6
	v_mul_f32_e32 v2, v2, v11
	v_fmac_f32_e32 v2, v3, v10
	v_add_f32_e32 v54, v0, v2
	v_mul_f32_e32 v0, v69, v9
	v_add_f32_e32 v48, v52, v48
	v_add_f32_e32 v52, v1, v6
	v_fma_f32 v0, v68, v8, -v0
	v_mul_f32_e32 v1, v68, v9
	v_fmac_f32_e32 v7, v3, v8
	v_fmac_f32_e32 v1, v69, v8
	v_add_f32_e32 v56, v4, v0
	v_mul_f32_e32 v0, v69, v11
	v_add_f32_e32 v46, v46, v7
	v_add_f32_e32 v58, v5, v1
	v_fma_f32 v8, v68, v10, -v0
	ds_read_b128 v[0:3], v53 offset:64
	ds_read2_b64 v[4:7], v57 offset1:16
	v_mul_f32_e32 v9, v68, v11
	v_fmac_f32_e32 v9, v69, v10
	v_add_f32_e32 v48, v48, v8
	v_add_f32_e32 v50, v50, v9
	s_waitcnt lgkmcnt(0)
	v_mul_f32_e32 v62, v0, v5
	v_fmac_f32_e32 v62, v1, v4
	ds_read_b128 v[8:11], v53 offset:80
	v_add_f32_e32 v46, v46, v62
	ds_read_b128 v[62:65], v53 offset:4160
	v_mul_f32_e32 v60, v1, v5
	v_fma_f32 v60, v0, v4, -v60
	v_add_f32_e32 v31, v31, v60
	v_mul_f32_e32 v60, v1, v7
	v_fma_f32 v60, v0, v6, -v60
	v_mul_f32_e32 v0, v0, v7
	ds_read2_b64 v[70:73], v57 offset0:32 offset1:48
	v_fmac_f32_e32 v0, v1, v6
	v_add_f32_e32 v1, v52, v60
	s_waitcnt lgkmcnt(1)
	v_mul_f32_e32 v52, v63, v5
	v_fma_f32 v52, v62, v4, -v52
	v_mul_f32_e32 v5, v62, v5
	v_fmac_f32_e32 v5, v63, v4
	v_add_f32_e32 v4, v56, v52
	v_mul_f32_e32 v52, v63, v7
	v_fma_f32 v52, v62, v6, -v52
	v_mul_f32_e32 v7, v62, v7
	v_fmac_f32_e32 v7, v63, v6
	v_add_f32_e32 v6, v48, v52
	s_waitcnt lgkmcnt(0)
	v_mul_f32_e32 v48, v3, v71
	v_fma_f32 v48, v2, v70, -v48
	v_add_f32_e32 v31, v31, v48
	v_mul_f32_e32 v48, v3, v73
	v_add_f32_e32 v7, v50, v7
	v_mul_f32_e32 v50, v2, v71
	v_fma_f32 v48, v2, v72, -v48
	v_mul_f32_e32 v2, v2, v73
	v_add_f32_e32 v0, v54, v0
	v_fmac_f32_e32 v50, v3, v70
	v_fmac_f32_e32 v2, v3, v72
	v_add_f32_e32 v46, v46, v50
	v_add_f32_e32 v50, v0, v2
	v_mul_f32_e32 v0, v65, v71
	v_add_f32_e32 v48, v1, v48
	v_fma_f32 v0, v64, v70, -v0
	v_mul_f32_e32 v1, v64, v71
	v_add_f32_e32 v5, v58, v5
	v_fmac_f32_e32 v1, v65, v70
	v_add_f32_e32 v4, v4, v0
	v_mul_f32_e32 v0, v65, v73
	v_add_f32_e32 v5, v5, v1
	v_fma_f32 v52, v64, v72, -v0
	ds_read2_b64 v[0:3], v57 offset0:64 offset1:80
	ds_read_b128 v[66:69], v53 offset:4176
	v_mul_f32_e32 v54, v64, v73
	v_add_f32_e32 v52, v6, v52
	v_fmac_f32_e32 v54, v65, v72
	s_waitcnt lgkmcnt(1)
	v_mul_f32_e32 v6, v9, v1
	v_fma_f32 v6, v8, v0, -v6
	v_add_f32_e32 v54, v7, v54
	v_mul_f32_e32 v7, v8, v1
	v_add_f32_e32 v31, v31, v6
	v_mul_f32_e32 v6, v9, v3
	v_fmac_f32_e32 v7, v9, v0
	v_fma_f32 v6, v8, v2, -v6
	v_add_f32_e32 v46, v46, v7
	v_mul_f32_e32 v7, v8, v3
	v_add_f32_e32 v8, v48, v6
	s_waitcnt lgkmcnt(0)
	v_mul_f32_e32 v6, v67, v1
	v_fma_f32 v6, v66, v0, -v6
	v_mul_f32_e32 v1, v66, v1
	v_fmac_f32_e32 v7, v9, v2
	v_fmac_f32_e32 v1, v67, v0
	v_add_f32_e32 v0, v4, v6
	v_mul_f32_e32 v4, v67, v3
	v_add_f32_e32 v9, v50, v7
	v_add_f32_e32 v1, v5, v1
	v_fma_f32 v48, v66, v2, -v4
	ds_read2_b64 v[4:7], v57 offset0:96 offset1:112
	v_mul_f32_e32 v3, v66, v3
	v_fmac_f32_e32 v3, v67, v2
	v_add_f32_e32 v50, v54, v3
	v_add_f32_e32 v48, v52, v48
	s_waitcnt lgkmcnt(0)
	v_mul_f32_e32 v2, v11, v5
	v_fma_f32 v2, v10, v4, -v2
	v_mul_f32_e32 v3, v10, v5
	v_fmac_f32_e32 v3, v11, v4
	v_add_f32_e32 v31, v31, v2
	v_mul_f32_e32 v2, v11, v7
	v_add_f32_e32 v46, v46, v3
	v_fma_f32 v2, v10, v6, -v2
	v_mul_f32_e32 v3, v10, v7
	v_fmac_f32_e32 v3, v11, v6
	v_add_f32_e32 v52, v8, v2
	v_mul_f32_e32 v2, v69, v5
	v_add_f32_e32 v54, v9, v3
	;; [unrolled: 6-line block ×3, first 2 shown]
	v_fma_f32 v4, v68, v6, -v0
	ds_read_b128 v[0:3], v53 offset:96
	ds_read2_b64 v[8:11], v57 offset0:128 offset1:144
	v_mul_f32_e32 v5, v68, v7
	v_fmac_f32_e32 v5, v69, v6
	v_add_f32_e32 v48, v48, v4
	v_add_f32_e32 v50, v50, v5
	s_waitcnt lgkmcnt(0)
	v_mul_f32_e32 v62, v0, v9
	v_fmac_f32_e32 v62, v1, v8
	ds_read_b128 v[4:7], v53 offset:112
	v_add_f32_e32 v46, v46, v62
	ds_read_b128 v[62:65], v53 offset:4192
	v_mul_f32_e32 v60, v1, v9
	v_fma_f32 v60, v0, v8, -v60
	v_add_f32_e32 v31, v31, v60
	v_mul_f32_e32 v60, v1, v11
	v_fma_f32 v60, v0, v10, -v60
	v_mul_f32_e32 v0, v0, v11
	ds_read2_b64 v[70:73], v57 offset0:160 offset1:176
	v_fmac_f32_e32 v0, v1, v10
	v_add_f32_e32 v1, v52, v60
	s_waitcnt lgkmcnt(1)
	v_mul_f32_e32 v52, v63, v9
	v_fma_f32 v52, v62, v8, -v52
	v_mul_f32_e32 v9, v62, v9
	v_fmac_f32_e32 v9, v63, v8
	v_add_f32_e32 v8, v56, v52
	v_mul_f32_e32 v52, v63, v11
	v_fma_f32 v52, v62, v10, -v52
	v_mul_f32_e32 v11, v62, v11
	v_fmac_f32_e32 v11, v63, v10
	v_add_f32_e32 v10, v48, v52
	s_waitcnt lgkmcnt(0)
	v_mul_f32_e32 v48, v3, v71
	v_fma_f32 v48, v2, v70, -v48
	v_add_f32_e32 v31, v31, v48
	v_mul_f32_e32 v48, v3, v73
	v_add_f32_e32 v11, v50, v11
	v_mul_f32_e32 v50, v2, v71
	v_fma_f32 v48, v2, v72, -v48
	v_mul_f32_e32 v2, v2, v73
	v_add_f32_e32 v0, v54, v0
	v_fmac_f32_e32 v50, v3, v70
	v_fmac_f32_e32 v2, v3, v72
	v_add_f32_e32 v46, v46, v50
	v_add_f32_e32 v50, v0, v2
	v_mul_f32_e32 v0, v65, v71
	v_add_f32_e32 v48, v1, v48
	v_fma_f32 v0, v64, v70, -v0
	v_mul_f32_e32 v1, v64, v71
	v_add_f32_e32 v9, v58, v9
	v_fmac_f32_e32 v1, v65, v70
	v_add_f32_e32 v8, v8, v0
	v_mul_f32_e32 v0, v65, v73
	v_add_f32_e32 v9, v9, v1
	v_fma_f32 v52, v64, v72, -v0
	ds_read2_b64 v[0:3], v57 offset0:192 offset1:208
	ds_read_b128 v[66:69], v53 offset:4208
	v_add_f32_e32 v52, v10, v52
	v_mul_f32_e32 v54, v64, v73
	v_fmac_f32_e32 v54, v65, v72
	s_waitcnt lgkmcnt(1)
	v_mul_f32_e32 v10, v5, v1
	v_fma_f32 v10, v4, v0, -v10
	v_add_f32_e32 v31, v31, v10
	v_mul_f32_e32 v10, v5, v3
	v_add_f32_e32 v54, v11, v54
	v_mul_f32_e32 v11, v4, v1
	v_fma_f32 v10, v4, v2, -v10
	v_mul_f32_e32 v4, v4, v3
	v_fmac_f32_e32 v11, v5, v0
	v_fmac_f32_e32 v4, v5, v2
	v_add_f32_e32 v5, v48, v10
	s_waitcnt lgkmcnt(0)
	v_mul_f32_e32 v10, v67, v1
	v_fma_f32 v10, v66, v0, -v10
	v_mul_f32_e32 v1, v66, v1
	v_fmac_f32_e32 v1, v67, v0
	v_add_f32_e32 v0, v8, v10
	v_mul_f32_e32 v8, v67, v3
	v_add_f32_e32 v46, v46, v11
	v_add_f32_e32 v1, v9, v1
	v_fma_f32 v48, v66, v2, -v8
	ds_read2_b64 v[8:11], v57 offset0:224 offset1:240
	v_mul_f32_e32 v3, v66, v3
	v_fmac_f32_e32 v3, v67, v2
	v_add_f32_e32 v4, v50, v4
	v_add_f32_e32 v50, v54, v3
	s_waitcnt lgkmcnt(0)
	v_mul_f32_e32 v2, v7, v9
	v_fma_f32 v2, v6, v8, -v2
	v_mul_f32_e32 v3, v6, v9
	v_fmac_f32_e32 v3, v7, v8
	v_add_f32_e32 v31, v31, v2
	v_mul_f32_e32 v2, v7, v11
	v_add_f32_e32 v46, v46, v3
	v_fma_f32 v2, v6, v10, -v2
	v_mul_f32_e32 v3, v6, v11
	v_add_f32_e32 v48, v52, v48
	v_fmac_f32_e32 v3, v7, v10
	v_add_f32_e32 v52, v5, v2
	v_mul_f32_e32 v2, v69, v9
	v_add_f32_e32 v54, v4, v3
	v_fma_f32 v2, v68, v8, -v2
	v_mul_f32_e32 v3, v68, v9
	v_fmac_f32_e32 v3, v69, v8
	v_add_f32_e32 v56, v0, v2
	v_mul_f32_e32 v0, v69, v11
	v_add_f32_e32 v58, v1, v3
	v_fma_f32 v8, v68, v10, -v0
	ds_read_b128 v[0:3], v53 offset:128
	ds_read2_b64 v[4:7], v59 offset1:16
	v_mul_f32_e32 v9, v68, v11
	v_fmac_f32_e32 v9, v69, v10
	v_add_f32_e32 v48, v48, v8
	v_add_f32_e32 v50, v50, v9
	s_waitcnt lgkmcnt(0)
	v_mul_f32_e32 v62, v0, v5
	v_fmac_f32_e32 v62, v1, v4
	ds_read_b128 v[8:11], v53 offset:144
	v_add_f32_e32 v46, v46, v62
	ds_read_b128 v[62:65], v53 offset:4224
	v_mul_f32_e32 v60, v1, v5
	v_fma_f32 v60, v0, v4, -v60
	v_add_f32_e32 v31, v31, v60
	v_mul_f32_e32 v60, v1, v7
	v_fma_f32 v60, v0, v6, -v60
	v_mul_f32_e32 v0, v0, v7
	ds_read2_b64 v[70:73], v59 offset0:32 offset1:48
	v_fmac_f32_e32 v0, v1, v6
	v_add_f32_e32 v1, v52, v60
	s_waitcnt lgkmcnt(1)
	v_mul_f32_e32 v52, v63, v5
	v_fma_f32 v52, v62, v4, -v52
	v_mul_f32_e32 v5, v62, v5
	v_fmac_f32_e32 v5, v63, v4
	v_add_f32_e32 v4, v56, v52
	v_mul_f32_e32 v52, v63, v7
	v_fma_f32 v52, v62, v6, -v52
	v_mul_f32_e32 v7, v62, v7
	v_fmac_f32_e32 v7, v63, v6
	v_add_f32_e32 v6, v48, v52
	s_waitcnt lgkmcnt(0)
	v_mul_f32_e32 v48, v3, v71
	v_fma_f32 v48, v2, v70, -v48
	v_add_f32_e32 v31, v31, v48
	v_mul_f32_e32 v48, v3, v73
	v_add_f32_e32 v7, v50, v7
	v_mul_f32_e32 v50, v2, v71
	v_fma_f32 v48, v2, v72, -v48
	v_mul_f32_e32 v2, v2, v73
	v_add_f32_e32 v0, v54, v0
	v_fmac_f32_e32 v50, v3, v70
	v_fmac_f32_e32 v2, v3, v72
	v_add_f32_e32 v46, v46, v50
	v_add_f32_e32 v50, v0, v2
	v_mul_f32_e32 v0, v65, v71
	v_add_f32_e32 v48, v1, v48
	v_fma_f32 v0, v64, v70, -v0
	v_mul_f32_e32 v1, v64, v71
	v_add_f32_e32 v5, v58, v5
	v_fmac_f32_e32 v1, v65, v70
	v_add_f32_e32 v4, v4, v0
	v_mul_f32_e32 v0, v65, v73
	v_add_f32_e32 v5, v5, v1
	v_fma_f32 v52, v64, v72, -v0
	ds_read2_b64 v[0:3], v59 offset0:64 offset1:80
	ds_read_b128 v[66:69], v53 offset:4240
	v_mul_f32_e32 v54, v64, v73
	v_add_f32_e32 v52, v6, v52
	v_fmac_f32_e32 v54, v65, v72
	s_waitcnt lgkmcnt(1)
	v_mul_f32_e32 v6, v9, v1
	v_fma_f32 v6, v8, v0, -v6
	v_add_f32_e32 v54, v7, v54
	v_mul_f32_e32 v7, v8, v1
	v_add_f32_e32 v31, v31, v6
	v_mul_f32_e32 v6, v9, v3
	v_fmac_f32_e32 v7, v9, v0
	v_fma_f32 v6, v8, v2, -v6
	v_add_f32_e32 v46, v46, v7
	v_mul_f32_e32 v7, v8, v3
	v_add_f32_e32 v8, v48, v6
	s_waitcnt lgkmcnt(0)
	v_mul_f32_e32 v6, v67, v1
	v_fma_f32 v6, v66, v0, -v6
	v_mul_f32_e32 v1, v66, v1
	v_fmac_f32_e32 v7, v9, v2
	v_fmac_f32_e32 v1, v67, v0
	v_add_f32_e32 v0, v4, v6
	v_mul_f32_e32 v4, v67, v3
	v_add_f32_e32 v9, v50, v7
	v_add_f32_e32 v1, v5, v1
	v_fma_f32 v48, v66, v2, -v4
	ds_read2_b64 v[4:7], v59 offset0:96 offset1:112
	v_mul_f32_e32 v3, v66, v3
	v_fmac_f32_e32 v3, v67, v2
	v_add_f32_e32 v50, v54, v3
	v_add_f32_e32 v48, v52, v48
	s_waitcnt lgkmcnt(0)
	v_mul_f32_e32 v2, v11, v5
	v_fma_f32 v2, v10, v4, -v2
	v_mul_f32_e32 v3, v10, v5
	v_fmac_f32_e32 v3, v11, v4
	v_add_f32_e32 v31, v31, v2
	v_mul_f32_e32 v2, v11, v7
	v_add_f32_e32 v46, v46, v3
	v_fma_f32 v2, v10, v6, -v2
	v_mul_f32_e32 v3, v10, v7
	v_fmac_f32_e32 v3, v11, v6
	v_add_f32_e32 v52, v8, v2
	v_mul_f32_e32 v2, v69, v5
	v_add_f32_e32 v54, v9, v3
	;; [unrolled: 6-line block ×3, first 2 shown]
	v_fma_f32 v4, v68, v6, -v0
	ds_read_b128 v[0:3], v53 offset:160
	ds_read2_b64 v[8:11], v59 offset0:128 offset1:144
	v_mul_f32_e32 v5, v68, v7
	v_fmac_f32_e32 v5, v69, v6
	v_add_f32_e32 v48, v48, v4
	v_add_f32_e32 v50, v50, v5
	s_waitcnt lgkmcnt(0)
	v_mul_f32_e32 v62, v0, v9
	v_fmac_f32_e32 v62, v1, v8
	ds_read_b128 v[4:7], v53 offset:176
	v_add_f32_e32 v46, v46, v62
	ds_read_b128 v[62:65], v53 offset:4256
	v_mul_f32_e32 v60, v1, v9
	v_fma_f32 v60, v0, v8, -v60
	v_add_f32_e32 v31, v31, v60
	v_mul_f32_e32 v60, v1, v11
	v_fma_f32 v60, v0, v10, -v60
	v_mul_f32_e32 v0, v0, v11
	ds_read2_b64 v[70:73], v59 offset0:160 offset1:176
	v_fmac_f32_e32 v0, v1, v10
	v_add_f32_e32 v1, v52, v60
	s_waitcnt lgkmcnt(1)
	v_mul_f32_e32 v52, v63, v9
	v_fma_f32 v52, v62, v8, -v52
	v_mul_f32_e32 v9, v62, v9
	v_fmac_f32_e32 v9, v63, v8
	v_add_f32_e32 v8, v56, v52
	v_mul_f32_e32 v52, v63, v11
	v_fma_f32 v52, v62, v10, -v52
	v_mul_f32_e32 v11, v62, v11
	v_fmac_f32_e32 v11, v63, v10
	v_add_f32_e32 v10, v48, v52
	s_waitcnt lgkmcnt(0)
	v_mul_f32_e32 v48, v3, v71
	v_fma_f32 v48, v2, v70, -v48
	v_add_f32_e32 v31, v31, v48
	v_mul_f32_e32 v48, v3, v73
	v_add_f32_e32 v11, v50, v11
	v_mul_f32_e32 v50, v2, v71
	v_fma_f32 v48, v2, v72, -v48
	v_mul_f32_e32 v2, v2, v73
	v_add_f32_e32 v0, v54, v0
	v_fmac_f32_e32 v50, v3, v70
	v_fmac_f32_e32 v2, v3, v72
	v_add_f32_e32 v46, v46, v50
	v_add_f32_e32 v50, v0, v2
	v_mul_f32_e32 v0, v65, v71
	v_add_f32_e32 v48, v1, v48
	v_fma_f32 v0, v64, v70, -v0
	v_mul_f32_e32 v1, v64, v71
	v_add_f32_e32 v9, v58, v9
	v_fmac_f32_e32 v1, v65, v70
	v_add_f32_e32 v8, v8, v0
	v_mul_f32_e32 v0, v65, v73
	v_add_f32_e32 v9, v9, v1
	v_fma_f32 v52, v64, v72, -v0
	ds_read2_b64 v[0:3], v59 offset0:192 offset1:208
	ds_read_b128 v[66:69], v53 offset:4272
	v_add_f32_e32 v52, v10, v52
	v_mul_f32_e32 v54, v64, v73
	v_fmac_f32_e32 v54, v65, v72
	s_waitcnt lgkmcnt(1)
	v_mul_f32_e32 v10, v5, v1
	v_fma_f32 v10, v4, v0, -v10
	v_add_f32_e32 v31, v31, v10
	v_mul_f32_e32 v10, v5, v3
	v_add_f32_e32 v54, v11, v54
	v_mul_f32_e32 v11, v4, v1
	v_fma_f32 v10, v4, v2, -v10
	v_mul_f32_e32 v4, v4, v3
	v_fmac_f32_e32 v11, v5, v0
	v_fmac_f32_e32 v4, v5, v2
	v_add_f32_e32 v5, v48, v10
	s_waitcnt lgkmcnt(0)
	v_mul_f32_e32 v10, v67, v1
	v_fma_f32 v10, v66, v0, -v10
	v_mul_f32_e32 v1, v66, v1
	v_fmac_f32_e32 v1, v67, v0
	v_add_f32_e32 v0, v8, v10
	v_mul_f32_e32 v8, v67, v3
	v_add_f32_e32 v46, v46, v11
	v_add_f32_e32 v1, v9, v1
	v_fma_f32 v48, v66, v2, -v8
	ds_read2_b64 v[8:11], v59 offset0:224 offset1:240
	v_mul_f32_e32 v3, v66, v3
	v_fmac_f32_e32 v3, v67, v2
	v_add_f32_e32 v4, v50, v4
	v_add_f32_e32 v50, v54, v3
	s_waitcnt lgkmcnt(0)
	v_mul_f32_e32 v2, v7, v9
	v_fma_f32 v2, v6, v8, -v2
	v_mul_f32_e32 v3, v6, v9
	v_fmac_f32_e32 v3, v7, v8
	v_add_f32_e32 v31, v31, v2
	v_mul_f32_e32 v2, v7, v11
	v_add_f32_e32 v46, v46, v3
	v_fma_f32 v2, v6, v10, -v2
	v_mul_f32_e32 v3, v6, v11
	v_add_f32_e32 v48, v52, v48
	v_fmac_f32_e32 v3, v7, v10
	v_add_f32_e32 v52, v5, v2
	v_mul_f32_e32 v2, v69, v9
	v_add_f32_e32 v54, v4, v3
	v_fma_f32 v2, v68, v8, -v2
	v_mul_f32_e32 v3, v68, v9
	v_fmac_f32_e32 v3, v69, v8
	v_add_f32_e32 v56, v0, v2
	v_mul_f32_e32 v0, v69, v11
	v_add_f32_e32 v58, v1, v3
	v_fma_f32 v8, v68, v10, -v0
	ds_read_b128 v[0:3], v53 offset:192
	ds_read2_b64 v[4:7], v61 offset1:16
	v_mul_f32_e32 v9, v68, v11
	v_fmac_f32_e32 v9, v69, v10
	v_add_f32_e32 v48, v48, v8
	v_add_f32_e32 v50, v50, v9
	s_waitcnt lgkmcnt(0)
	v_mul_f32_e32 v62, v0, v5
	v_fmac_f32_e32 v62, v1, v4
	ds_read_b128 v[8:11], v53 offset:208
	v_add_f32_e32 v46, v46, v62
	ds_read_b128 v[62:65], v53 offset:4288
	v_mul_f32_e32 v60, v1, v5
	v_fma_f32 v60, v0, v4, -v60
	v_add_f32_e32 v31, v31, v60
	v_mul_f32_e32 v60, v1, v7
	v_fma_f32 v60, v0, v6, -v60
	v_mul_f32_e32 v0, v0, v7
	ds_read2_b64 v[70:73], v61 offset0:32 offset1:48
	v_fmac_f32_e32 v0, v1, v6
	v_add_f32_e32 v1, v52, v60
	s_waitcnt lgkmcnt(1)
	v_mul_f32_e32 v52, v63, v5
	v_fma_f32 v52, v62, v4, -v52
	v_mul_f32_e32 v5, v62, v5
	v_fmac_f32_e32 v5, v63, v4
	v_add_f32_e32 v4, v56, v52
	v_mul_f32_e32 v52, v63, v7
	v_fma_f32 v52, v62, v6, -v52
	v_mul_f32_e32 v7, v62, v7
	v_fmac_f32_e32 v7, v63, v6
	v_add_f32_e32 v6, v48, v52
	s_waitcnt lgkmcnt(0)
	v_mul_f32_e32 v48, v3, v71
	v_fma_f32 v48, v2, v70, -v48
	v_add_f32_e32 v31, v31, v48
	v_mul_f32_e32 v48, v3, v73
	v_add_f32_e32 v7, v50, v7
	v_mul_f32_e32 v50, v2, v71
	v_fma_f32 v48, v2, v72, -v48
	v_mul_f32_e32 v2, v2, v73
	v_add_f32_e32 v0, v54, v0
	v_fmac_f32_e32 v50, v3, v70
	v_fmac_f32_e32 v2, v3, v72
	v_add_f32_e32 v46, v46, v50
	v_add_f32_e32 v50, v0, v2
	v_mul_f32_e32 v0, v65, v71
	v_add_f32_e32 v48, v1, v48
	v_fma_f32 v0, v64, v70, -v0
	v_mul_f32_e32 v1, v64, v71
	v_add_f32_e32 v5, v58, v5
	v_fmac_f32_e32 v1, v65, v70
	v_add_f32_e32 v4, v4, v0
	v_mul_f32_e32 v0, v65, v73
	v_add_f32_e32 v5, v5, v1
	v_fma_f32 v52, v64, v72, -v0
	ds_read2_b64 v[0:3], v61 offset0:64 offset1:80
	ds_read_b128 v[66:69], v53 offset:4304
	v_mul_f32_e32 v54, v64, v73
	v_add_f32_e32 v52, v6, v52
	v_fmac_f32_e32 v54, v65, v72
	s_waitcnt lgkmcnt(1)
	v_mul_f32_e32 v6, v9, v1
	v_fma_f32 v6, v8, v0, -v6
	v_add_f32_e32 v54, v7, v54
	v_mul_f32_e32 v7, v8, v1
	v_add_f32_e32 v31, v31, v6
	v_mul_f32_e32 v6, v9, v3
	v_fmac_f32_e32 v7, v9, v0
	v_fma_f32 v6, v8, v2, -v6
	v_add_f32_e32 v46, v46, v7
	v_mul_f32_e32 v7, v8, v3
	v_add_f32_e32 v8, v48, v6
	s_waitcnt lgkmcnt(0)
	v_mul_f32_e32 v6, v67, v1
	v_fma_f32 v6, v66, v0, -v6
	v_mul_f32_e32 v1, v66, v1
	v_fmac_f32_e32 v7, v9, v2
	v_fmac_f32_e32 v1, v67, v0
	v_add_f32_e32 v0, v4, v6
	v_mul_f32_e32 v4, v67, v3
	v_add_f32_e32 v9, v50, v7
	v_add_f32_e32 v1, v5, v1
	v_fma_f32 v48, v66, v2, -v4
	ds_read2_b64 v[4:7], v61 offset0:96 offset1:112
	v_mul_f32_e32 v3, v66, v3
	v_fmac_f32_e32 v3, v67, v2
	v_add_f32_e32 v50, v54, v3
	v_add_f32_e32 v48, v52, v48
	s_waitcnt lgkmcnt(0)
	v_mul_f32_e32 v2, v11, v5
	v_fma_f32 v2, v10, v4, -v2
	v_mul_f32_e32 v3, v10, v5
	v_fmac_f32_e32 v3, v11, v4
	v_add_f32_e32 v31, v31, v2
	v_mul_f32_e32 v2, v11, v7
	v_add_f32_e32 v46, v46, v3
	v_fma_f32 v2, v10, v6, -v2
	v_mul_f32_e32 v3, v10, v7
	v_fmac_f32_e32 v3, v11, v6
	v_add_f32_e32 v52, v8, v2
	v_mul_f32_e32 v2, v69, v5
	v_add_f32_e32 v54, v9, v3
	;; [unrolled: 6-line block ×3, first 2 shown]
	v_fma_f32 v4, v68, v6, -v0
	ds_read_b128 v[0:3], v53 offset:224
	ds_read2_b64 v[8:11], v61 offset0:128 offset1:144
	v_mul_f32_e32 v5, v68, v7
	v_fmac_f32_e32 v5, v69, v6
	v_add_f32_e32 v48, v48, v4
	v_add_f32_e32 v50, v50, v5
	s_waitcnt lgkmcnt(0)
	v_mul_f32_e32 v62, v0, v9
	v_fmac_f32_e32 v62, v1, v8
	ds_read_b128 v[4:7], v53 offset:240
	v_add_f32_e32 v46, v46, v62
	ds_read_b128 v[62:65], v53 offset:4320
	v_mul_f32_e32 v60, v1, v9
	v_fma_f32 v60, v0, v8, -v60
	v_add_f32_e32 v31, v31, v60
	v_mul_f32_e32 v60, v1, v11
	v_fma_f32 v60, v0, v10, -v60
	v_mul_f32_e32 v0, v0, v11
	ds_read2_b64 v[70:73], v61 offset0:160 offset1:176
	v_fmac_f32_e32 v0, v1, v10
	v_add_f32_e32 v1, v52, v60
	s_waitcnt lgkmcnt(1)
	v_mul_f32_e32 v52, v63, v9
	v_fma_f32 v52, v62, v8, -v52
	v_mul_f32_e32 v9, v62, v9
	v_fmac_f32_e32 v9, v63, v8
	v_add_f32_e32 v8, v56, v52
	v_mul_f32_e32 v52, v63, v11
	v_fma_f32 v52, v62, v10, -v52
	v_mul_f32_e32 v11, v62, v11
	v_fmac_f32_e32 v11, v63, v10
	v_add_f32_e32 v10, v48, v52
	s_waitcnt lgkmcnt(0)
	v_mul_f32_e32 v48, v3, v71
	v_fma_f32 v48, v2, v70, -v48
	v_add_f32_e32 v31, v31, v48
	v_mul_f32_e32 v48, v3, v73
	v_add_f32_e32 v11, v50, v11
	v_mul_f32_e32 v50, v2, v71
	v_fma_f32 v48, v2, v72, -v48
	v_mul_f32_e32 v2, v2, v73
	v_add_f32_e32 v0, v54, v0
	v_fmac_f32_e32 v50, v3, v70
	v_fmac_f32_e32 v2, v3, v72
	v_add_f32_e32 v46, v46, v50
	v_add_f32_e32 v50, v0, v2
	v_mul_f32_e32 v0, v65, v71
	v_add_f32_e32 v48, v1, v48
	v_fma_f32 v0, v64, v70, -v0
	v_mul_f32_e32 v1, v64, v71
	v_add_f32_e32 v9, v58, v9
	v_fmac_f32_e32 v1, v65, v70
	v_add_f32_e32 v8, v8, v0
	v_mul_f32_e32 v0, v65, v73
	v_add_f32_e32 v9, v9, v1
	v_fma_f32 v52, v64, v72, -v0
	ds_read2_b64 v[0:3], v61 offset0:192 offset1:208
	ds_read_b128 v[66:69], v53 offset:4336
	v_add_f32_e32 v52, v10, v52
	v_mul_f32_e32 v54, v64, v73
	v_fmac_f32_e32 v54, v65, v72
	s_waitcnt lgkmcnt(1)
	v_mul_f32_e32 v10, v5, v1
	v_fma_f32 v10, v4, v0, -v10
	v_add_f32_e32 v31, v31, v10
	v_mul_f32_e32 v10, v5, v3
	v_add_f32_e32 v54, v11, v54
	v_mul_f32_e32 v11, v4, v1
	v_fma_f32 v10, v4, v2, -v10
	v_mul_f32_e32 v4, v4, v3
	v_fmac_f32_e32 v11, v5, v0
	v_fmac_f32_e32 v4, v5, v2
	v_add_f32_e32 v5, v48, v10
	s_waitcnt lgkmcnt(0)
	v_mul_f32_e32 v10, v67, v1
	v_fma_f32 v10, v66, v0, -v10
	v_mul_f32_e32 v1, v66, v1
	v_fmac_f32_e32 v1, v67, v0
	v_add_f32_e32 v0, v8, v10
	v_mul_f32_e32 v8, v67, v3
	v_add_f32_e32 v46, v46, v11
	v_add_f32_e32 v1, v9, v1
	v_fma_f32 v48, v66, v2, -v8
	ds_read2_b64 v[8:11], v61 offset0:224 offset1:240
	v_mul_f32_e32 v3, v66, v3
	v_fmac_f32_e32 v3, v67, v2
	v_add_f32_e32 v2, v52, v48
	v_add_f32_e32 v4, v50, v4
	s_waitcnt lgkmcnt(0)
	v_mul_f32_e32 v48, v7, v9
	v_fma_f32 v48, v6, v8, -v48
	v_add_f32_e32 v58, v31, v48
	v_mul_f32_e32 v31, v7, v11
	v_mul_f32_e32 v50, v6, v9
	v_fma_f32 v31, v6, v10, -v31
	v_mul_f32_e32 v6, v6, v11
	v_fmac_f32_e32 v6, v7, v10
	v_add_f32_e32 v3, v54, v3
	v_add_f32_e32 v54, v5, v31
	;; [unrolled: 1-line block ×3, first 2 shown]
	v_mul_f32_e32 v4, v69, v9
	v_mul_f32_e32 v5, v68, v9
	s_add_u32 s40, s40, 32
	v_fmac_f32_e32 v50, v7, v8
	v_fma_f32 v4, v68, v8, -v4
	v_fmac_f32_e32 v5, v69, v8
	s_addc_u32 s41, s41, 0
	v_add_f32_e32 v60, v46, v50
	v_add_f32_e32 v50, v0, v4
	;; [unrolled: 1-line block ×3, first 2 shown]
	v_mul_f32_e32 v0, v69, v11
	v_mul_f32_e32 v1, v68, v11
	s_add_u32 s36, s36, 0x100
	v_fma_f32 v0, v68, v10, -v0
	v_fmac_f32_e32 v1, v69, v10
	s_addc_u32 s37, s37, 0
	v_add_f32_e32 v48, v2, v0
	v_add_f32_e32 v46, v3, v1
	s_cmp_ge_i32 s40, s2
	s_barrier
	s_cbranch_scc1 .LBB77_52
.LBB77_7:                               ;   Parent Loop BB77_4 Depth=1
                                        ; =>  This Inner Loop Header: Depth=2
	v_lshl_add_u64 v[4:5], v[12:13], 0, s[40:41]
	v_cmp_le_i64_e64 s[14:15], s[34:35], v[4:5]
	v_cmp_eq_u64_e64 s[4:5], s[40:41], v[22:23]
	v_cmp_lt_i64_e64 s[12:13], v[4:5], v[14:15]
	s_and_b64 s[46:47], s[30:31], s[4:5]
	s_or_b64 s[4:5], s[14:15], s[12:13]
	s_or_b64 s[4:5], s[4:5], s[46:47]
	v_lshl_add_u64 v[0:1], v[16:17], 0, s[36:37]
	s_nor_b64 s[4:5], s[0:1], s[4:5]
	s_and_saveexec_b64 s[44:45], s[4:5]
	s_xor_b64 s[4:5], exec, s[44:45]
	s_cbranch_execz .LBB77_9
; %bb.8:                                ;   in Loop: Header=BB77_7 Depth=2
	global_load_dwordx2 v[2:3], v[0:1], off
	s_waitcnt vmcnt(0)
	ds_write_b64 v51, v[2:3]
.LBB77_9:                               ;   in Loop: Header=BB77_7 Depth=2
	s_or_saveexec_b64 s[4:5], s[4:5]
	s_xor_b64 s[44:45], s[46:47], -1
	s_xor_b64 exec, exec, s[4:5]
	s_cbranch_execz .LBB77_15
; %bb.10:                               ;   in Loop: Header=BB77_7 Depth=2
	s_and_saveexec_b64 s[50:51], s[44:45]
	s_xor_b64 s[50:51], exec, s[50:51]
; %bb.11:                               ;   in Loop: Header=BB77_7 Depth=2
	ds_write_b64 v51, v[36:37]
; %bb.12:                               ;   in Loop: Header=BB77_7 Depth=2
	s_andn2_saveexec_b64 s[50:51], s[50:51]
; %bb.13:                               ;   in Loop: Header=BB77_7 Depth=2
	ds_write_b64 v51, v[38:39]
; %bb.14:                               ;   in Loop: Header=BB77_7 Depth=2
	s_or_b64 exec, exec, s[50:51]
.LBB77_15:                              ;   in Loop: Header=BB77_7 Depth=2
	s_or_b64 exec, exec, s[4:5]
	v_cmp_eq_u64_e64 s[4:5], s[40:41], v[24:25]
	s_and_b64 s[50:51], s[30:31], s[4:5]
	v_cmp_gt_i64_e64 s[4:5], v[18:19], v[4:5]
	s_or_b64 s[4:5], s[14:15], s[4:5]
	s_or_b64 s[4:5], s[4:5], s[50:51]
	s_nor_b64 s[4:5], s[16:17], s[4:5]
	v_lshl_add_u64 v[2:3], v[32:33], 0, s[36:37]
	s_and_saveexec_b64 s[14:15], s[4:5]
	s_xor_b64 s[4:5], exec, s[14:15]
	s_cbranch_execz .LBB77_17
; %bb.16:                               ;   in Loop: Header=BB77_7 Depth=2
	global_load_dwordx2 v[6:7], v[2:3], off
	s_waitcnt vmcnt(0)
	ds_write_b64 v51, v[6:7] offset:128
.LBB77_17:                              ;   in Loop: Header=BB77_7 Depth=2
	s_andn2_saveexec_b64 s[4:5], s[4:5]
	s_cbranch_execz .LBB77_23
; %bb.18:                               ;   in Loop: Header=BB77_7 Depth=2
	s_xor_b64 s[14:15], s[50:51], -1
	s_and_saveexec_b64 s[50:51], s[14:15]
	s_xor_b64 s[14:15], exec, s[50:51]
; %bb.19:                               ;   in Loop: Header=BB77_7 Depth=2
	ds_write_b64 v51, v[36:37] offset:128
; %bb.20:                               ;   in Loop: Header=BB77_7 Depth=2
	s_andn2_saveexec_b64 s[14:15], s[14:15]
; %bb.21:                               ;   in Loop: Header=BB77_7 Depth=2
	ds_write_b64 v51, v[38:39] offset:128
; %bb.22:                               ;   in Loop: Header=BB77_7 Depth=2
	s_or_b64 exec, exec, s[14:15]
.LBB77_23:                              ;   in Loop: Header=BB77_7 Depth=2
	s_or_b64 exec, exec, s[4:5]
	v_lshl_add_u64 v[4:5], v[4:5], 0, 16
	v_cmp_eq_u64_e64 s[4:5], s[40:41], v[26:27]
	v_cmp_le_i64_e64 s[14:15], s[34:35], v[4:5]
	s_and_b64 s[50:51], s[30:31], s[4:5]
	v_cmp_lt_i64_e64 s[4:5], v[4:5], v[14:15]
	s_or_b64 s[4:5], s[14:15], s[4:5]
	s_or_b64 s[4:5], s[4:5], s[50:51]
	s_nor_b64 s[4:5], s[0:1], s[4:5]
	s_and_saveexec_b64 s[56:57], s[4:5]
	s_xor_b64 s[4:5], exec, s[56:57]
	s_cbranch_execz .LBB77_25
; %bb.24:                               ;   in Loop: Header=BB77_7 Depth=2
	global_load_dwordx2 v[0:1], v[0:1], off offset:128
	s_waitcnt vmcnt(0)
	ds_write_b64 v51, v[0:1] offset:4096
.LBB77_25:                              ;   in Loop: Header=BB77_7 Depth=2
	s_andn2_saveexec_b64 s[4:5], s[4:5]
	s_cbranch_execz .LBB77_31
; %bb.26:                               ;   in Loop: Header=BB77_7 Depth=2
	s_xor_b64 s[50:51], s[50:51], -1
	s_and_saveexec_b64 s[56:57], s[50:51]
	s_xor_b64 s[50:51], exec, s[56:57]
; %bb.27:                               ;   in Loop: Header=BB77_7 Depth=2
	ds_write_b64 v51, v[36:37] offset:4096
; %bb.28:                               ;   in Loop: Header=BB77_7 Depth=2
	s_andn2_saveexec_b64 s[50:51], s[50:51]
; %bb.29:                               ;   in Loop: Header=BB77_7 Depth=2
	ds_write_b64 v51, v[38:39] offset:4096
; %bb.30:                               ;   in Loop: Header=BB77_7 Depth=2
	s_or_b64 exec, exec, s[50:51]
.LBB77_31:                              ;   in Loop: Header=BB77_7 Depth=2
	s_or_b64 exec, exec, s[4:5]
	s_or_b64 s[4:5], s[14:15], s[12:13]
	s_or_b64 s[4:5], s[4:5], s[46:47]
	s_nor_b64 s[4:5], s[16:17], s[4:5]
	s_and_saveexec_b64 s[12:13], s[4:5]
	s_xor_b64 s[4:5], exec, s[12:13]
	s_cbranch_execz .LBB77_33
; %bb.32:                               ;   in Loop: Header=BB77_7 Depth=2
	global_load_dwordx2 v[0:1], v[2:3], off offset:128
	s_waitcnt vmcnt(0)
	ds_write_b64 v51, v[0:1] offset:4224
.LBB77_33:                              ;   in Loop: Header=BB77_7 Depth=2
	s_andn2_saveexec_b64 s[4:5], s[4:5]
	s_cbranch_execz .LBB77_39
; %bb.34:                               ;   in Loop: Header=BB77_7 Depth=2
	s_and_saveexec_b64 s[12:13], s[44:45]
	s_xor_b64 s[12:13], exec, s[12:13]
; %bb.35:                               ;   in Loop: Header=BB77_7 Depth=2
	ds_write_b64 v51, v[36:37] offset:4224
; %bb.36:                               ;   in Loop: Header=BB77_7 Depth=2
	s_andn2_saveexec_b64 s[12:13], s[12:13]
; %bb.37:                               ;   in Loop: Header=BB77_7 Depth=2
	ds_write_b64 v51, v[38:39] offset:4224
; %bb.38:                               ;   in Loop: Header=BB77_7 Depth=2
	s_or_b64 exec, exec, s[12:13]
.LBB77_39:                              ;   in Loop: Header=BB77_7 Depth=2
	s_or_b64 exec, exec, s[4:5]
	v_lshl_add_u64 v[2:3], v[14:15], 0, s[40:41]
	v_cmp_gt_i64_e64 s[12:13], s[34:35], v[2:3]
	v_lshl_add_u64 v[0:1], v[42:43], 0, s[36:37]
	s_and_b64 s[14:15], vcc, s[12:13]
	v_mov_b32_e32 v4, 0
	v_mov_b32_e32 v5, 0
	s_and_saveexec_b64 s[4:5], s[14:15]
	s_cbranch_execz .LBB77_41
; %bb.40:                               ;   in Loop: Header=BB77_7 Depth=2
	global_load_dwordx2 v[4:5], v[0:1], off
.LBB77_41:                              ;   in Loop: Header=BB77_7 Depth=2
	s_or_b64 exec, exec, s[4:5]
	v_cmp_gt_i64_e64 s[14:15], s[38:39], v[2:3]
	s_and_b64 s[4:5], vcc, s[14:15]
	s_xor_b64 s[4:5], s[4:5], -1
	s_waitcnt vmcnt(0)
	ds_write_b64 v55, v[4:5]
	s_and_saveexec_b64 s[44:45], s[4:5]
	s_xor_b64 s[4:5], exec, s[44:45]
; %bb.42:                               ;   in Loop: Header=BB77_7 Depth=2
	ds_write_b64 v55, v[36:37] offset:128
                                        ; implicit-def: $vgpr0_vgpr1
; %bb.43:                               ;   in Loop: Header=BB77_7 Depth=2
	s_andn2_saveexec_b64 s[4:5], s[4:5]
	s_cbranch_execz .LBB77_45
; %bb.44:                               ;   in Loop: Header=BB77_7 Depth=2
	global_load_dwordx2 v[0:1], v[0:1], off offset:128
	s_waitcnt vmcnt(0)
	ds_write_b64 v55, v[0:1] offset:128
.LBB77_45:                              ;   in Loop: Header=BB77_7 Depth=2
	s_or_b64 exec, exec, s[4:5]
	v_lshl_add_u64 v[0:1], v[44:45], 0, s[36:37]
	s_and_b64 s[12:13], s[10:11], s[12:13]
	v_mov_b32_e32 v2, 0
	v_mov_b32_e32 v3, 0
	s_and_saveexec_b64 s[4:5], s[12:13]
	s_cbranch_execz .LBB77_47
; %bb.46:                               ;   in Loop: Header=BB77_7 Depth=2
	global_load_dwordx2 v[2:3], v[0:1], off
.LBB77_47:                              ;   in Loop: Header=BB77_7 Depth=2
	s_or_b64 exec, exec, s[4:5]
	s_and_b64 s[4:5], s[10:11], s[14:15]
	s_xor_b64 s[4:5], s[4:5], -1
	s_waitcnt vmcnt(0)
	ds_write_b64 v55, v[2:3] offset:4096
	s_and_saveexec_b64 s[12:13], s[4:5]
	s_xor_b64 s[4:5], exec, s[12:13]
; %bb.48:                               ;   in Loop: Header=BB77_7 Depth=2
	ds_write_b64 v55, v[36:37] offset:4224
                                        ; implicit-def: $vgpr0_vgpr1
; %bb.49:                               ;   in Loop: Header=BB77_7 Depth=2
	s_andn2_saveexec_b64 s[4:5], s[4:5]
	s_cbranch_execz .LBB77_6
; %bb.50:                               ;   in Loop: Header=BB77_7 Depth=2
	global_load_dwordx2 v[0:1], v[0:1], off offset:128
	s_waitcnt vmcnt(0)
	ds_write_b64 v55, v[0:1] offset:4224
	s_branch .LBB77_6
.LBB77_51:                              ;   in Loop: Header=BB77_4 Depth=1
	v_mov_b32_e32 v58, 0
	v_mov_b32_e32 v60, 0
	;; [unrolled: 1-line block ×8, first 2 shown]
.LBB77_52:                              ;   in Loop: Header=BB77_4 Depth=1
	v_mul_lo_u32 v2, s21, v40
	v_mul_lo_u32 v3, s20, v41
	v_mad_u64_u32 v[0:1], s[4:5], s20, v40, 0
	v_cmp_gt_i32_e32 vcc, s26, v40
	v_add3_u32 v1, v1, v3, v2
	v_lshl_add_u64 v[0:1], v[0:1], 3, s[22:23]
	s_and_b64 s[10:11], s[18:19], vcc
	s_and_saveexec_b64 s[4:5], s[10:11]
	s_cbranch_execz .LBB77_54
; %bb.53:                               ;   in Loop: Header=BB77_4 Depth=1
	v_lshl_add_u64 v[2:3], v[14:15], 3, v[0:1]
	global_load_dwordx2 v[4:5], v[2:3], off
	v_pk_mul_f32 v[6:7], v[60:61], s[24:25] op_sel_hi:[0,1]
	v_pk_fma_f32 v[8:9], v[58:59], s[28:29], v[6:7] neg_lo:[0,0,1] neg_hi:[0,0,1]
	v_pk_fma_f32 v[6:7], v[58:59], s[28:29], v[6:7] op_sel_hi:[0,1,1]
	v_mov_b32_e32 v9, v7
	s_waitcnt vmcnt(0)
	v_pk_add_f32 v[4:5], v[4:5], v[8:9]
	global_store_dwordx2 v[2:3], v[4:5], off
.LBB77_54:                              ;   in Loop: Header=BB77_4 Depth=1
	s_or_b64 exec, exec, s[4:5]
	s_and_b64 s[10:11], s[6:7], vcc
	s_and_saveexec_b64 s[4:5], s[10:11]
	s_cbranch_execz .LBB77_56
; %bb.55:                               ;   in Loop: Header=BB77_4 Depth=1
	v_lshl_add_u64 v[0:1], v[20:21], 3, v[0:1]
	global_load_dwordx2 v[2:3], v[0:1], off
	v_pk_mul_f32 v[4:5], v[56:57], s[24:25] op_sel_hi:[0,1]
	v_pk_fma_f32 v[6:7], v[54:55], s[28:29], v[4:5] neg_lo:[0,0,1] neg_hi:[0,0,1]
	v_pk_fma_f32 v[4:5], v[54:55], s[28:29], v[4:5] op_sel_hi:[0,1,1]
	v_mov_b32_e32 v7, v5
	s_waitcnt vmcnt(0)
	v_pk_add_f32 v[2:3], v[2:3], v[6:7]
	global_store_dwordx2 v[0:1], v[2:3], off
.LBB77_56:                              ;   in Loop: Header=BB77_4 Depth=1
	s_or_b64 exec, exec, s[4:5]
	v_add_u32_e32 v0, 16, v40
	v_ashrrev_i32_e32 v1, 31, v0
	v_cmp_gt_i32_e32 vcc, s26, v0
	v_mul_lo_u32 v2, s20, v1
	v_mul_lo_u32 v3, s21, v0
	v_mad_u64_u32 v[0:1], s[4:5], s20, v0, 0
	v_add3_u32 v1, v1, v2, v3
	v_lshl_add_u64 v[0:1], v[0:1], 3, s[22:23]
	s_and_b64 s[10:11], s[18:19], vcc
	s_and_saveexec_b64 s[4:5], s[10:11]
	s_cbranch_execz .LBB77_58
; %bb.57:                               ;   in Loop: Header=BB77_4 Depth=1
	v_lshl_add_u64 v[2:3], v[14:15], 3, v[0:1]
	global_load_dwordx2 v[4:5], v[2:3], off
	v_pk_mul_f32 v[6:7], v[52:53], s[24:25] op_sel_hi:[0,1]
	v_pk_fma_f32 v[8:9], v[50:51], s[28:29], v[6:7] neg_lo:[0,0,1] neg_hi:[0,0,1]
	v_pk_fma_f32 v[6:7], v[50:51], s[28:29], v[6:7] op_sel_hi:[0,1,1]
	v_mov_b32_e32 v9, v7
	s_waitcnt vmcnt(0)
	v_pk_add_f32 v[4:5], v[4:5], v[8:9]
	global_store_dwordx2 v[2:3], v[4:5], off
.LBB77_58:                              ;   in Loop: Header=BB77_4 Depth=1
	s_or_b64 exec, exec, s[4:5]
	s_and_b64 s[10:11], s[6:7], vcc
	s_and_saveexec_b64 s[4:5], s[10:11]
	s_cbranch_execz .LBB77_3
; %bb.59:                               ;   in Loop: Header=BB77_4 Depth=1
	v_lshl_add_u64 v[0:1], v[20:21], 3, v[0:1]
	global_load_dwordx2 v[2:3], v[0:1], off
	v_pk_mul_f32 v[4:5], v[46:47], s[24:25] op_sel_hi:[0,1]
	v_pk_fma_f32 v[6:7], v[48:49], s[28:29], v[4:5] neg_lo:[0,0,1] neg_hi:[0,0,1]
	v_pk_fma_f32 v[4:5], v[48:49], s[28:29], v[4:5] op_sel_hi:[0,1,1]
	v_mov_b32_e32 v7, v5
	s_waitcnt vmcnt(0)
	v_pk_add_f32 v[2:3], v[2:3], v[6:7]
	global_store_dwordx2 v[0:1], v[2:3], off
	s_branch .LBB77_3
.LBB77_60:
	s_endpgm
	.section	.rodata,"a",@progbits
	.p2align	6, 0x0
	.amdhsa_kernel _ZL30rocblas_trmm_outofplace_kernelI19rocblas_complex_numIfELi32ELi2ELb1ELb0ELb1ELb0ES1_KS1_S1_Ev17rocblas_diagonal_iiT6_lPT7_lllS6_lllPT8_llli
		.amdhsa_group_segment_fixed_size 16384
		.amdhsa_private_segment_fixed_size 0
		.amdhsa_kernarg_size 392
		.amdhsa_user_sgpr_count 2
		.amdhsa_user_sgpr_dispatch_ptr 0
		.amdhsa_user_sgpr_queue_ptr 0
		.amdhsa_user_sgpr_kernarg_segment_ptr 1
		.amdhsa_user_sgpr_dispatch_id 0
		.amdhsa_user_sgpr_kernarg_preload_length 0
		.amdhsa_user_sgpr_kernarg_preload_offset 0
		.amdhsa_user_sgpr_private_segment_size 0
		.amdhsa_uses_dynamic_stack 0
		.amdhsa_enable_private_segment 0
		.amdhsa_system_sgpr_workgroup_id_x 1
		.amdhsa_system_sgpr_workgroup_id_y 1
		.amdhsa_system_sgpr_workgroup_id_z 1
		.amdhsa_system_sgpr_workgroup_info 0
		.amdhsa_system_vgpr_workitem_id 1
		.amdhsa_next_free_vgpr 82
		.amdhsa_next_free_sgpr 58
		.amdhsa_accum_offset 84
		.amdhsa_reserve_vcc 1
		.amdhsa_float_round_mode_32 0
		.amdhsa_float_round_mode_16_64 0
		.amdhsa_float_denorm_mode_32 3
		.amdhsa_float_denorm_mode_16_64 3
		.amdhsa_dx10_clamp 1
		.amdhsa_ieee_mode 1
		.amdhsa_fp16_overflow 0
		.amdhsa_tg_split 0
		.amdhsa_exception_fp_ieee_invalid_op 0
		.amdhsa_exception_fp_denorm_src 0
		.amdhsa_exception_fp_ieee_div_zero 0
		.amdhsa_exception_fp_ieee_overflow 0
		.amdhsa_exception_fp_ieee_underflow 0
		.amdhsa_exception_fp_ieee_inexact 0
		.amdhsa_exception_int_div_zero 0
	.end_amdhsa_kernel
	.section	.text._ZL30rocblas_trmm_outofplace_kernelI19rocblas_complex_numIfELi32ELi2ELb1ELb0ELb1ELb0ES1_KS1_S1_Ev17rocblas_diagonal_iiT6_lPT7_lllS6_lllPT8_llli,"axG",@progbits,_ZL30rocblas_trmm_outofplace_kernelI19rocblas_complex_numIfELi32ELi2ELb1ELb0ELb1ELb0ES1_KS1_S1_Ev17rocblas_diagonal_iiT6_lPT7_lllS6_lllPT8_llli,comdat
.Lfunc_end77:
	.size	_ZL30rocblas_trmm_outofplace_kernelI19rocblas_complex_numIfELi32ELi2ELb1ELb0ELb1ELb0ES1_KS1_S1_Ev17rocblas_diagonal_iiT6_lPT7_lllS6_lllPT8_llli, .Lfunc_end77-_ZL30rocblas_trmm_outofplace_kernelI19rocblas_complex_numIfELi32ELi2ELb1ELb0ELb1ELb0ES1_KS1_S1_Ev17rocblas_diagonal_iiT6_lPT7_lllS6_lllPT8_llli
                                        ; -- End function
	.set _ZL30rocblas_trmm_outofplace_kernelI19rocblas_complex_numIfELi32ELi2ELb1ELb0ELb1ELb0ES1_KS1_S1_Ev17rocblas_diagonal_iiT6_lPT7_lllS6_lllPT8_llli.num_vgpr, 82
	.set _ZL30rocblas_trmm_outofplace_kernelI19rocblas_complex_numIfELi32ELi2ELb1ELb0ELb1ELb0ES1_KS1_S1_Ev17rocblas_diagonal_iiT6_lPT7_lllS6_lllPT8_llli.num_agpr, 0
	.set _ZL30rocblas_trmm_outofplace_kernelI19rocblas_complex_numIfELi32ELi2ELb1ELb0ELb1ELb0ES1_KS1_S1_Ev17rocblas_diagonal_iiT6_lPT7_lllS6_lllPT8_llli.numbered_sgpr, 58
	.set _ZL30rocblas_trmm_outofplace_kernelI19rocblas_complex_numIfELi32ELi2ELb1ELb0ELb1ELb0ES1_KS1_S1_Ev17rocblas_diagonal_iiT6_lPT7_lllS6_lllPT8_llli.num_named_barrier, 0
	.set _ZL30rocblas_trmm_outofplace_kernelI19rocblas_complex_numIfELi32ELi2ELb1ELb0ELb1ELb0ES1_KS1_S1_Ev17rocblas_diagonal_iiT6_lPT7_lllS6_lllPT8_llli.private_seg_size, 0
	.set _ZL30rocblas_trmm_outofplace_kernelI19rocblas_complex_numIfELi32ELi2ELb1ELb0ELb1ELb0ES1_KS1_S1_Ev17rocblas_diagonal_iiT6_lPT7_lllS6_lllPT8_llli.uses_vcc, 1
	.set _ZL30rocblas_trmm_outofplace_kernelI19rocblas_complex_numIfELi32ELi2ELb1ELb0ELb1ELb0ES1_KS1_S1_Ev17rocblas_diagonal_iiT6_lPT7_lllS6_lllPT8_llli.uses_flat_scratch, 0
	.set _ZL30rocblas_trmm_outofplace_kernelI19rocblas_complex_numIfELi32ELi2ELb1ELb0ELb1ELb0ES1_KS1_S1_Ev17rocblas_diagonal_iiT6_lPT7_lllS6_lllPT8_llli.has_dyn_sized_stack, 0
	.set _ZL30rocblas_trmm_outofplace_kernelI19rocblas_complex_numIfELi32ELi2ELb1ELb0ELb1ELb0ES1_KS1_S1_Ev17rocblas_diagonal_iiT6_lPT7_lllS6_lllPT8_llli.has_recursion, 0
	.set _ZL30rocblas_trmm_outofplace_kernelI19rocblas_complex_numIfELi32ELi2ELb1ELb0ELb1ELb0ES1_KS1_S1_Ev17rocblas_diagonal_iiT6_lPT7_lllS6_lllPT8_llli.has_indirect_call, 0
	.section	.AMDGPU.csdata,"",@progbits
; Kernel info:
; codeLenInByte = 6308
; TotalNumSgprs: 64
; NumVgprs: 82
; NumAgprs: 0
; TotalNumVgprs: 82
; ScratchSize: 0
; MemoryBound: 1
; FloatMode: 240
; IeeeMode: 1
; LDSByteSize: 16384 bytes/workgroup (compile time only)
; SGPRBlocks: 7
; VGPRBlocks: 10
; NumSGPRsForWavesPerEU: 64
; NumVGPRsForWavesPerEU: 82
; AccumOffset: 84
; Occupancy: 5
; WaveLimiterHint : 0
; COMPUTE_PGM_RSRC2:SCRATCH_EN: 0
; COMPUTE_PGM_RSRC2:USER_SGPR: 2
; COMPUTE_PGM_RSRC2:TRAP_HANDLER: 0
; COMPUTE_PGM_RSRC2:TGID_X_EN: 1
; COMPUTE_PGM_RSRC2:TGID_Y_EN: 1
; COMPUTE_PGM_RSRC2:TGID_Z_EN: 1
; COMPUTE_PGM_RSRC2:TIDIG_COMP_CNT: 1
; COMPUTE_PGM_RSRC3_GFX90A:ACCUM_OFFSET: 20
; COMPUTE_PGM_RSRC3_GFX90A:TG_SPLIT: 0
	.section	.text._ZL30rocblas_trmm_outofplace_kernelI19rocblas_complex_numIfELi32ELi2ELb1ELb1ELb1ELb0EPKS1_S2_S1_Ev17rocblas_diagonal_iiT6_lPT7_lllS7_lllPT8_llli,"axG",@progbits,_ZL30rocblas_trmm_outofplace_kernelI19rocblas_complex_numIfELi32ELi2ELb1ELb1ELb1ELb0EPKS1_S2_S1_Ev17rocblas_diagonal_iiT6_lPT7_lllS7_lllPT8_llli,comdat
	.globl	_ZL30rocblas_trmm_outofplace_kernelI19rocblas_complex_numIfELi32ELi2ELb1ELb1ELb1ELb0EPKS1_S2_S1_Ev17rocblas_diagonal_iiT6_lPT7_lllS7_lllPT8_llli ; -- Begin function _ZL30rocblas_trmm_outofplace_kernelI19rocblas_complex_numIfELi32ELi2ELb1ELb1ELb1ELb0EPKS1_S2_S1_Ev17rocblas_diagonal_iiT6_lPT7_lllS7_lllPT8_llli
	.p2align	8
	.type	_ZL30rocblas_trmm_outofplace_kernelI19rocblas_complex_numIfELi32ELi2ELb1ELb1ELb1ELb0EPKS1_S2_S1_Ev17rocblas_diagonal_iiT6_lPT7_lllS7_lllPT8_llli,@function
_ZL30rocblas_trmm_outofplace_kernelI19rocblas_complex_numIfELi32ELi2ELb1ELb1ELb1ELb0EPKS1_S2_S1_Ev17rocblas_diagonal_iiT6_lPT7_lllS7_lllPT8_llli: ; @_ZL30rocblas_trmm_outofplace_kernelI19rocblas_complex_numIfELi32ELi2ELb1ELb1ELb1ELb0EPKS1_S2_S1_Ev17rocblas_diagonal_iiT6_lPT7_lllS7_lllPT8_llli
; %bb.0:
	s_load_dwordx16 s[16:31], s[0:1], 0x10
	s_waitcnt lgkmcnt(0)
	s_mul_i32 s5, s19, s4
	s_mul_hi_u32 s6, s18, s4
	s_add_i32 s7, s6, s5
	s_mul_i32 s6, s18, s4
	s_lshl_b64 s[6:7], s[6:7], 3
	s_add_u32 s6, s16, s6
	s_addc_u32 s7, s17, s7
	s_load_dwordx2 s[18:19], s[6:7], 0x0
	s_waitcnt lgkmcnt(0)
	s_or_b32 s5, s18, s19
	s_bitset0_b32 s5, 31
	s_cmp_eq_u32 s5, 0
	s_cbranch_scc1 .LBB78_59
; %bb.1:
	s_load_dwordx4 s[44:47], s[0:1], 0x0
	s_waitcnt lgkmcnt(0)
	s_add_i32 s5, s46, -1
	s_ashr_i32 s6, s5, 31
	s_lshr_b32 s6, s6, 27
	s_add_i32 s5, s5, s6
	s_ashr_i32 s33, s5, 5
	s_cmp_gt_i32 s3, s33
	s_cbranch_scc1 .LBB78_59
; %bb.2:
	s_load_dwordx8 s[36:43], s[0:1], 0x50
	s_load_dwordx4 s[48:51], s[0:1], 0x70
	s_mul_i32 s5, s27, s4
	s_mul_hi_u32 s6, s26, s4
	s_add_i32 s7, s6, s5
	s_mul_i32 s6, s26, s4
	s_lshl_b64 s[8:9], s[6:7], 3
	s_add_u32 s5, s20, s8
	s_addc_u32 s7, s21, s9
	s_lshl_b64 s[10:11], s[22:23], 3
	s_add_u32 s6, s5, s10
	s_load_dword s47, s[0:1], 0x8c
	s_waitcnt lgkmcnt(0)
	s_mul_i32 s0, s51, s4
	s_mul_hi_u32 s1, s50, s4
	s_addc_u32 s7, s7, s11
	s_add_i32 s1, s1, s0
	s_mul_i32 s0, s50, s4
	s_lshl_b64 s[0:1], s[0:1], 3
	s_add_u32 s5, s40, s0
	s_addc_u32 s12, s41, s1
	s_lshl_b64 s[0:1], s[42:43], 3
	s_add_u32 s22, s5, s0
	s_addc_u32 s23, s12, s1
	s_lshl_b32 s52, s2, 5
	s_cmp_gt_i32 s2, -1
	s_cselect_b64 s[26:27], -1, 0
	s_cmpk_eq_i32 s44, 0x84
	s_cselect_b64 s[34:35], -1, 0
	s_ashr_i32 s41, s45, 31
	s_ashr_i32 s2, s46, 31
	s_add_u32 s42, s45, -16
	s_mul_i32 s5, s39, s4
	s_mul_hi_u32 s12, s38, s4
	s_addc_u32 s43, s41, -1
	s_add_i32 s5, s12, s5
	s_mul_i32 s4, s38, s4
	v_and_b32_e32 v14, 0x3ff, v0
	s_lshl_b64 s[4:5], s[4:5], 3
	s_lshl_b64 s[12:13], s[30:31], 3
	v_add_u32_e32 v16, s52, v14
	s_add_u32 s4, s4, s12
	v_ashrrev_i32_e32 v17, 31, v16
	s_addc_u32 s5, s5, s13
	v_bfe_u32 v12, v0, 10, 10
	v_mov_b32_e32 v13, 0
	v_mul_lo_u32 v2, s24, v17
	v_mul_lo_u32 v3, s25, v16
	v_mad_u64_u32 v[0:1], s[0:1], s24, v16, 0
	s_add_u32 s4, s28, s4
	v_add3_u32 v1, v1, v2, v3
	v_lshlrev_b32_e32 v20, 3, v14
	v_mov_b32_e32 v21, v13
	s_addc_u32 s5, s29, s5
	s_lshl_b64 s[28:29], s[36:37], 3
	s_lshl_b32 s53, s47, 5
	v_lshl_add_u64 v[0:1], v[0:1], 3, s[6:7]
	v_lshlrev_b32_e32 v2, 3, v12
	v_mov_b32_e32 v3, v13
	v_lshl_add_u64 v[32:33], s[4:5], 0, v[20:21]
	s_add_u32 s4, s10, s8
	v_lshl_add_u64 v[18:19], v[0:1], 0, v[2:3]
	v_lshlrev_b32_e32 v0, 8, v12
	v_mov_b64_e32 v[36:37], 0x80
	s_addc_u32 s5, s11, s9
	v_add_u32_e32 v43, v20, v0
	v_add_u32_e32 v49, 0x2000, v0
	v_lshl_add_u64 v[0:1], v[16:17], 3, v[36:37]
	v_mov_b64_e32 v[4:5], s[4:5]
	v_mul_lo_u32 v6, s24, v1
	v_mul_lo_u32 v7, s25, v0
	v_mad_u64_u32 v[0:1], s[4:5], s24, v0, v[4:5]
	v_sub_co_u32_e32 v26, vcc, v16, v12
	v_add3_u32 v1, v7, v1, v6
	s_mov_b32 s40, s45
	v_lshl_add_u64 v[22:23], v[16:17], 0, 16
	v_add_u32_e32 v24, 16, v16
	v_subbrev_co_u32_e32 v27, vcc, 0, v17, vcc
	v_lshl_add_u64 v[0:1], v[0:1], 0, v[2:3]
	v_mov_b32_e32 v15, v13
	v_add_u32_e32 v51, v49, v20
	v_cmp_le_i32_e64 s[0:1], s45, v16
	v_cmp_le_i64_e64 s[14:15], s[40:41], v[22:23]
	v_cmp_gt_i32_e64 s[16:17], s45, v16
	v_cmp_gt_i32_e64 s[6:7], s45, v24
	v_ashrrev_i32_e32 v25, 31, v24
	s_mov_b32 s44, s19
	s_mov_b32 s45, s18
	v_lshl_add_u64 v[28:29], v[26:27], 0, 16
	v_lshl_add_u64 v[30:31], v[26:27], 0, -16
	v_lshl_add_u32 v34, s3, 5, v12
	v_lshl_add_u64 v[38:39], s[20:21], 0, v[0:1]
	v_mov_b32_e32 v64, v13
	v_mov_b32_e32 v65, v13
	v_mov_b32_e32 v40, 1.0
	v_mov_b32_e32 v41, v13
	v_add_u32_e32 v53, 0x800, v20
	v_add_u32_e32 v55, 0x1000, v20
	;; [unrolled: 1-line block ×3, first 2 shown]
	s_branch .LBB78_4
.LBB78_3:                               ;   in Loop: Header=BB78_4 Depth=1
	s_or_b64 exec, exec, s[4:5]
	s_add_i32 s3, s47, s3
	s_cmp_le_i32 s3, s33
	v_add_u32_e32 v34, s53, v34
	s_cbranch_scc0 .LBB78_59
.LBB78_4:                               ; =>This Loop Header: Depth=1
                                        ;     Child Loop BB78_7 Depth 2
	v_lshl_add_u32 v42, s3, 5, v12
	v_ashrrev_i32_e32 v21, 31, v42
	s_andn2_b64 vcc, exec, s[26:27]
	v_mov_b32_e32 v60, 0
	v_mov_b32_e32 v62, 0
	;; [unrolled: 1-line block ×8, first 2 shown]
	s_cbranch_vccnz .LBB78_51
; %bb.5:                                ;   in Loop: Header=BB78_4 Depth=1
	v_ashrrev_i32_e32 v35, 31, v34
	v_mad_u64_u32 v[44:45], s[4:5], s28, v34, v[32:33]
	v_mul_lo_u32 v0, s29, v34
	v_mul_lo_u32 v1, s28, v35
	v_add3_u32 v45, v0, v45, v1
	v_lshl_add_u64 v[0:1], v[34:35], 3, v[36:37]
	v_mul_lo_u32 v1, s36, v1
	v_mul_lo_u32 v2, s37, v0
	v_mad_u64_u32 v[46:47], s[4:5], s36, v0, v[32:33]
	v_add3_u32 v47, v2, v47, v1
	v_mov_b32_e32 v1, s2
	v_sub_co_u32_e32 v0, vcc, s46, v42
	s_mov_b64 s[20:21], 0
	s_nop 0
	v_subb_co_u32_e32 v1, vcc, v1, v21, vcc
	v_cmp_lt_i64_e32 vcc, 0, v[0:1]
	v_cmp_lt_i64_e64 s[8:9], 16, v[0:1]
	v_mov_b32_e32 v48, 0
	s_mov_b64 s[24:25], 0
	v_mov_b32_e32 v50, 0
	v_mov_b32_e32 v54, 0
	;; [unrolled: 1-line block ×7, first 2 shown]
	s_branch .LBB78_7
.LBB78_6:                               ;   in Loop: Header=BB78_7 Depth=2
	s_or_b64 exec, exec, s[4:5]
	s_waitcnt lgkmcnt(0)
	s_barrier
	ds_read2_b64 v[66:69], v20 offset1:16
	ds_read_b128 v[70:73], v49
	ds_read_b128 v[8:11], v49 offset:16
	ds_read_b128 v[4:7], v49 offset:32
	;; [unrolled: 1-line block ×3, first 2 shown]
	ds_read2_b64 v[78:81], v20 offset0:32 offset1:48
	s_waitcnt lgkmcnt(4)
	v_mul_f32_e32 v35, v71, v67
	v_fma_f32 v35, v70, v66, -v35
	v_mul_f32_e32 v59, v70, v67
	v_fmac_f32_e32 v59, v71, v66
	v_add_f32_e32 v35, v60, v35
	v_mul_f32_e32 v60, v71, v69
	v_add_f32_e32 v59, v62, v59
	v_fma_f32 v74, v70, v68, -v60
	ds_read_b128 v[60:63], v49 offset:4096
	v_mul_f32_e32 v70, v70, v69
	v_fmac_f32_e32 v70, v71, v68
	v_add_f32_e32 v56, v56, v74
	v_add_f32_e32 v58, v58, v70
	ds_read_b128 v[74:77], v49 offset:4112
	s_waitcnt lgkmcnt(1)
	v_mul_f32_e32 v70, v61, v67
	v_mul_f32_e32 v67, v60, v67
	v_fma_f32 v70, v60, v66, -v70
	v_fmac_f32_e32 v67, v61, v66
	v_mul_f32_e32 v66, v61, v69
	v_fma_f32 v66, v60, v68, -v66
	v_mul_f32_e32 v60, v60, v69
	v_fmac_f32_e32 v60, v61, v68
	v_add_f32_e32 v48, v48, v60
	v_mul_f32_e32 v60, v73, v79
	v_fma_f32 v60, v72, v78, -v60
	v_mul_f32_e32 v61, v72, v79
	v_fmac_f32_e32 v61, v73, v78
	v_add_f32_e32 v35, v35, v60
	v_mul_f32_e32 v60, v72, v81
	v_add_f32_e32 v50, v50, v66
	v_add_f32_e32 v66, v59, v61
	v_mul_f32_e32 v59, v73, v81
	v_fmac_f32_e32 v60, v73, v80
	v_add_f32_e32 v54, v54, v67
	v_fma_f32 v59, v72, v80, -v59
	v_add_f32_e32 v67, v58, v60
	v_mul_f32_e32 v58, v63, v79
	v_add_f32_e32 v52, v52, v70
	v_add_f32_e32 v56, v56, v59
	v_fma_f32 v58, v62, v78, -v58
	v_mul_f32_e32 v59, v62, v79
	v_fmac_f32_e32 v59, v63, v78
	v_add_f32_e32 v52, v52, v58
	v_mul_f32_e32 v58, v63, v81
	v_add_f32_e32 v54, v54, v59
	v_fma_f32 v68, v62, v80, -v58
	ds_read2_b64 v[58:61], v20 offset0:64 offset1:80
	v_mul_f32_e32 v62, v62, v81
	v_fmac_f32_e32 v62, v63, v80
	v_add_f32_e32 v48, v48, v62
	v_add_f32_e32 v50, v50, v68
	s_waitcnt lgkmcnt(0)
	v_mul_f32_e32 v62, v9, v59
	v_mul_f32_e32 v63, v8, v59
	v_fma_f32 v62, v8, v58, -v62
	v_fmac_f32_e32 v63, v9, v58
	v_add_f32_e32 v35, v35, v62
	v_add_f32_e32 v62, v66, v63
	v_mul_f32_e32 v63, v9, v61
	v_fma_f32 v63, v8, v60, -v63
	v_mul_f32_e32 v8, v8, v61
	v_fmac_f32_e32 v8, v9, v60
	v_add_f32_e32 v8, v67, v8
	ds_read2_b64 v[66:69], v20 offset0:96 offset1:112
	v_add_f32_e32 v9, v56, v63
	v_mul_f32_e32 v56, v75, v59
	v_fma_f32 v56, v74, v58, -v56
	v_mul_f32_e32 v59, v74, v59
	v_fmac_f32_e32 v59, v75, v58
	v_add_f32_e32 v52, v52, v56
	v_mul_f32_e32 v56, v75, v61
	v_mul_f32_e32 v58, v74, v61
	v_fma_f32 v56, v74, v60, -v56
	v_fmac_f32_e32 v58, v75, v60
	v_add_f32_e32 v50, v50, v56
	v_add_f32_e32 v48, v48, v58
	s_waitcnt lgkmcnt(0)
	v_mul_f32_e32 v56, v11, v67
	v_mul_f32_e32 v58, v10, v67
	v_fma_f32 v56, v10, v66, -v56
	v_fmac_f32_e32 v58, v11, v66
	v_add_f32_e32 v35, v35, v56
	v_add_f32_e32 v56, v62, v58
	v_mul_f32_e32 v58, v11, v69
	v_fma_f32 v58, v10, v68, -v58
	v_mul_f32_e32 v10, v10, v69
	v_fmac_f32_e32 v10, v11, v68
	v_add_f32_e32 v63, v8, v10
	v_mul_f32_e32 v8, v77, v67
	v_add_f32_e32 v62, v9, v58
	v_fma_f32 v8, v76, v66, -v8
	v_mul_f32_e32 v9, v76, v67
	v_add_f32_e32 v54, v54, v59
	v_fmac_f32_e32 v9, v77, v66
	v_add_f32_e32 v52, v52, v8
	v_mul_f32_e32 v8, v77, v69
	v_add_f32_e32 v54, v54, v9
	v_fma_f32 v58, v76, v68, -v8
	ds_read2_b64 v[8:11], v20 offset0:128 offset1:144
	v_mul_f32_e32 v59, v76, v69
	v_fmac_f32_e32 v59, v77, v68
	v_add_f32_e32 v50, v50, v58
	v_add_f32_e32 v48, v48, v59
	s_waitcnt lgkmcnt(0)
	v_mul_f32_e32 v58, v5, v9
	v_fma_f32 v58, v4, v8, -v58
	v_mul_f32_e32 v59, v4, v9
	v_fmac_f32_e32 v59, v5, v8
	v_add_f32_e32 v35, v35, v58
	v_mul_f32_e32 v58, v5, v11
	v_add_f32_e32 v56, v56, v59
	v_fma_f32 v66, v4, v10, -v58
	ds_read_b128 v[58:61], v49 offset:4128
	v_mul_f32_e32 v4, v4, v11
	ds_read2_b64 v[70:73], v20 offset0:160 offset1:176
	v_fmac_f32_e32 v4, v5, v10
	v_add_f32_e32 v5, v62, v66
	ds_read_b128 v[66:69], v49 offset:4144
	s_waitcnt lgkmcnt(2)
	v_mul_f32_e32 v62, v59, v9
	v_fma_f32 v62, v58, v8, -v62
	v_mul_f32_e32 v9, v58, v9
	v_fmac_f32_e32 v9, v59, v8
	v_add_f32_e32 v8, v52, v62
	v_mul_f32_e32 v52, v59, v11
	v_mul_f32_e32 v11, v58, v11
	v_fma_f32 v52, v58, v10, -v52
	v_fmac_f32_e32 v11, v59, v10
	v_add_f32_e32 v10, v50, v52
	v_add_f32_e32 v11, v48, v11
	s_waitcnt lgkmcnt(1)
	v_mul_f32_e32 v48, v7, v71
	v_mul_f32_e32 v50, v6, v71
	v_fma_f32 v48, v6, v70, -v48
	v_fmac_f32_e32 v50, v7, v70
	v_add_f32_e32 v35, v35, v48
	v_add_f32_e32 v48, v56, v50
	v_mul_f32_e32 v50, v7, v73
	v_fma_f32 v50, v6, v72, -v50
	v_mul_f32_e32 v6, v6, v73
	v_add_f32_e32 v4, v63, v4
	v_fmac_f32_e32 v6, v7, v72
	v_add_f32_e32 v52, v4, v6
	v_mul_f32_e32 v4, v61, v71
	v_add_f32_e32 v50, v5, v50
	v_fma_f32 v4, v60, v70, -v4
	v_mul_f32_e32 v5, v60, v71
	v_add_f32_e32 v9, v54, v9
	v_fmac_f32_e32 v5, v61, v70
	v_add_f32_e32 v8, v8, v4
	v_mul_f32_e32 v4, v61, v73
	v_add_f32_e32 v9, v9, v5
	v_fma_f32 v54, v60, v72, -v4
	ds_read2_b64 v[4:7], v20 offset0:192 offset1:208
	v_add_f32_e32 v54, v10, v54
	v_mul_f32_e32 v56, v60, v73
	v_fmac_f32_e32 v56, v61, v72
	v_add_f32_e32 v56, v11, v56
	s_waitcnt lgkmcnt(0)
	v_mul_f32_e32 v10, v1, v5
	v_fma_f32 v10, v0, v4, -v10
	v_add_f32_e32 v35, v35, v10
	v_mul_f32_e32 v10, v1, v7
	v_mul_f32_e32 v11, v0, v5
	v_fma_f32 v10, v0, v6, -v10
	v_mul_f32_e32 v0, v0, v7
	v_fmac_f32_e32 v11, v1, v4
	v_fmac_f32_e32 v0, v1, v6
	v_add_f32_e32 v1, v50, v10
	v_mul_f32_e32 v10, v67, v5
	v_fma_f32 v10, v66, v4, -v10
	v_mul_f32_e32 v5, v66, v5
	v_fmac_f32_e32 v5, v67, v4
	v_add_f32_e32 v4, v8, v10
	v_mul_f32_e32 v8, v67, v7
	v_add_f32_e32 v48, v48, v11
	v_add_f32_e32 v5, v9, v5
	v_fma_f32 v50, v66, v6, -v8
	ds_read2_b64 v[8:11], v20 offset0:224 offset1:240
	v_mul_f32_e32 v7, v66, v7
	v_fmac_f32_e32 v7, v67, v6
	v_add_f32_e32 v0, v52, v0
	v_add_f32_e32 v52, v56, v7
	s_waitcnt lgkmcnt(0)
	v_mul_f32_e32 v6, v3, v9
	v_fma_f32 v6, v2, v8, -v6
	v_add_f32_e32 v35, v35, v6
	v_mul_f32_e32 v6, v3, v11
	v_mul_f32_e32 v7, v2, v9
	v_fma_f32 v6, v2, v10, -v6
	v_mul_f32_e32 v2, v2, v11
	v_fmac_f32_e32 v2, v3, v10
	v_add_f32_e32 v56, v0, v2
	v_mul_f32_e32 v0, v69, v9
	v_add_f32_e32 v50, v54, v50
	v_add_f32_e32 v54, v1, v6
	v_fma_f32 v0, v68, v8, -v0
	v_mul_f32_e32 v1, v68, v9
	v_fmac_f32_e32 v7, v3, v8
	v_fmac_f32_e32 v1, v69, v8
	v_add_f32_e32 v62, v4, v0
	v_mul_f32_e32 v0, v69, v11
	v_add_f32_e32 v48, v48, v7
	v_add_f32_e32 v63, v5, v1
	v_fma_f32 v8, v68, v10, -v0
	ds_read_b128 v[0:3], v49 offset:64
	ds_read2_b64 v[4:7], v53 offset1:16
	v_mul_f32_e32 v9, v68, v11
	v_fmac_f32_e32 v9, v69, v10
	v_add_f32_e32 v50, v50, v8
	v_add_f32_e32 v52, v52, v9
	s_waitcnt lgkmcnt(0)
	v_mul_f32_e32 v58, v1, v5
	v_fma_f32 v58, v0, v4, -v58
	v_mul_f32_e32 v59, v0, v5
	v_fmac_f32_e32 v59, v1, v4
	v_add_f32_e32 v35, v35, v58
	v_mul_f32_e32 v58, v1, v7
	ds_read_b128 v[8:11], v49 offset:80
	v_add_f32_e32 v48, v48, v59
	v_fma_f32 v66, v0, v6, -v58
	ds_read_b128 v[58:61], v49 offset:4160
	v_mul_f32_e32 v0, v0, v7
	ds_read2_b64 v[70:73], v53 offset0:32 offset1:48
	v_fmac_f32_e32 v0, v1, v6
	v_add_f32_e32 v1, v54, v66
	s_waitcnt lgkmcnt(1)
	v_mul_f32_e32 v54, v59, v5
	v_fma_f32 v54, v58, v4, -v54
	v_mul_f32_e32 v5, v58, v5
	v_fmac_f32_e32 v5, v59, v4
	v_add_f32_e32 v4, v62, v54
	v_mul_f32_e32 v54, v59, v7
	v_fma_f32 v54, v58, v6, -v54
	v_mul_f32_e32 v7, v58, v7
	v_fmac_f32_e32 v7, v59, v6
	v_add_f32_e32 v6, v50, v54
	s_waitcnt lgkmcnt(0)
	v_mul_f32_e32 v50, v3, v71
	v_fma_f32 v50, v2, v70, -v50
	v_add_f32_e32 v35, v35, v50
	v_mul_f32_e32 v50, v3, v73
	v_add_f32_e32 v7, v52, v7
	v_mul_f32_e32 v52, v2, v71
	v_fma_f32 v50, v2, v72, -v50
	v_mul_f32_e32 v2, v2, v73
	v_add_f32_e32 v0, v56, v0
	v_fmac_f32_e32 v52, v3, v70
	v_fmac_f32_e32 v2, v3, v72
	v_add_f32_e32 v48, v48, v52
	v_add_f32_e32 v52, v0, v2
	v_mul_f32_e32 v0, v61, v71
	v_add_f32_e32 v50, v1, v50
	v_fma_f32 v0, v60, v70, -v0
	v_mul_f32_e32 v1, v60, v71
	v_add_f32_e32 v5, v63, v5
	v_fmac_f32_e32 v1, v61, v70
	v_add_f32_e32 v4, v4, v0
	v_mul_f32_e32 v0, v61, v73
	v_add_f32_e32 v5, v5, v1
	v_fma_f32 v54, v60, v72, -v0
	ds_read2_b64 v[0:3], v53 offset0:64 offset1:80
	ds_read_b128 v[66:69], v49 offset:4176
	v_mul_f32_e32 v56, v60, v73
	v_add_f32_e32 v54, v6, v54
	v_fmac_f32_e32 v56, v61, v72
	s_waitcnt lgkmcnt(1)
	v_mul_f32_e32 v6, v9, v1
	v_fma_f32 v6, v8, v0, -v6
	v_add_f32_e32 v56, v7, v56
	v_mul_f32_e32 v7, v8, v1
	v_add_f32_e32 v35, v35, v6
	v_mul_f32_e32 v6, v9, v3
	v_fmac_f32_e32 v7, v9, v0
	v_fma_f32 v6, v8, v2, -v6
	v_add_f32_e32 v48, v48, v7
	v_mul_f32_e32 v7, v8, v3
	v_add_f32_e32 v8, v50, v6
	s_waitcnt lgkmcnt(0)
	v_mul_f32_e32 v6, v67, v1
	v_fma_f32 v6, v66, v0, -v6
	v_mul_f32_e32 v1, v66, v1
	v_fmac_f32_e32 v7, v9, v2
	v_fmac_f32_e32 v1, v67, v0
	v_add_f32_e32 v0, v4, v6
	v_mul_f32_e32 v4, v67, v3
	v_add_f32_e32 v9, v52, v7
	v_add_f32_e32 v1, v5, v1
	v_fma_f32 v50, v66, v2, -v4
	ds_read2_b64 v[4:7], v53 offset0:96 offset1:112
	v_mul_f32_e32 v3, v66, v3
	v_fmac_f32_e32 v3, v67, v2
	v_add_f32_e32 v52, v56, v3
	v_add_f32_e32 v50, v54, v50
	s_waitcnt lgkmcnt(0)
	v_mul_f32_e32 v2, v11, v5
	v_fma_f32 v2, v10, v4, -v2
	v_mul_f32_e32 v3, v10, v5
	v_fmac_f32_e32 v3, v11, v4
	v_add_f32_e32 v35, v35, v2
	v_mul_f32_e32 v2, v11, v7
	v_add_f32_e32 v48, v48, v3
	v_fma_f32 v2, v10, v6, -v2
	v_mul_f32_e32 v3, v10, v7
	v_fmac_f32_e32 v3, v11, v6
	v_add_f32_e32 v54, v8, v2
	v_mul_f32_e32 v2, v69, v5
	v_add_f32_e32 v56, v9, v3
	;; [unrolled: 6-line block ×3, first 2 shown]
	v_fma_f32 v4, v68, v6, -v0
	ds_read_b128 v[0:3], v49 offset:96
	ds_read2_b64 v[8:11], v53 offset0:128 offset1:144
	v_mul_f32_e32 v5, v68, v7
	v_fmac_f32_e32 v5, v69, v6
	v_add_f32_e32 v50, v50, v4
	v_add_f32_e32 v52, v52, v5
	s_waitcnt lgkmcnt(0)
	v_mul_f32_e32 v58, v1, v9
	v_fma_f32 v58, v0, v8, -v58
	v_mul_f32_e32 v59, v0, v9
	v_fmac_f32_e32 v59, v1, v8
	v_add_f32_e32 v35, v35, v58
	v_mul_f32_e32 v58, v1, v11
	ds_read_b128 v[4:7], v49 offset:112
	v_add_f32_e32 v48, v48, v59
	v_fma_f32 v66, v0, v10, -v58
	ds_read_b128 v[58:61], v49 offset:4192
	v_mul_f32_e32 v0, v0, v11
	ds_read2_b64 v[70:73], v53 offset0:160 offset1:176
	v_fmac_f32_e32 v0, v1, v10
	v_add_f32_e32 v1, v54, v66
	s_waitcnt lgkmcnt(1)
	v_mul_f32_e32 v54, v59, v9
	v_fma_f32 v54, v58, v8, -v54
	v_mul_f32_e32 v9, v58, v9
	v_fmac_f32_e32 v9, v59, v8
	v_add_f32_e32 v8, v62, v54
	v_mul_f32_e32 v54, v59, v11
	v_fma_f32 v54, v58, v10, -v54
	v_mul_f32_e32 v11, v58, v11
	v_fmac_f32_e32 v11, v59, v10
	v_add_f32_e32 v10, v50, v54
	s_waitcnt lgkmcnt(0)
	v_mul_f32_e32 v50, v3, v71
	v_fma_f32 v50, v2, v70, -v50
	v_add_f32_e32 v35, v35, v50
	v_mul_f32_e32 v50, v3, v73
	v_add_f32_e32 v11, v52, v11
	v_mul_f32_e32 v52, v2, v71
	v_fma_f32 v50, v2, v72, -v50
	v_mul_f32_e32 v2, v2, v73
	v_add_f32_e32 v0, v56, v0
	v_fmac_f32_e32 v52, v3, v70
	v_fmac_f32_e32 v2, v3, v72
	v_add_f32_e32 v48, v48, v52
	v_add_f32_e32 v52, v0, v2
	v_mul_f32_e32 v0, v61, v71
	v_add_f32_e32 v50, v1, v50
	v_fma_f32 v0, v60, v70, -v0
	v_mul_f32_e32 v1, v60, v71
	v_add_f32_e32 v9, v63, v9
	v_fmac_f32_e32 v1, v61, v70
	v_add_f32_e32 v8, v8, v0
	v_mul_f32_e32 v0, v61, v73
	v_add_f32_e32 v9, v9, v1
	v_fma_f32 v54, v60, v72, -v0
	ds_read2_b64 v[0:3], v53 offset0:192 offset1:208
	ds_read_b128 v[66:69], v49 offset:4208
	v_add_f32_e32 v54, v10, v54
	v_mul_f32_e32 v56, v60, v73
	v_fmac_f32_e32 v56, v61, v72
	s_waitcnt lgkmcnt(1)
	v_mul_f32_e32 v10, v5, v1
	v_fma_f32 v10, v4, v0, -v10
	v_add_f32_e32 v35, v35, v10
	v_mul_f32_e32 v10, v5, v3
	v_add_f32_e32 v56, v11, v56
	v_mul_f32_e32 v11, v4, v1
	v_fma_f32 v10, v4, v2, -v10
	v_mul_f32_e32 v4, v4, v3
	v_fmac_f32_e32 v11, v5, v0
	v_fmac_f32_e32 v4, v5, v2
	v_add_f32_e32 v5, v50, v10
	s_waitcnt lgkmcnt(0)
	v_mul_f32_e32 v10, v67, v1
	v_fma_f32 v10, v66, v0, -v10
	v_mul_f32_e32 v1, v66, v1
	v_fmac_f32_e32 v1, v67, v0
	v_add_f32_e32 v0, v8, v10
	v_mul_f32_e32 v8, v67, v3
	v_add_f32_e32 v48, v48, v11
	v_add_f32_e32 v1, v9, v1
	v_fma_f32 v50, v66, v2, -v8
	ds_read2_b64 v[8:11], v53 offset0:224 offset1:240
	v_mul_f32_e32 v3, v66, v3
	v_fmac_f32_e32 v3, v67, v2
	v_add_f32_e32 v4, v52, v4
	v_add_f32_e32 v52, v56, v3
	s_waitcnt lgkmcnt(0)
	v_mul_f32_e32 v2, v7, v9
	v_fma_f32 v2, v6, v8, -v2
	v_mul_f32_e32 v3, v6, v9
	v_fmac_f32_e32 v3, v7, v8
	v_add_f32_e32 v35, v35, v2
	v_mul_f32_e32 v2, v7, v11
	v_add_f32_e32 v48, v48, v3
	v_fma_f32 v2, v6, v10, -v2
	v_mul_f32_e32 v3, v6, v11
	v_add_f32_e32 v50, v54, v50
	v_fmac_f32_e32 v3, v7, v10
	v_add_f32_e32 v54, v5, v2
	v_mul_f32_e32 v2, v69, v9
	v_add_f32_e32 v56, v4, v3
	v_fma_f32 v2, v68, v8, -v2
	v_mul_f32_e32 v3, v68, v9
	v_fmac_f32_e32 v3, v69, v8
	v_add_f32_e32 v62, v0, v2
	v_mul_f32_e32 v0, v69, v11
	v_add_f32_e32 v63, v1, v3
	v_fma_f32 v8, v68, v10, -v0
	ds_read_b128 v[0:3], v49 offset:128
	ds_read2_b64 v[4:7], v55 offset1:16
	v_mul_f32_e32 v9, v68, v11
	v_fmac_f32_e32 v9, v69, v10
	v_add_f32_e32 v50, v50, v8
	v_add_f32_e32 v52, v52, v9
	s_waitcnt lgkmcnt(0)
	v_mul_f32_e32 v58, v1, v5
	v_fma_f32 v58, v0, v4, -v58
	v_mul_f32_e32 v59, v0, v5
	v_fmac_f32_e32 v59, v1, v4
	v_add_f32_e32 v35, v35, v58
	v_mul_f32_e32 v58, v1, v7
	ds_read_b128 v[8:11], v49 offset:144
	v_add_f32_e32 v48, v48, v59
	v_fma_f32 v66, v0, v6, -v58
	ds_read_b128 v[58:61], v49 offset:4224
	v_mul_f32_e32 v0, v0, v7
	ds_read2_b64 v[70:73], v55 offset0:32 offset1:48
	v_fmac_f32_e32 v0, v1, v6
	v_add_f32_e32 v1, v54, v66
	s_waitcnt lgkmcnt(1)
	v_mul_f32_e32 v54, v59, v5
	v_fma_f32 v54, v58, v4, -v54
	v_mul_f32_e32 v5, v58, v5
	v_fmac_f32_e32 v5, v59, v4
	v_add_f32_e32 v4, v62, v54
	v_mul_f32_e32 v54, v59, v7
	v_fma_f32 v54, v58, v6, -v54
	v_mul_f32_e32 v7, v58, v7
	v_fmac_f32_e32 v7, v59, v6
	v_add_f32_e32 v6, v50, v54
	s_waitcnt lgkmcnt(0)
	v_mul_f32_e32 v50, v3, v71
	v_fma_f32 v50, v2, v70, -v50
	v_add_f32_e32 v35, v35, v50
	v_mul_f32_e32 v50, v3, v73
	v_add_f32_e32 v7, v52, v7
	v_mul_f32_e32 v52, v2, v71
	v_fma_f32 v50, v2, v72, -v50
	v_mul_f32_e32 v2, v2, v73
	v_add_f32_e32 v0, v56, v0
	v_fmac_f32_e32 v52, v3, v70
	v_fmac_f32_e32 v2, v3, v72
	v_add_f32_e32 v48, v48, v52
	v_add_f32_e32 v52, v0, v2
	v_mul_f32_e32 v0, v61, v71
	v_add_f32_e32 v50, v1, v50
	v_fma_f32 v0, v60, v70, -v0
	v_mul_f32_e32 v1, v60, v71
	v_add_f32_e32 v5, v63, v5
	v_fmac_f32_e32 v1, v61, v70
	v_add_f32_e32 v4, v4, v0
	v_mul_f32_e32 v0, v61, v73
	v_add_f32_e32 v5, v5, v1
	v_fma_f32 v54, v60, v72, -v0
	ds_read2_b64 v[0:3], v55 offset0:64 offset1:80
	ds_read_b128 v[66:69], v49 offset:4240
	v_mul_f32_e32 v56, v60, v73
	v_add_f32_e32 v54, v6, v54
	v_fmac_f32_e32 v56, v61, v72
	s_waitcnt lgkmcnt(1)
	v_mul_f32_e32 v6, v9, v1
	v_fma_f32 v6, v8, v0, -v6
	v_add_f32_e32 v56, v7, v56
	v_mul_f32_e32 v7, v8, v1
	v_add_f32_e32 v35, v35, v6
	v_mul_f32_e32 v6, v9, v3
	v_fmac_f32_e32 v7, v9, v0
	v_fma_f32 v6, v8, v2, -v6
	v_add_f32_e32 v48, v48, v7
	v_mul_f32_e32 v7, v8, v3
	v_add_f32_e32 v8, v50, v6
	s_waitcnt lgkmcnt(0)
	v_mul_f32_e32 v6, v67, v1
	v_fma_f32 v6, v66, v0, -v6
	v_mul_f32_e32 v1, v66, v1
	v_fmac_f32_e32 v7, v9, v2
	v_fmac_f32_e32 v1, v67, v0
	v_add_f32_e32 v0, v4, v6
	v_mul_f32_e32 v4, v67, v3
	v_add_f32_e32 v9, v52, v7
	v_add_f32_e32 v1, v5, v1
	v_fma_f32 v50, v66, v2, -v4
	ds_read2_b64 v[4:7], v55 offset0:96 offset1:112
	v_mul_f32_e32 v3, v66, v3
	v_fmac_f32_e32 v3, v67, v2
	v_add_f32_e32 v52, v56, v3
	v_add_f32_e32 v50, v54, v50
	s_waitcnt lgkmcnt(0)
	v_mul_f32_e32 v2, v11, v5
	v_fma_f32 v2, v10, v4, -v2
	v_mul_f32_e32 v3, v10, v5
	v_fmac_f32_e32 v3, v11, v4
	v_add_f32_e32 v35, v35, v2
	v_mul_f32_e32 v2, v11, v7
	v_add_f32_e32 v48, v48, v3
	v_fma_f32 v2, v10, v6, -v2
	v_mul_f32_e32 v3, v10, v7
	v_fmac_f32_e32 v3, v11, v6
	v_add_f32_e32 v54, v8, v2
	v_mul_f32_e32 v2, v69, v5
	v_add_f32_e32 v56, v9, v3
	;; [unrolled: 6-line block ×3, first 2 shown]
	v_fma_f32 v4, v68, v6, -v0
	ds_read_b128 v[0:3], v49 offset:160
	ds_read2_b64 v[8:11], v55 offset0:128 offset1:144
	v_mul_f32_e32 v5, v68, v7
	v_fmac_f32_e32 v5, v69, v6
	v_add_f32_e32 v50, v50, v4
	v_add_f32_e32 v52, v52, v5
	s_waitcnt lgkmcnt(0)
	v_mul_f32_e32 v58, v1, v9
	v_fma_f32 v58, v0, v8, -v58
	v_mul_f32_e32 v59, v0, v9
	v_fmac_f32_e32 v59, v1, v8
	v_add_f32_e32 v35, v35, v58
	v_mul_f32_e32 v58, v1, v11
	ds_read_b128 v[4:7], v49 offset:176
	v_add_f32_e32 v48, v48, v59
	v_fma_f32 v66, v0, v10, -v58
	ds_read_b128 v[58:61], v49 offset:4256
	v_mul_f32_e32 v0, v0, v11
	ds_read2_b64 v[70:73], v55 offset0:160 offset1:176
	v_fmac_f32_e32 v0, v1, v10
	v_add_f32_e32 v1, v54, v66
	s_waitcnt lgkmcnt(1)
	v_mul_f32_e32 v54, v59, v9
	v_fma_f32 v54, v58, v8, -v54
	v_mul_f32_e32 v9, v58, v9
	v_fmac_f32_e32 v9, v59, v8
	v_add_f32_e32 v8, v62, v54
	v_mul_f32_e32 v54, v59, v11
	v_fma_f32 v54, v58, v10, -v54
	v_mul_f32_e32 v11, v58, v11
	v_fmac_f32_e32 v11, v59, v10
	v_add_f32_e32 v10, v50, v54
	s_waitcnt lgkmcnt(0)
	v_mul_f32_e32 v50, v3, v71
	v_fma_f32 v50, v2, v70, -v50
	v_add_f32_e32 v35, v35, v50
	v_mul_f32_e32 v50, v3, v73
	v_add_f32_e32 v11, v52, v11
	v_mul_f32_e32 v52, v2, v71
	v_fma_f32 v50, v2, v72, -v50
	v_mul_f32_e32 v2, v2, v73
	v_add_f32_e32 v0, v56, v0
	v_fmac_f32_e32 v52, v3, v70
	v_fmac_f32_e32 v2, v3, v72
	v_add_f32_e32 v48, v48, v52
	v_add_f32_e32 v52, v0, v2
	v_mul_f32_e32 v0, v61, v71
	v_add_f32_e32 v50, v1, v50
	v_fma_f32 v0, v60, v70, -v0
	v_mul_f32_e32 v1, v60, v71
	v_add_f32_e32 v9, v63, v9
	v_fmac_f32_e32 v1, v61, v70
	v_add_f32_e32 v8, v8, v0
	v_mul_f32_e32 v0, v61, v73
	v_add_f32_e32 v9, v9, v1
	v_fma_f32 v54, v60, v72, -v0
	ds_read2_b64 v[0:3], v55 offset0:192 offset1:208
	ds_read_b128 v[66:69], v49 offset:4272
	v_add_f32_e32 v54, v10, v54
	v_mul_f32_e32 v56, v60, v73
	v_fmac_f32_e32 v56, v61, v72
	s_waitcnt lgkmcnt(1)
	v_mul_f32_e32 v10, v5, v1
	v_fma_f32 v10, v4, v0, -v10
	v_add_f32_e32 v35, v35, v10
	v_mul_f32_e32 v10, v5, v3
	v_add_f32_e32 v56, v11, v56
	v_mul_f32_e32 v11, v4, v1
	v_fma_f32 v10, v4, v2, -v10
	v_mul_f32_e32 v4, v4, v3
	v_fmac_f32_e32 v11, v5, v0
	v_fmac_f32_e32 v4, v5, v2
	v_add_f32_e32 v5, v50, v10
	s_waitcnt lgkmcnt(0)
	v_mul_f32_e32 v10, v67, v1
	v_fma_f32 v10, v66, v0, -v10
	v_mul_f32_e32 v1, v66, v1
	v_fmac_f32_e32 v1, v67, v0
	v_add_f32_e32 v0, v8, v10
	v_mul_f32_e32 v8, v67, v3
	v_add_f32_e32 v48, v48, v11
	v_add_f32_e32 v1, v9, v1
	v_fma_f32 v50, v66, v2, -v8
	ds_read2_b64 v[8:11], v55 offset0:224 offset1:240
	v_mul_f32_e32 v3, v66, v3
	v_fmac_f32_e32 v3, v67, v2
	v_add_f32_e32 v4, v52, v4
	v_add_f32_e32 v52, v56, v3
	s_waitcnt lgkmcnt(0)
	v_mul_f32_e32 v2, v7, v9
	v_fma_f32 v2, v6, v8, -v2
	v_mul_f32_e32 v3, v6, v9
	v_fmac_f32_e32 v3, v7, v8
	v_add_f32_e32 v35, v35, v2
	v_mul_f32_e32 v2, v7, v11
	v_add_f32_e32 v48, v48, v3
	v_fma_f32 v2, v6, v10, -v2
	v_mul_f32_e32 v3, v6, v11
	v_add_f32_e32 v50, v54, v50
	v_fmac_f32_e32 v3, v7, v10
	v_add_f32_e32 v54, v5, v2
	v_mul_f32_e32 v2, v69, v9
	v_add_f32_e32 v56, v4, v3
	v_fma_f32 v2, v68, v8, -v2
	v_mul_f32_e32 v3, v68, v9
	v_fmac_f32_e32 v3, v69, v8
	v_add_f32_e32 v62, v0, v2
	v_mul_f32_e32 v0, v69, v11
	v_add_f32_e32 v63, v1, v3
	v_fma_f32 v8, v68, v10, -v0
	ds_read_b128 v[0:3], v49 offset:192
	ds_read2_b64 v[4:7], v57 offset1:16
	v_mul_f32_e32 v9, v68, v11
	v_fmac_f32_e32 v9, v69, v10
	v_add_f32_e32 v50, v50, v8
	v_add_f32_e32 v52, v52, v9
	s_waitcnt lgkmcnt(0)
	v_mul_f32_e32 v58, v1, v5
	v_fma_f32 v58, v0, v4, -v58
	v_mul_f32_e32 v59, v0, v5
	v_fmac_f32_e32 v59, v1, v4
	v_add_f32_e32 v35, v35, v58
	v_mul_f32_e32 v58, v1, v7
	ds_read_b128 v[8:11], v49 offset:208
	v_add_f32_e32 v48, v48, v59
	v_fma_f32 v66, v0, v6, -v58
	ds_read_b128 v[58:61], v49 offset:4288
	v_mul_f32_e32 v0, v0, v7
	ds_read2_b64 v[70:73], v57 offset0:32 offset1:48
	v_fmac_f32_e32 v0, v1, v6
	v_add_f32_e32 v1, v54, v66
	s_waitcnt lgkmcnt(1)
	v_mul_f32_e32 v54, v59, v5
	v_fma_f32 v54, v58, v4, -v54
	v_mul_f32_e32 v5, v58, v5
	v_fmac_f32_e32 v5, v59, v4
	v_add_f32_e32 v4, v62, v54
	v_mul_f32_e32 v54, v59, v7
	v_fma_f32 v54, v58, v6, -v54
	v_mul_f32_e32 v7, v58, v7
	v_fmac_f32_e32 v7, v59, v6
	v_add_f32_e32 v6, v50, v54
	s_waitcnt lgkmcnt(0)
	v_mul_f32_e32 v50, v3, v71
	v_fma_f32 v50, v2, v70, -v50
	v_add_f32_e32 v35, v35, v50
	v_mul_f32_e32 v50, v3, v73
	v_add_f32_e32 v7, v52, v7
	v_mul_f32_e32 v52, v2, v71
	v_fma_f32 v50, v2, v72, -v50
	v_mul_f32_e32 v2, v2, v73
	v_add_f32_e32 v0, v56, v0
	v_fmac_f32_e32 v52, v3, v70
	v_fmac_f32_e32 v2, v3, v72
	v_add_f32_e32 v48, v48, v52
	v_add_f32_e32 v52, v0, v2
	v_mul_f32_e32 v0, v61, v71
	v_add_f32_e32 v50, v1, v50
	v_fma_f32 v0, v60, v70, -v0
	v_mul_f32_e32 v1, v60, v71
	v_add_f32_e32 v5, v63, v5
	v_fmac_f32_e32 v1, v61, v70
	v_add_f32_e32 v4, v4, v0
	v_mul_f32_e32 v0, v61, v73
	v_add_f32_e32 v5, v5, v1
	v_fma_f32 v54, v60, v72, -v0
	ds_read2_b64 v[0:3], v57 offset0:64 offset1:80
	ds_read_b128 v[66:69], v49 offset:4304
	v_mul_f32_e32 v56, v60, v73
	v_add_f32_e32 v54, v6, v54
	v_fmac_f32_e32 v56, v61, v72
	s_waitcnt lgkmcnt(1)
	v_mul_f32_e32 v6, v9, v1
	v_fma_f32 v6, v8, v0, -v6
	v_add_f32_e32 v56, v7, v56
	v_mul_f32_e32 v7, v8, v1
	v_add_f32_e32 v35, v35, v6
	v_mul_f32_e32 v6, v9, v3
	v_fmac_f32_e32 v7, v9, v0
	v_fma_f32 v6, v8, v2, -v6
	v_add_f32_e32 v48, v48, v7
	v_mul_f32_e32 v7, v8, v3
	v_add_f32_e32 v8, v50, v6
	s_waitcnt lgkmcnt(0)
	v_mul_f32_e32 v6, v67, v1
	v_fma_f32 v6, v66, v0, -v6
	v_mul_f32_e32 v1, v66, v1
	v_fmac_f32_e32 v7, v9, v2
	v_fmac_f32_e32 v1, v67, v0
	v_add_f32_e32 v0, v4, v6
	v_mul_f32_e32 v4, v67, v3
	v_add_f32_e32 v9, v52, v7
	v_add_f32_e32 v1, v5, v1
	v_fma_f32 v50, v66, v2, -v4
	ds_read2_b64 v[4:7], v57 offset0:96 offset1:112
	v_mul_f32_e32 v3, v66, v3
	v_fmac_f32_e32 v3, v67, v2
	v_add_f32_e32 v52, v56, v3
	v_add_f32_e32 v50, v54, v50
	s_waitcnt lgkmcnt(0)
	v_mul_f32_e32 v2, v11, v5
	v_fma_f32 v2, v10, v4, -v2
	v_mul_f32_e32 v3, v10, v5
	v_fmac_f32_e32 v3, v11, v4
	v_add_f32_e32 v35, v35, v2
	v_mul_f32_e32 v2, v11, v7
	v_add_f32_e32 v48, v48, v3
	v_fma_f32 v2, v10, v6, -v2
	v_mul_f32_e32 v3, v10, v7
	v_fmac_f32_e32 v3, v11, v6
	v_add_f32_e32 v54, v8, v2
	v_mul_f32_e32 v2, v69, v5
	v_add_f32_e32 v56, v9, v3
	;; [unrolled: 6-line block ×3, first 2 shown]
	v_fma_f32 v4, v68, v6, -v0
	ds_read_b128 v[0:3], v49 offset:224
	ds_read2_b64 v[8:11], v57 offset0:128 offset1:144
	v_mul_f32_e32 v5, v68, v7
	v_fmac_f32_e32 v5, v69, v6
	v_add_f32_e32 v50, v50, v4
	v_add_f32_e32 v52, v52, v5
	s_waitcnt lgkmcnt(0)
	v_mul_f32_e32 v58, v1, v9
	v_fma_f32 v58, v0, v8, -v58
	v_mul_f32_e32 v59, v0, v9
	v_fmac_f32_e32 v59, v1, v8
	v_add_f32_e32 v35, v35, v58
	v_mul_f32_e32 v58, v1, v11
	ds_read_b128 v[4:7], v49 offset:240
	v_add_f32_e32 v48, v48, v59
	v_fma_f32 v66, v0, v10, -v58
	ds_read_b128 v[58:61], v49 offset:4320
	v_mul_f32_e32 v0, v0, v11
	ds_read2_b64 v[70:73], v57 offset0:160 offset1:176
	v_fmac_f32_e32 v0, v1, v10
	v_add_f32_e32 v1, v54, v66
	s_waitcnt lgkmcnt(1)
	v_mul_f32_e32 v54, v59, v9
	v_fma_f32 v54, v58, v8, -v54
	v_mul_f32_e32 v9, v58, v9
	v_fmac_f32_e32 v9, v59, v8
	v_add_f32_e32 v8, v62, v54
	v_mul_f32_e32 v54, v59, v11
	v_fma_f32 v54, v58, v10, -v54
	v_mul_f32_e32 v11, v58, v11
	v_fmac_f32_e32 v11, v59, v10
	v_add_f32_e32 v10, v50, v54
	s_waitcnt lgkmcnt(0)
	v_mul_f32_e32 v50, v3, v71
	v_fma_f32 v50, v2, v70, -v50
	v_add_f32_e32 v35, v35, v50
	v_mul_f32_e32 v50, v3, v73
	v_add_f32_e32 v11, v52, v11
	v_mul_f32_e32 v52, v2, v71
	v_fma_f32 v50, v2, v72, -v50
	v_mul_f32_e32 v2, v2, v73
	v_add_f32_e32 v0, v56, v0
	v_fmac_f32_e32 v52, v3, v70
	v_fmac_f32_e32 v2, v3, v72
	v_add_f32_e32 v48, v48, v52
	v_add_f32_e32 v52, v0, v2
	v_mul_f32_e32 v0, v61, v71
	v_add_f32_e32 v50, v1, v50
	v_fma_f32 v0, v60, v70, -v0
	v_mul_f32_e32 v1, v60, v71
	v_add_f32_e32 v9, v63, v9
	v_fmac_f32_e32 v1, v61, v70
	v_add_f32_e32 v8, v8, v0
	v_mul_f32_e32 v0, v61, v73
	v_add_f32_e32 v9, v9, v1
	v_fma_f32 v54, v60, v72, -v0
	ds_read2_b64 v[0:3], v57 offset0:192 offset1:208
	ds_read_b128 v[66:69], v49 offset:4336
	v_add_f32_e32 v54, v10, v54
	v_mul_f32_e32 v56, v60, v73
	v_fmac_f32_e32 v56, v61, v72
	s_waitcnt lgkmcnt(1)
	v_mul_f32_e32 v10, v5, v1
	v_fma_f32 v10, v4, v0, -v10
	v_add_f32_e32 v35, v35, v10
	v_mul_f32_e32 v10, v5, v3
	v_add_f32_e32 v56, v11, v56
	v_mul_f32_e32 v11, v4, v1
	v_fma_f32 v10, v4, v2, -v10
	v_mul_f32_e32 v4, v4, v3
	v_fmac_f32_e32 v11, v5, v0
	v_fmac_f32_e32 v4, v5, v2
	v_add_f32_e32 v5, v50, v10
	s_waitcnt lgkmcnt(0)
	v_mul_f32_e32 v10, v67, v1
	v_fma_f32 v10, v66, v0, -v10
	v_mul_f32_e32 v1, v66, v1
	v_fmac_f32_e32 v1, v67, v0
	v_add_f32_e32 v0, v8, v10
	v_mul_f32_e32 v8, v67, v3
	v_add_f32_e32 v48, v48, v11
	v_add_f32_e32 v1, v9, v1
	v_fma_f32 v50, v66, v2, -v8
	ds_read2_b64 v[8:11], v57 offset0:224 offset1:240
	v_mul_f32_e32 v3, v66, v3
	v_fmac_f32_e32 v3, v67, v2
	v_add_f32_e32 v2, v54, v50
	v_add_f32_e32 v4, v52, v4
	s_waitcnt lgkmcnt(0)
	v_mul_f32_e32 v50, v7, v9
	v_fma_f32 v50, v6, v8, -v50
	v_add_f32_e32 v60, v35, v50
	v_mul_f32_e32 v35, v7, v11
	v_mul_f32_e32 v52, v6, v9
	v_fma_f32 v35, v6, v10, -v35
	v_mul_f32_e32 v6, v6, v11
	v_fmac_f32_e32 v6, v7, v10
	v_add_f32_e32 v3, v56, v3
	v_add_f32_e32 v56, v5, v35
	;; [unrolled: 1-line block ×3, first 2 shown]
	v_mul_f32_e32 v4, v69, v9
	v_mul_f32_e32 v5, v68, v9
	s_add_u32 s24, s24, 32
	v_fmac_f32_e32 v52, v7, v8
	v_fma_f32 v4, v68, v8, -v4
	v_fmac_f32_e32 v5, v69, v8
	s_addc_u32 s25, s25, 0
	s_sub_i32 s4, s24, 32
	v_add_f32_e32 v62, v48, v52
	v_add_f32_e32 v52, v0, v4
	;; [unrolled: 1-line block ×3, first 2 shown]
	v_mul_f32_e32 v0, v69, v11
	v_mul_f32_e32 v1, v68, v11
	s_add_u32 s20, s20, 0x100
	v_fma_f32 v0, v68, v10, -v0
	v_fmac_f32_e32 v1, v69, v10
	s_addc_u32 s21, s21, 0
	v_add_f32_e32 v50, v2, v0
	v_add_f32_e32 v48, v3, v1
	s_cmp_ge_i32 s4, s52
	s_barrier
	s_cbranch_scc1 .LBB78_51
.LBB78_7:                               ;   Parent Loop BB78_4 Depth=1
                                        ; =>  This Inner Loop Header: Depth=2
	v_lshl_add_u64 v[4:5], v[12:13], 0, s[24:25]
	v_cmp_le_i64_e64 s[12:13], s[40:41], v[4:5]
	v_cmp_eq_u64_e64 s[4:5], s[24:25], v[26:27]
	v_cmp_gt_i64_e64 s[10:11], v[4:5], v[16:17]
	s_and_b64 s[38:39], s[34:35], s[4:5]
	s_or_b64 s[4:5], s[12:13], s[10:11]
	s_or_b64 s[4:5], s[4:5], s[38:39]
	v_lshl_add_u64 v[0:1], v[18:19], 0, s[20:21]
	s_nor_b64 s[4:5], s[0:1], s[4:5]
	s_and_saveexec_b64 s[30:31], s[4:5]
	s_xor_b64 s[4:5], exec, s[30:31]
	s_cbranch_execz .LBB78_9
; %bb.8:                                ;   in Loop: Header=BB78_7 Depth=2
	global_load_dwordx2 v[2:3], v[0:1], off
	s_waitcnt vmcnt(0)
	ds_write_b64 v43, v[2:3]
.LBB78_9:                               ;   in Loop: Header=BB78_7 Depth=2
	s_or_saveexec_b64 s[4:5], s[4:5]
	s_xor_b64 s[30:31], s[38:39], -1
	s_xor_b64 exec, exec, s[4:5]
	s_cbranch_execz .LBB78_15
; %bb.10:                               ;   in Loop: Header=BB78_7 Depth=2
	s_and_saveexec_b64 s[50:51], s[30:31]
	s_xor_b64 s[50:51], exec, s[50:51]
; %bb.11:                               ;   in Loop: Header=BB78_7 Depth=2
	ds_write_b64 v43, v[64:65]
; %bb.12:                               ;   in Loop: Header=BB78_7 Depth=2
	s_andn2_saveexec_b64 s[50:51], s[50:51]
; %bb.13:                               ;   in Loop: Header=BB78_7 Depth=2
	ds_write_b64 v43, v[40:41]
; %bb.14:                               ;   in Loop: Header=BB78_7 Depth=2
	s_or_b64 exec, exec, s[50:51]
.LBB78_15:                              ;   in Loop: Header=BB78_7 Depth=2
	s_or_b64 exec, exec, s[4:5]
	v_cmp_eq_u64_e64 s[4:5], s[24:25], v[28:29]
	s_and_b64 s[50:51], s[34:35], s[4:5]
	v_cmp_lt_i64_e64 s[4:5], v[22:23], v[4:5]
	s_or_b64 s[4:5], s[12:13], s[4:5]
	s_or_b64 s[4:5], s[4:5], s[50:51]
	s_nor_b64 s[4:5], s[14:15], s[4:5]
	v_lshl_add_u64 v[2:3], v[38:39], 0, s[20:21]
	s_and_saveexec_b64 s[12:13], s[4:5]
	s_xor_b64 s[4:5], exec, s[12:13]
	s_cbranch_execz .LBB78_17
; %bb.16:                               ;   in Loop: Header=BB78_7 Depth=2
	global_load_dwordx2 v[6:7], v[2:3], off
	s_waitcnt vmcnt(0)
	ds_write_b64 v43, v[6:7] offset:128
.LBB78_17:                              ;   in Loop: Header=BB78_7 Depth=2
	s_andn2_saveexec_b64 s[4:5], s[4:5]
	s_cbranch_execz .LBB78_23
; %bb.18:                               ;   in Loop: Header=BB78_7 Depth=2
	s_xor_b64 s[12:13], s[50:51], -1
	s_and_saveexec_b64 s[50:51], s[12:13]
	s_xor_b64 s[12:13], exec, s[50:51]
; %bb.19:                               ;   in Loop: Header=BB78_7 Depth=2
	ds_write_b64 v43, v[64:65] offset:128
; %bb.20:                               ;   in Loop: Header=BB78_7 Depth=2
	s_andn2_saveexec_b64 s[12:13], s[12:13]
; %bb.21:                               ;   in Loop: Header=BB78_7 Depth=2
	ds_write_b64 v43, v[40:41] offset:128
; %bb.22:                               ;   in Loop: Header=BB78_7 Depth=2
	s_or_b64 exec, exec, s[12:13]
.LBB78_23:                              ;   in Loop: Header=BB78_7 Depth=2
	s_or_b64 exec, exec, s[4:5]
	v_lshl_add_u64 v[4:5], v[4:5], 0, 16
	v_cmp_eq_u64_e64 s[4:5], s[24:25], v[30:31]
	v_cmp_le_i64_e64 s[12:13], s[40:41], v[4:5]
	s_and_b64 s[50:51], s[34:35], s[4:5]
	v_cmp_gt_i64_e64 s[4:5], v[4:5], v[16:17]
	s_or_b64 s[4:5], s[12:13], s[4:5]
	s_or_b64 s[4:5], s[4:5], s[50:51]
	s_nor_b64 s[4:5], s[0:1], s[4:5]
	s_and_saveexec_b64 s[54:55], s[4:5]
	s_xor_b64 s[4:5], exec, s[54:55]
	s_cbranch_execz .LBB78_25
; %bb.24:                               ;   in Loop: Header=BB78_7 Depth=2
	global_load_dwordx2 v[0:1], v[0:1], off offset:128
	s_waitcnt vmcnt(0)
	ds_write_b64 v43, v[0:1] offset:4096
.LBB78_25:                              ;   in Loop: Header=BB78_7 Depth=2
	s_andn2_saveexec_b64 s[4:5], s[4:5]
	s_cbranch_execz .LBB78_31
; %bb.26:                               ;   in Loop: Header=BB78_7 Depth=2
	s_xor_b64 s[50:51], s[50:51], -1
	s_and_saveexec_b64 s[54:55], s[50:51]
	s_xor_b64 s[50:51], exec, s[54:55]
; %bb.27:                               ;   in Loop: Header=BB78_7 Depth=2
	ds_write_b64 v43, v[64:65] offset:4096
; %bb.28:                               ;   in Loop: Header=BB78_7 Depth=2
	s_andn2_saveexec_b64 s[50:51], s[50:51]
; %bb.29:                               ;   in Loop: Header=BB78_7 Depth=2
	ds_write_b64 v43, v[40:41] offset:4096
; %bb.30:                               ;   in Loop: Header=BB78_7 Depth=2
	s_or_b64 exec, exec, s[50:51]
.LBB78_31:                              ;   in Loop: Header=BB78_7 Depth=2
	s_or_b64 exec, exec, s[4:5]
	s_or_b64 s[4:5], s[12:13], s[10:11]
	s_or_b64 s[4:5], s[4:5], s[38:39]
	s_nor_b64 s[4:5], s[14:15], s[4:5]
	s_and_saveexec_b64 s[10:11], s[4:5]
	s_xor_b64 s[4:5], exec, s[10:11]
	s_cbranch_execz .LBB78_33
; %bb.32:                               ;   in Loop: Header=BB78_7 Depth=2
	global_load_dwordx2 v[0:1], v[2:3], off offset:128
	s_waitcnt vmcnt(0)
	ds_write_b64 v43, v[0:1] offset:4224
.LBB78_33:                              ;   in Loop: Header=BB78_7 Depth=2
	s_andn2_saveexec_b64 s[4:5], s[4:5]
	s_cbranch_execz .LBB78_39
; %bb.34:                               ;   in Loop: Header=BB78_7 Depth=2
	s_and_saveexec_b64 s[10:11], s[30:31]
	s_xor_b64 s[10:11], exec, s[10:11]
; %bb.35:                               ;   in Loop: Header=BB78_7 Depth=2
	ds_write_b64 v43, v[64:65] offset:4224
; %bb.36:                               ;   in Loop: Header=BB78_7 Depth=2
	s_andn2_saveexec_b64 s[10:11], s[10:11]
; %bb.37:                               ;   in Loop: Header=BB78_7 Depth=2
	ds_write_b64 v43, v[40:41] offset:4224
; %bb.38:                               ;   in Loop: Header=BB78_7 Depth=2
	s_or_b64 exec, exec, s[10:11]
.LBB78_39:                              ;   in Loop: Header=BB78_7 Depth=2
	s_or_b64 exec, exec, s[4:5]
	v_lshl_add_u64 v[2:3], v[14:15], 0, s[24:25]
	v_cmp_gt_i64_e64 s[10:11], s[40:41], v[2:3]
	v_lshl_add_u64 v[0:1], v[44:45], 0, s[20:21]
	s_and_b64 s[12:13], vcc, s[10:11]
	v_mov_b32_e32 v4, 0
	v_mov_b32_e32 v5, 0
	s_and_saveexec_b64 s[4:5], s[12:13]
	s_cbranch_execz .LBB78_41
; %bb.40:                               ;   in Loop: Header=BB78_7 Depth=2
	global_load_dwordx2 v[4:5], v[0:1], off
.LBB78_41:                              ;   in Loop: Header=BB78_7 Depth=2
	s_or_b64 exec, exec, s[4:5]
	v_cmp_gt_i64_e64 s[12:13], s[42:43], v[2:3]
	s_and_b64 s[4:5], vcc, s[12:13]
	s_xor_b64 s[4:5], s[4:5], -1
	s_waitcnt vmcnt(0)
	ds_write_b64 v51, v[4:5]
	s_and_saveexec_b64 s[30:31], s[4:5]
	s_xor_b64 s[4:5], exec, s[30:31]
; %bb.42:                               ;   in Loop: Header=BB78_7 Depth=2
	ds_write_b64 v51, v[64:65] offset:128
                                        ; implicit-def: $vgpr0_vgpr1
; %bb.43:                               ;   in Loop: Header=BB78_7 Depth=2
	s_andn2_saveexec_b64 s[4:5], s[4:5]
	s_cbranch_execz .LBB78_45
; %bb.44:                               ;   in Loop: Header=BB78_7 Depth=2
	global_load_dwordx2 v[0:1], v[0:1], off offset:128
	s_waitcnt vmcnt(0)
	ds_write_b64 v51, v[0:1] offset:128
.LBB78_45:                              ;   in Loop: Header=BB78_7 Depth=2
	s_or_b64 exec, exec, s[4:5]
	v_lshl_add_u64 v[0:1], v[46:47], 0, s[20:21]
	s_and_b64 s[10:11], s[8:9], s[10:11]
	v_mov_b32_e32 v2, 0
	v_mov_b32_e32 v3, 0
	s_and_saveexec_b64 s[4:5], s[10:11]
	s_cbranch_execz .LBB78_47
; %bb.46:                               ;   in Loop: Header=BB78_7 Depth=2
	global_load_dwordx2 v[2:3], v[0:1], off
.LBB78_47:                              ;   in Loop: Header=BB78_7 Depth=2
	s_or_b64 exec, exec, s[4:5]
	s_and_b64 s[4:5], s[8:9], s[12:13]
	s_xor_b64 s[4:5], s[4:5], -1
	s_waitcnt vmcnt(0)
	ds_write_b64 v51, v[2:3] offset:4096
	s_and_saveexec_b64 s[10:11], s[4:5]
	s_xor_b64 s[4:5], exec, s[10:11]
; %bb.48:                               ;   in Loop: Header=BB78_7 Depth=2
	ds_write_b64 v51, v[64:65] offset:4224
                                        ; implicit-def: $vgpr0_vgpr1
; %bb.49:                               ;   in Loop: Header=BB78_7 Depth=2
	s_andn2_saveexec_b64 s[4:5], s[4:5]
	s_cbranch_execz .LBB78_6
; %bb.50:                               ;   in Loop: Header=BB78_7 Depth=2
	global_load_dwordx2 v[0:1], v[0:1], off offset:128
	s_waitcnt vmcnt(0)
	ds_write_b64 v51, v[0:1] offset:4224
	s_branch .LBB78_6
.LBB78_51:                              ;   in Loop: Header=BB78_4 Depth=1
	v_mul_lo_u32 v2, s49, v42
	v_mul_lo_u32 v3, s48, v21
	v_mad_u64_u32 v[0:1], s[4:5], s48, v42, 0
	v_cmp_gt_i32_e32 vcc, s46, v42
	v_add3_u32 v1, v1, v3, v2
	v_lshl_add_u64 v[0:1], v[0:1], 3, s[22:23]
	s_and_b64 s[8:9], s[16:17], vcc
	s_and_saveexec_b64 s[4:5], s[8:9]
	s_cbranch_execz .LBB78_53
; %bb.52:                               ;   in Loop: Header=BB78_4 Depth=1
	v_lshl_add_u64 v[2:3], v[16:17], 3, v[0:1]
	global_load_dwordx2 v[4:5], v[2:3], off
	v_pk_mul_f32 v[6:7], v[62:63], s[44:45] op_sel_hi:[0,1]
	v_pk_fma_f32 v[8:9], v[60:61], s[18:19], v[6:7] neg_lo:[0,0,1] neg_hi:[0,0,1]
	v_pk_fma_f32 v[6:7], v[60:61], s[18:19], v[6:7] op_sel_hi:[0,1,1]
	v_mov_b32_e32 v9, v7
	s_waitcnt vmcnt(0)
	v_pk_add_f32 v[4:5], v[4:5], v[8:9]
	global_store_dwordx2 v[2:3], v[4:5], off
.LBB78_53:                              ;   in Loop: Header=BB78_4 Depth=1
	s_or_b64 exec, exec, s[4:5]
	s_and_b64 s[8:9], s[6:7], vcc
	s_and_saveexec_b64 s[4:5], s[8:9]
	s_cbranch_execz .LBB78_55
; %bb.54:                               ;   in Loop: Header=BB78_4 Depth=1
	v_lshl_add_u64 v[0:1], v[24:25], 3, v[0:1]
	global_load_dwordx2 v[2:3], v[0:1], off
	v_pk_mul_f32 v[4:5], v[58:59], s[44:45] op_sel_hi:[0,1]
	v_pk_fma_f32 v[6:7], v[56:57], s[18:19], v[4:5] neg_lo:[0,0,1] neg_hi:[0,0,1]
	v_pk_fma_f32 v[4:5], v[56:57], s[18:19], v[4:5] op_sel_hi:[0,1,1]
	v_mov_b32_e32 v7, v5
	s_waitcnt vmcnt(0)
	v_pk_add_f32 v[2:3], v[2:3], v[6:7]
	global_store_dwordx2 v[0:1], v[2:3], off
.LBB78_55:                              ;   in Loop: Header=BB78_4 Depth=1
	s_or_b64 exec, exec, s[4:5]
	v_add_u32_e32 v0, 16, v42
	v_ashrrev_i32_e32 v1, 31, v0
	v_cmp_gt_i32_e32 vcc, s46, v0
	v_mul_lo_u32 v2, s48, v1
	v_mul_lo_u32 v3, s49, v0
	v_mad_u64_u32 v[0:1], s[4:5], s48, v0, 0
	v_add3_u32 v1, v1, v2, v3
	v_lshl_add_u64 v[0:1], v[0:1], 3, s[22:23]
	s_and_b64 s[8:9], s[16:17], vcc
	s_and_saveexec_b64 s[4:5], s[8:9]
	s_cbranch_execz .LBB78_57
; %bb.56:                               ;   in Loop: Header=BB78_4 Depth=1
	v_lshl_add_u64 v[2:3], v[16:17], 3, v[0:1]
	global_load_dwordx2 v[4:5], v[2:3], off
	v_pk_mul_f32 v[6:7], v[54:55], s[44:45] op_sel_hi:[0,1]
	v_pk_fma_f32 v[8:9], v[52:53], s[18:19], v[6:7] neg_lo:[0,0,1] neg_hi:[0,0,1]
	v_pk_fma_f32 v[6:7], v[52:53], s[18:19], v[6:7] op_sel_hi:[0,1,1]
	v_mov_b32_e32 v9, v7
	s_waitcnt vmcnt(0)
	v_pk_add_f32 v[4:5], v[4:5], v[8:9]
	global_store_dwordx2 v[2:3], v[4:5], off
.LBB78_57:                              ;   in Loop: Header=BB78_4 Depth=1
	s_or_b64 exec, exec, s[4:5]
	s_and_b64 s[8:9], s[6:7], vcc
	s_and_saveexec_b64 s[4:5], s[8:9]
	s_cbranch_execz .LBB78_3
; %bb.58:                               ;   in Loop: Header=BB78_4 Depth=1
	v_lshl_add_u64 v[0:1], v[24:25], 3, v[0:1]
	global_load_dwordx2 v[2:3], v[0:1], off
	v_pk_mul_f32 v[4:5], v[48:49], s[44:45] op_sel_hi:[0,1]
	v_pk_fma_f32 v[6:7], v[50:51], s[18:19], v[4:5] neg_lo:[0,0,1] neg_hi:[0,0,1]
	v_pk_fma_f32 v[4:5], v[50:51], s[18:19], v[4:5] op_sel_hi:[0,1,1]
	v_mov_b32_e32 v7, v5
	s_waitcnt vmcnt(0)
	v_pk_add_f32 v[2:3], v[2:3], v[6:7]
	global_store_dwordx2 v[0:1], v[2:3], off
	s_branch .LBB78_3
.LBB78_59:
	s_endpgm
	.section	.rodata,"a",@progbits
	.p2align	6, 0x0
	.amdhsa_kernel _ZL30rocblas_trmm_outofplace_kernelI19rocblas_complex_numIfELi32ELi2ELb1ELb1ELb1ELb0EPKS1_S2_S1_Ev17rocblas_diagonal_iiT6_lPT7_lllS7_lllPT8_llli
		.amdhsa_group_segment_fixed_size 16384
		.amdhsa_private_segment_fixed_size 0
		.amdhsa_kernarg_size 392
		.amdhsa_user_sgpr_count 2
		.amdhsa_user_sgpr_dispatch_ptr 0
		.amdhsa_user_sgpr_queue_ptr 0
		.amdhsa_user_sgpr_kernarg_segment_ptr 1
		.amdhsa_user_sgpr_dispatch_id 0
		.amdhsa_user_sgpr_kernarg_preload_length 0
		.amdhsa_user_sgpr_kernarg_preload_offset 0
		.amdhsa_user_sgpr_private_segment_size 0
		.amdhsa_uses_dynamic_stack 0
		.amdhsa_enable_private_segment 0
		.amdhsa_system_sgpr_workgroup_id_x 1
		.amdhsa_system_sgpr_workgroup_id_y 1
		.amdhsa_system_sgpr_workgroup_id_z 1
		.amdhsa_system_sgpr_workgroup_info 0
		.amdhsa_system_vgpr_workitem_id 1
		.amdhsa_next_free_vgpr 82
		.amdhsa_next_free_sgpr 56
		.amdhsa_accum_offset 84
		.amdhsa_reserve_vcc 1
		.amdhsa_float_round_mode_32 0
		.amdhsa_float_round_mode_16_64 0
		.amdhsa_float_denorm_mode_32 3
		.amdhsa_float_denorm_mode_16_64 3
		.amdhsa_dx10_clamp 1
		.amdhsa_ieee_mode 1
		.amdhsa_fp16_overflow 0
		.amdhsa_tg_split 0
		.amdhsa_exception_fp_ieee_invalid_op 0
		.amdhsa_exception_fp_denorm_src 0
		.amdhsa_exception_fp_ieee_div_zero 0
		.amdhsa_exception_fp_ieee_overflow 0
		.amdhsa_exception_fp_ieee_underflow 0
		.amdhsa_exception_fp_ieee_inexact 0
		.amdhsa_exception_int_div_zero 0
	.end_amdhsa_kernel
	.section	.text._ZL30rocblas_trmm_outofplace_kernelI19rocblas_complex_numIfELi32ELi2ELb1ELb1ELb1ELb0EPKS1_S2_S1_Ev17rocblas_diagonal_iiT6_lPT7_lllS7_lllPT8_llli,"axG",@progbits,_ZL30rocblas_trmm_outofplace_kernelI19rocblas_complex_numIfELi32ELi2ELb1ELb1ELb1ELb0EPKS1_S2_S1_Ev17rocblas_diagonal_iiT6_lPT7_lllS7_lllPT8_llli,comdat
.Lfunc_end78:
	.size	_ZL30rocblas_trmm_outofplace_kernelI19rocblas_complex_numIfELi32ELi2ELb1ELb1ELb1ELb0EPKS1_S2_S1_Ev17rocblas_diagonal_iiT6_lPT7_lllS7_lllPT8_llli, .Lfunc_end78-_ZL30rocblas_trmm_outofplace_kernelI19rocblas_complex_numIfELi32ELi2ELb1ELb1ELb1ELb0EPKS1_S2_S1_Ev17rocblas_diagonal_iiT6_lPT7_lllS7_lllPT8_llli
                                        ; -- End function
	.set _ZL30rocblas_trmm_outofplace_kernelI19rocblas_complex_numIfELi32ELi2ELb1ELb1ELb1ELb0EPKS1_S2_S1_Ev17rocblas_diagonal_iiT6_lPT7_lllS7_lllPT8_llli.num_vgpr, 82
	.set _ZL30rocblas_trmm_outofplace_kernelI19rocblas_complex_numIfELi32ELi2ELb1ELb1ELb1ELb0EPKS1_S2_S1_Ev17rocblas_diagonal_iiT6_lPT7_lllS7_lllPT8_llli.num_agpr, 0
	.set _ZL30rocblas_trmm_outofplace_kernelI19rocblas_complex_numIfELi32ELi2ELb1ELb1ELb1ELb0EPKS1_S2_S1_Ev17rocblas_diagonal_iiT6_lPT7_lllS7_lllPT8_llli.numbered_sgpr, 56
	.set _ZL30rocblas_trmm_outofplace_kernelI19rocblas_complex_numIfELi32ELi2ELb1ELb1ELb1ELb0EPKS1_S2_S1_Ev17rocblas_diagonal_iiT6_lPT7_lllS7_lllPT8_llli.num_named_barrier, 0
	.set _ZL30rocblas_trmm_outofplace_kernelI19rocblas_complex_numIfELi32ELi2ELb1ELb1ELb1ELb0EPKS1_S2_S1_Ev17rocblas_diagonal_iiT6_lPT7_lllS7_lllPT8_llli.private_seg_size, 0
	.set _ZL30rocblas_trmm_outofplace_kernelI19rocblas_complex_numIfELi32ELi2ELb1ELb1ELb1ELb0EPKS1_S2_S1_Ev17rocblas_diagonal_iiT6_lPT7_lllS7_lllPT8_llli.uses_vcc, 1
	.set _ZL30rocblas_trmm_outofplace_kernelI19rocblas_complex_numIfELi32ELi2ELb1ELb1ELb1ELb0EPKS1_S2_S1_Ev17rocblas_diagonal_iiT6_lPT7_lllS7_lllPT8_llli.uses_flat_scratch, 0
	.set _ZL30rocblas_trmm_outofplace_kernelI19rocblas_complex_numIfELi32ELi2ELb1ELb1ELb1ELb0EPKS1_S2_S1_Ev17rocblas_diagonal_iiT6_lPT7_lllS7_lllPT8_llli.has_dyn_sized_stack, 0
	.set _ZL30rocblas_trmm_outofplace_kernelI19rocblas_complex_numIfELi32ELi2ELb1ELb1ELb1ELb0EPKS1_S2_S1_Ev17rocblas_diagonal_iiT6_lPT7_lllS7_lllPT8_llli.has_recursion, 0
	.set _ZL30rocblas_trmm_outofplace_kernelI19rocblas_complex_numIfELi32ELi2ELb1ELb1ELb1ELb0EPKS1_S2_S1_Ev17rocblas_diagonal_iiT6_lPT7_lllS7_lllPT8_llli.has_indirect_call, 0
	.section	.AMDGPU.csdata,"",@progbits
; Kernel info:
; codeLenInByte = 6316
; TotalNumSgprs: 62
; NumVgprs: 82
; NumAgprs: 0
; TotalNumVgprs: 82
; ScratchSize: 0
; MemoryBound: 1
; FloatMode: 240
; IeeeMode: 1
; LDSByteSize: 16384 bytes/workgroup (compile time only)
; SGPRBlocks: 7
; VGPRBlocks: 10
; NumSGPRsForWavesPerEU: 62
; NumVGPRsForWavesPerEU: 82
; AccumOffset: 84
; Occupancy: 5
; WaveLimiterHint : 0
; COMPUTE_PGM_RSRC2:SCRATCH_EN: 0
; COMPUTE_PGM_RSRC2:USER_SGPR: 2
; COMPUTE_PGM_RSRC2:TRAP_HANDLER: 0
; COMPUTE_PGM_RSRC2:TGID_X_EN: 1
; COMPUTE_PGM_RSRC2:TGID_Y_EN: 1
; COMPUTE_PGM_RSRC2:TGID_Z_EN: 1
; COMPUTE_PGM_RSRC2:TIDIG_COMP_CNT: 1
; COMPUTE_PGM_RSRC3_GFX90A:ACCUM_OFFSET: 20
; COMPUTE_PGM_RSRC3_GFX90A:TG_SPLIT: 0
	.section	.text._ZL30rocblas_trmm_outofplace_kernelI19rocblas_complex_numIfELi32ELi2ELb1ELb1ELb1ELb0ES1_KS1_S1_Ev17rocblas_diagonal_iiT6_lPT7_lllS6_lllPT8_llli,"axG",@progbits,_ZL30rocblas_trmm_outofplace_kernelI19rocblas_complex_numIfELi32ELi2ELb1ELb1ELb1ELb0ES1_KS1_S1_Ev17rocblas_diagonal_iiT6_lPT7_lllS6_lllPT8_llli,comdat
	.globl	_ZL30rocblas_trmm_outofplace_kernelI19rocblas_complex_numIfELi32ELi2ELb1ELb1ELb1ELb0ES1_KS1_S1_Ev17rocblas_diagonal_iiT6_lPT7_lllS6_lllPT8_llli ; -- Begin function _ZL30rocblas_trmm_outofplace_kernelI19rocblas_complex_numIfELi32ELi2ELb1ELb1ELb1ELb0ES1_KS1_S1_Ev17rocblas_diagonal_iiT6_lPT7_lllS6_lllPT8_llli
	.p2align	8
	.type	_ZL30rocblas_trmm_outofplace_kernelI19rocblas_complex_numIfELi32ELi2ELb1ELb1ELb1ELb0ES1_KS1_S1_Ev17rocblas_diagonal_iiT6_lPT7_lllS6_lllPT8_llli,@function
_ZL30rocblas_trmm_outofplace_kernelI19rocblas_complex_numIfELi32ELi2ELb1ELb1ELb1ELb0ES1_KS1_S1_Ev17rocblas_diagonal_iiT6_lPT7_lllS6_lllPT8_llli: ; @_ZL30rocblas_trmm_outofplace_kernelI19rocblas_complex_numIfELi32ELi2ELb1ELb1ELb1ELb0ES1_KS1_S1_Ev17rocblas_diagonal_iiT6_lPT7_lllS6_lllPT8_llli
; %bb.0:
	s_load_dwordx4 s[24:27], s[0:1], 0x0
	s_load_dword s29, s[0:1], 0x10
	s_waitcnt lgkmcnt(0)
	s_or_b32 s5, s27, s29
	s_bitset0_b32 s5, 31
	s_cmp_eq_u32 s5, 0
	s_cbranch_scc1 .LBB79_59
; %bb.1:
	s_add_i32 s5, s26, -1
	s_ashr_i32 s6, s5, 31
	s_lshr_b32 s6, s6, 27
	s_add_i32 s5, s5, s6
	s_ashr_i32 s33, s5, 5
	s_cmp_gt_i32 s3, s33
	s_cbranch_scc1 .LBB79_59
; %bb.2:
	s_load_dwordx16 s[36:51], s[0:1], 0x20
	s_load_dwordx8 s[16:23], s[0:1], 0x60
	v_and_b32_e32 v14, 0x3ff, v0
	v_bfe_u32 v12, v0, 10, 10
	s_load_dword s54, s[0:1], 0x8c
	s_waitcnt lgkmcnt(0)
	s_mul_i32 s5, s43, s4
	s_mul_hi_u32 s6, s42, s4
	s_add_i32 s7, s6, s5
	s_mul_i32 s6, s42, s4
	s_lshl_b64 s[8:9], s[6:7], 3
	s_add_u32 s5, s36, s8
	s_addc_u32 s7, s37, s9
	s_lshl_b64 s[10:11], s[38:39], 3
	s_add_u32 s6, s5, s10
	s_mul_i32 s5, s23, s4
	s_mul_hi_u32 s12, s22, s4
	s_addc_u32 s7, s7, s11
	s_add_i32 s13, s12, s5
	s_mul_i32 s12, s22, s4
	s_lshl_b64 s[12:13], s[12:13], 3
	s_add_u32 s5, s16, s12
	s_addc_u32 s14, s17, s13
	s_lshl_b64 s[12:13], s[18:19], 3
	s_add_u32 s22, s5, s12
	s_addc_u32 s23, s14, s13
	s_lshl_b32 s52, s2, 5
	v_add_u32_e32 v16, s52, v14
	v_mad_u64_u32 v[0:1], s[12:13], s40, v16, 0
	s_cmp_gt_i32 s2, -1
	s_cselect_b64 s[12:13], -1, 0
	s_cmpk_eq_i32 s24, 0x84
	s_cselect_b64 s[30:31], -1, 0
	s_ashr_i32 s35, s25, 31
	s_ashr_i32 s2, s26, 31
	s_add_u32 s38, s25, -16
	s_mul_i32 s5, s51, s4
	s_mul_hi_u32 s14, s50, s4
	s_addc_u32 s39, s35, -1
	s_add_i32 s5, s14, s5
	s_mul_i32 s4, s50, s4
	s_lshl_b64 s[4:5], s[4:5], 3
	s_lshl_b64 s[14:15], s[46:47], 3
	v_ashrrev_i32_e32 v17, 31, v16
	s_add_u32 s4, s4, s14
	v_mul_lo_u32 v2, s40, v17
	v_mul_lo_u32 v3, s41, v16
	s_addc_u32 s5, s5, s15
	v_mov_b32_e32 v13, 0
	v_add3_u32 v1, v1, v2, v3
	v_add_u32_e32 v24, 16, v16
	s_add_u32 s4, s44, s4
	s_mov_b32 s28, s27
	v_lshl_add_u64 v[0:1], v[0:1], 3, s[6:7]
	s_mov_b32 s34, s25
	v_lshlrev_b32_e32 v20, 3, v14
	v_cmp_le_i32_e64 s[0:1], s25, v16
	v_cmp_gt_i32_e64 s[18:19], s25, v16
	v_cmp_gt_i32_e64 s[6:7], s25, v24
	s_mov_b32 s25, s27
	v_mov_b32_e32 v21, v13
	s_addc_u32 s5, s45, s5
	s_lshl_b64 s[42:43], s[48:49], 3
	s_lshl_b32 s27, s54, 5
	v_lshlrev_b32_e32 v2, 3, v12
	v_mov_b32_e32 v3, v13
	v_lshl_add_u64 v[32:33], s[4:5], 0, v[20:21]
	s_add_u32 s4, s10, s8
	v_lshl_add_u64 v[18:19], v[0:1], 0, v[2:3]
	v_lshlrev_b32_e32 v0, 8, v12
	v_mov_b64_e32 v[36:37], 0x80
	s_addc_u32 s5, s11, s9
	v_add_u32_e32 v43, v20, v0
	v_add_u32_e32 v49, 0x2000, v0
	v_lshl_add_u64 v[0:1], v[16:17], 3, v[36:37]
	v_mov_b64_e32 v[4:5], s[4:5]
	v_mul_lo_u32 v6, s40, v1
	v_mul_lo_u32 v7, s41, v0
	v_mad_u64_u32 v[0:1], s[4:5], s40, v0, v[4:5]
	v_add3_u32 v1, v7, v1, v6
	v_sub_co_u32_e32 v26, vcc, v16, v12
	v_lshl_add_u64 v[0:1], v[0:1], 0, v[2:3]
	v_lshl_add_u64 v[22:23], v[16:17], 0, 16
	v_subbrev_co_u32_e32 v27, vcc, 0, v17, vcc
	v_lshl_add_u64 v[38:39], s[36:37], 0, v[0:1]
	v_cndmask_b32_e64 v0, 0, 1, s[12:13]
	v_mov_b32_e32 v15, v13
	s_mov_b32 s53, s26
	v_add_u32_e32 v51, v49, v20
	v_cmp_le_i64_e64 s[16:17], s[34:35], v[22:23]
	v_ashrrev_i32_e32 v25, 31, v24
	s_mov_b32 s24, s29
	v_lshl_add_u64 v[28:29], v[26:27], 0, 16
	v_lshl_add_u64 v[30:31], v[26:27], 0, -16
	v_lshl_add_u32 v34, s3, 5, v12
	v_cmp_ne_u32_e64 s[8:9], 1, v0
	v_mov_b32_e32 v64, v13
	v_mov_b32_e32 v65, v13
	v_mov_b32_e32 v40, 1.0
	v_mov_b32_e32 v41, v13
	v_add_u32_e32 v53, 0x800, v20
	v_add_u32_e32 v55, 0x1000, v20
	;; [unrolled: 1-line block ×3, first 2 shown]
	s_branch .LBB79_4
.LBB79_3:                               ;   in Loop: Header=BB79_4 Depth=1
	s_or_b64 exec, exec, s[4:5]
	s_add_i32 s3, s54, s3
	s_cmp_le_i32 s3, s33
	v_add_u32_e32 v34, s27, v34
	s_cbranch_scc0 .LBB79_59
.LBB79_4:                               ; =>This Loop Header: Depth=1
                                        ;     Child Loop BB79_7 Depth 2
	v_lshl_add_u32 v42, s3, 5, v12
	v_ashrrev_i32_e32 v21, 31, v42
	s_and_b64 vcc, exec, s[8:9]
	v_mov_b32_e32 v60, 0
	v_mov_b32_e32 v62, 0
	;; [unrolled: 1-line block ×8, first 2 shown]
	s_cbranch_vccnz .LBB79_51
; %bb.5:                                ;   in Loop: Header=BB79_4 Depth=1
	v_ashrrev_i32_e32 v35, 31, v34
	v_mad_u64_u32 v[44:45], s[4:5], s42, v34, v[32:33]
	v_mul_lo_u32 v0, s43, v34
	v_mul_lo_u32 v1, s42, v35
	v_add3_u32 v45, v0, v45, v1
	v_lshl_add_u64 v[0:1], v[34:35], 3, v[36:37]
	v_mul_lo_u32 v1, s48, v1
	v_mul_lo_u32 v2, s49, v0
	v_mad_u64_u32 v[46:47], s[4:5], s48, v0, v[32:33]
	v_add3_u32 v47, v2, v47, v1
	v_mov_b32_e32 v1, s2
	v_sub_co_u32_e32 v0, vcc, s53, v42
	s_mov_b64 s[36:37], 0
	s_nop 0
	v_subb_co_u32_e32 v1, vcc, v1, v21, vcc
	v_cmp_lt_i64_e32 vcc, 0, v[0:1]
	v_cmp_lt_i64_e64 s[10:11], 16, v[0:1]
	v_mov_b32_e32 v48, 0
	s_mov_b64 s[40:41], 0
	v_mov_b32_e32 v50, 0
	v_mov_b32_e32 v54, 0
	v_mov_b32_e32 v52, 0
	v_mov_b32_e32 v58, 0
	v_mov_b32_e32 v56, 0
	v_mov_b32_e32 v62, 0
	v_mov_b32_e32 v60, 0
	s_branch .LBB79_7
.LBB79_6:                               ;   in Loop: Header=BB79_7 Depth=2
	s_or_b64 exec, exec, s[4:5]
	s_waitcnt lgkmcnt(0)
	s_barrier
	ds_read2_b64 v[66:69], v20 offset1:16
	ds_read_b128 v[70:73], v49
	ds_read_b128 v[8:11], v49 offset:16
	ds_read_b128 v[4:7], v49 offset:32
	;; [unrolled: 1-line block ×3, first 2 shown]
	ds_read2_b64 v[78:81], v20 offset0:32 offset1:48
	s_waitcnt lgkmcnt(4)
	v_mul_f32_e32 v35, v71, v67
	v_fma_f32 v35, v70, v66, -v35
	v_mul_f32_e32 v59, v70, v67
	v_fmac_f32_e32 v59, v71, v66
	v_add_f32_e32 v35, v60, v35
	v_mul_f32_e32 v60, v71, v69
	v_add_f32_e32 v59, v62, v59
	v_fma_f32 v74, v70, v68, -v60
	ds_read_b128 v[60:63], v49 offset:4096
	v_mul_f32_e32 v70, v70, v69
	v_fmac_f32_e32 v70, v71, v68
	v_add_f32_e32 v56, v56, v74
	v_add_f32_e32 v58, v58, v70
	ds_read_b128 v[74:77], v49 offset:4112
	s_waitcnt lgkmcnt(1)
	v_mul_f32_e32 v70, v61, v67
	v_mul_f32_e32 v67, v60, v67
	v_fma_f32 v70, v60, v66, -v70
	v_fmac_f32_e32 v67, v61, v66
	v_mul_f32_e32 v66, v61, v69
	v_fma_f32 v66, v60, v68, -v66
	v_mul_f32_e32 v60, v60, v69
	v_fmac_f32_e32 v60, v61, v68
	v_add_f32_e32 v48, v48, v60
	v_mul_f32_e32 v60, v73, v79
	v_fma_f32 v60, v72, v78, -v60
	v_mul_f32_e32 v61, v72, v79
	v_fmac_f32_e32 v61, v73, v78
	v_add_f32_e32 v35, v35, v60
	v_mul_f32_e32 v60, v72, v81
	v_add_f32_e32 v50, v50, v66
	v_add_f32_e32 v66, v59, v61
	v_mul_f32_e32 v59, v73, v81
	v_fmac_f32_e32 v60, v73, v80
	v_add_f32_e32 v54, v54, v67
	v_fma_f32 v59, v72, v80, -v59
	v_add_f32_e32 v67, v58, v60
	v_mul_f32_e32 v58, v63, v79
	v_add_f32_e32 v52, v52, v70
	v_add_f32_e32 v56, v56, v59
	v_fma_f32 v58, v62, v78, -v58
	v_mul_f32_e32 v59, v62, v79
	v_fmac_f32_e32 v59, v63, v78
	v_add_f32_e32 v52, v52, v58
	v_mul_f32_e32 v58, v63, v81
	v_add_f32_e32 v54, v54, v59
	v_fma_f32 v68, v62, v80, -v58
	ds_read2_b64 v[58:61], v20 offset0:64 offset1:80
	v_mul_f32_e32 v62, v62, v81
	v_fmac_f32_e32 v62, v63, v80
	v_add_f32_e32 v48, v48, v62
	v_add_f32_e32 v50, v50, v68
	s_waitcnt lgkmcnt(0)
	v_mul_f32_e32 v62, v9, v59
	v_mul_f32_e32 v63, v8, v59
	v_fma_f32 v62, v8, v58, -v62
	v_fmac_f32_e32 v63, v9, v58
	v_add_f32_e32 v35, v35, v62
	v_add_f32_e32 v62, v66, v63
	v_mul_f32_e32 v63, v9, v61
	v_fma_f32 v63, v8, v60, -v63
	v_mul_f32_e32 v8, v8, v61
	v_fmac_f32_e32 v8, v9, v60
	v_add_f32_e32 v8, v67, v8
	ds_read2_b64 v[66:69], v20 offset0:96 offset1:112
	v_add_f32_e32 v9, v56, v63
	v_mul_f32_e32 v56, v75, v59
	v_fma_f32 v56, v74, v58, -v56
	v_mul_f32_e32 v59, v74, v59
	v_fmac_f32_e32 v59, v75, v58
	v_add_f32_e32 v52, v52, v56
	v_mul_f32_e32 v56, v75, v61
	v_mul_f32_e32 v58, v74, v61
	v_fma_f32 v56, v74, v60, -v56
	v_fmac_f32_e32 v58, v75, v60
	v_add_f32_e32 v50, v50, v56
	v_add_f32_e32 v48, v48, v58
	s_waitcnt lgkmcnt(0)
	v_mul_f32_e32 v56, v11, v67
	v_mul_f32_e32 v58, v10, v67
	v_fma_f32 v56, v10, v66, -v56
	v_fmac_f32_e32 v58, v11, v66
	v_add_f32_e32 v35, v35, v56
	v_add_f32_e32 v56, v62, v58
	v_mul_f32_e32 v58, v11, v69
	v_fma_f32 v58, v10, v68, -v58
	v_mul_f32_e32 v10, v10, v69
	v_fmac_f32_e32 v10, v11, v68
	v_add_f32_e32 v63, v8, v10
	v_mul_f32_e32 v8, v77, v67
	v_add_f32_e32 v62, v9, v58
	v_fma_f32 v8, v76, v66, -v8
	v_mul_f32_e32 v9, v76, v67
	v_add_f32_e32 v54, v54, v59
	v_fmac_f32_e32 v9, v77, v66
	v_add_f32_e32 v52, v52, v8
	v_mul_f32_e32 v8, v77, v69
	v_add_f32_e32 v54, v54, v9
	v_fma_f32 v58, v76, v68, -v8
	ds_read2_b64 v[8:11], v20 offset0:128 offset1:144
	v_mul_f32_e32 v59, v76, v69
	v_fmac_f32_e32 v59, v77, v68
	v_add_f32_e32 v50, v50, v58
	v_add_f32_e32 v48, v48, v59
	s_waitcnt lgkmcnt(0)
	v_mul_f32_e32 v58, v5, v9
	v_fma_f32 v58, v4, v8, -v58
	v_mul_f32_e32 v59, v4, v9
	v_fmac_f32_e32 v59, v5, v8
	v_add_f32_e32 v35, v35, v58
	v_mul_f32_e32 v58, v5, v11
	v_add_f32_e32 v56, v56, v59
	v_fma_f32 v66, v4, v10, -v58
	ds_read_b128 v[58:61], v49 offset:4128
	v_mul_f32_e32 v4, v4, v11
	ds_read2_b64 v[70:73], v20 offset0:160 offset1:176
	v_fmac_f32_e32 v4, v5, v10
	v_add_f32_e32 v5, v62, v66
	ds_read_b128 v[66:69], v49 offset:4144
	s_waitcnt lgkmcnt(2)
	v_mul_f32_e32 v62, v59, v9
	v_fma_f32 v62, v58, v8, -v62
	v_mul_f32_e32 v9, v58, v9
	v_fmac_f32_e32 v9, v59, v8
	v_add_f32_e32 v8, v52, v62
	v_mul_f32_e32 v52, v59, v11
	v_mul_f32_e32 v11, v58, v11
	v_fma_f32 v52, v58, v10, -v52
	v_fmac_f32_e32 v11, v59, v10
	v_add_f32_e32 v10, v50, v52
	v_add_f32_e32 v11, v48, v11
	s_waitcnt lgkmcnt(1)
	v_mul_f32_e32 v48, v7, v71
	v_mul_f32_e32 v50, v6, v71
	v_fma_f32 v48, v6, v70, -v48
	v_fmac_f32_e32 v50, v7, v70
	v_add_f32_e32 v35, v35, v48
	v_add_f32_e32 v48, v56, v50
	v_mul_f32_e32 v50, v7, v73
	v_fma_f32 v50, v6, v72, -v50
	v_mul_f32_e32 v6, v6, v73
	v_add_f32_e32 v4, v63, v4
	v_fmac_f32_e32 v6, v7, v72
	v_add_f32_e32 v52, v4, v6
	v_mul_f32_e32 v4, v61, v71
	v_add_f32_e32 v50, v5, v50
	v_fma_f32 v4, v60, v70, -v4
	v_mul_f32_e32 v5, v60, v71
	v_add_f32_e32 v9, v54, v9
	v_fmac_f32_e32 v5, v61, v70
	v_add_f32_e32 v8, v8, v4
	v_mul_f32_e32 v4, v61, v73
	v_add_f32_e32 v9, v9, v5
	v_fma_f32 v54, v60, v72, -v4
	ds_read2_b64 v[4:7], v20 offset0:192 offset1:208
	v_add_f32_e32 v54, v10, v54
	v_mul_f32_e32 v56, v60, v73
	v_fmac_f32_e32 v56, v61, v72
	v_add_f32_e32 v56, v11, v56
	s_waitcnt lgkmcnt(0)
	v_mul_f32_e32 v10, v1, v5
	v_fma_f32 v10, v0, v4, -v10
	v_add_f32_e32 v35, v35, v10
	v_mul_f32_e32 v10, v1, v7
	v_mul_f32_e32 v11, v0, v5
	v_fma_f32 v10, v0, v6, -v10
	v_mul_f32_e32 v0, v0, v7
	v_fmac_f32_e32 v11, v1, v4
	v_fmac_f32_e32 v0, v1, v6
	v_add_f32_e32 v1, v50, v10
	v_mul_f32_e32 v10, v67, v5
	v_fma_f32 v10, v66, v4, -v10
	v_mul_f32_e32 v5, v66, v5
	v_fmac_f32_e32 v5, v67, v4
	v_add_f32_e32 v4, v8, v10
	v_mul_f32_e32 v8, v67, v7
	v_add_f32_e32 v48, v48, v11
	v_add_f32_e32 v5, v9, v5
	v_fma_f32 v50, v66, v6, -v8
	ds_read2_b64 v[8:11], v20 offset0:224 offset1:240
	v_mul_f32_e32 v7, v66, v7
	v_fmac_f32_e32 v7, v67, v6
	v_add_f32_e32 v0, v52, v0
	v_add_f32_e32 v52, v56, v7
	s_waitcnt lgkmcnt(0)
	v_mul_f32_e32 v6, v3, v9
	v_fma_f32 v6, v2, v8, -v6
	v_add_f32_e32 v35, v35, v6
	v_mul_f32_e32 v6, v3, v11
	v_mul_f32_e32 v7, v2, v9
	v_fma_f32 v6, v2, v10, -v6
	v_mul_f32_e32 v2, v2, v11
	v_fmac_f32_e32 v2, v3, v10
	v_add_f32_e32 v56, v0, v2
	v_mul_f32_e32 v0, v69, v9
	v_add_f32_e32 v50, v54, v50
	v_add_f32_e32 v54, v1, v6
	v_fma_f32 v0, v68, v8, -v0
	v_mul_f32_e32 v1, v68, v9
	v_fmac_f32_e32 v7, v3, v8
	v_fmac_f32_e32 v1, v69, v8
	v_add_f32_e32 v62, v4, v0
	v_mul_f32_e32 v0, v69, v11
	v_add_f32_e32 v48, v48, v7
	v_add_f32_e32 v63, v5, v1
	v_fma_f32 v8, v68, v10, -v0
	ds_read_b128 v[0:3], v49 offset:64
	ds_read2_b64 v[4:7], v53 offset1:16
	v_mul_f32_e32 v9, v68, v11
	v_fmac_f32_e32 v9, v69, v10
	v_add_f32_e32 v50, v50, v8
	v_add_f32_e32 v52, v52, v9
	s_waitcnt lgkmcnt(0)
	v_mul_f32_e32 v58, v1, v5
	v_fma_f32 v58, v0, v4, -v58
	v_mul_f32_e32 v59, v0, v5
	v_fmac_f32_e32 v59, v1, v4
	v_add_f32_e32 v35, v35, v58
	v_mul_f32_e32 v58, v1, v7
	ds_read_b128 v[8:11], v49 offset:80
	v_add_f32_e32 v48, v48, v59
	v_fma_f32 v66, v0, v6, -v58
	ds_read_b128 v[58:61], v49 offset:4160
	v_mul_f32_e32 v0, v0, v7
	ds_read2_b64 v[70:73], v53 offset0:32 offset1:48
	v_fmac_f32_e32 v0, v1, v6
	v_add_f32_e32 v1, v54, v66
	s_waitcnt lgkmcnt(1)
	v_mul_f32_e32 v54, v59, v5
	v_fma_f32 v54, v58, v4, -v54
	v_mul_f32_e32 v5, v58, v5
	v_fmac_f32_e32 v5, v59, v4
	v_add_f32_e32 v4, v62, v54
	v_mul_f32_e32 v54, v59, v7
	v_fma_f32 v54, v58, v6, -v54
	v_mul_f32_e32 v7, v58, v7
	v_fmac_f32_e32 v7, v59, v6
	v_add_f32_e32 v6, v50, v54
	s_waitcnt lgkmcnt(0)
	v_mul_f32_e32 v50, v3, v71
	v_fma_f32 v50, v2, v70, -v50
	v_add_f32_e32 v35, v35, v50
	v_mul_f32_e32 v50, v3, v73
	v_add_f32_e32 v7, v52, v7
	v_mul_f32_e32 v52, v2, v71
	v_fma_f32 v50, v2, v72, -v50
	v_mul_f32_e32 v2, v2, v73
	v_add_f32_e32 v0, v56, v0
	v_fmac_f32_e32 v52, v3, v70
	v_fmac_f32_e32 v2, v3, v72
	v_add_f32_e32 v48, v48, v52
	v_add_f32_e32 v52, v0, v2
	v_mul_f32_e32 v0, v61, v71
	v_add_f32_e32 v50, v1, v50
	v_fma_f32 v0, v60, v70, -v0
	v_mul_f32_e32 v1, v60, v71
	v_add_f32_e32 v5, v63, v5
	v_fmac_f32_e32 v1, v61, v70
	v_add_f32_e32 v4, v4, v0
	v_mul_f32_e32 v0, v61, v73
	v_add_f32_e32 v5, v5, v1
	v_fma_f32 v54, v60, v72, -v0
	ds_read2_b64 v[0:3], v53 offset0:64 offset1:80
	ds_read_b128 v[66:69], v49 offset:4176
	v_mul_f32_e32 v56, v60, v73
	v_add_f32_e32 v54, v6, v54
	v_fmac_f32_e32 v56, v61, v72
	s_waitcnt lgkmcnt(1)
	v_mul_f32_e32 v6, v9, v1
	v_fma_f32 v6, v8, v0, -v6
	v_add_f32_e32 v56, v7, v56
	v_mul_f32_e32 v7, v8, v1
	v_add_f32_e32 v35, v35, v6
	v_mul_f32_e32 v6, v9, v3
	v_fmac_f32_e32 v7, v9, v0
	v_fma_f32 v6, v8, v2, -v6
	v_add_f32_e32 v48, v48, v7
	v_mul_f32_e32 v7, v8, v3
	v_add_f32_e32 v8, v50, v6
	s_waitcnt lgkmcnt(0)
	v_mul_f32_e32 v6, v67, v1
	v_fma_f32 v6, v66, v0, -v6
	v_mul_f32_e32 v1, v66, v1
	v_fmac_f32_e32 v7, v9, v2
	v_fmac_f32_e32 v1, v67, v0
	v_add_f32_e32 v0, v4, v6
	v_mul_f32_e32 v4, v67, v3
	v_add_f32_e32 v9, v52, v7
	v_add_f32_e32 v1, v5, v1
	v_fma_f32 v50, v66, v2, -v4
	ds_read2_b64 v[4:7], v53 offset0:96 offset1:112
	v_mul_f32_e32 v3, v66, v3
	v_fmac_f32_e32 v3, v67, v2
	v_add_f32_e32 v52, v56, v3
	v_add_f32_e32 v50, v54, v50
	s_waitcnt lgkmcnt(0)
	v_mul_f32_e32 v2, v11, v5
	v_fma_f32 v2, v10, v4, -v2
	v_mul_f32_e32 v3, v10, v5
	v_fmac_f32_e32 v3, v11, v4
	v_add_f32_e32 v35, v35, v2
	v_mul_f32_e32 v2, v11, v7
	v_add_f32_e32 v48, v48, v3
	v_fma_f32 v2, v10, v6, -v2
	v_mul_f32_e32 v3, v10, v7
	v_fmac_f32_e32 v3, v11, v6
	v_add_f32_e32 v54, v8, v2
	v_mul_f32_e32 v2, v69, v5
	v_add_f32_e32 v56, v9, v3
	;; [unrolled: 6-line block ×3, first 2 shown]
	v_fma_f32 v4, v68, v6, -v0
	ds_read_b128 v[0:3], v49 offset:96
	ds_read2_b64 v[8:11], v53 offset0:128 offset1:144
	v_mul_f32_e32 v5, v68, v7
	v_fmac_f32_e32 v5, v69, v6
	v_add_f32_e32 v50, v50, v4
	v_add_f32_e32 v52, v52, v5
	s_waitcnt lgkmcnt(0)
	v_mul_f32_e32 v58, v1, v9
	v_fma_f32 v58, v0, v8, -v58
	v_mul_f32_e32 v59, v0, v9
	v_fmac_f32_e32 v59, v1, v8
	v_add_f32_e32 v35, v35, v58
	v_mul_f32_e32 v58, v1, v11
	ds_read_b128 v[4:7], v49 offset:112
	v_add_f32_e32 v48, v48, v59
	v_fma_f32 v66, v0, v10, -v58
	ds_read_b128 v[58:61], v49 offset:4192
	v_mul_f32_e32 v0, v0, v11
	ds_read2_b64 v[70:73], v53 offset0:160 offset1:176
	v_fmac_f32_e32 v0, v1, v10
	v_add_f32_e32 v1, v54, v66
	s_waitcnt lgkmcnt(1)
	v_mul_f32_e32 v54, v59, v9
	v_fma_f32 v54, v58, v8, -v54
	v_mul_f32_e32 v9, v58, v9
	v_fmac_f32_e32 v9, v59, v8
	v_add_f32_e32 v8, v62, v54
	v_mul_f32_e32 v54, v59, v11
	v_fma_f32 v54, v58, v10, -v54
	v_mul_f32_e32 v11, v58, v11
	v_fmac_f32_e32 v11, v59, v10
	v_add_f32_e32 v10, v50, v54
	s_waitcnt lgkmcnt(0)
	v_mul_f32_e32 v50, v3, v71
	v_fma_f32 v50, v2, v70, -v50
	v_add_f32_e32 v35, v35, v50
	v_mul_f32_e32 v50, v3, v73
	v_add_f32_e32 v11, v52, v11
	v_mul_f32_e32 v52, v2, v71
	v_fma_f32 v50, v2, v72, -v50
	v_mul_f32_e32 v2, v2, v73
	v_add_f32_e32 v0, v56, v0
	v_fmac_f32_e32 v52, v3, v70
	v_fmac_f32_e32 v2, v3, v72
	v_add_f32_e32 v48, v48, v52
	v_add_f32_e32 v52, v0, v2
	v_mul_f32_e32 v0, v61, v71
	v_add_f32_e32 v50, v1, v50
	v_fma_f32 v0, v60, v70, -v0
	v_mul_f32_e32 v1, v60, v71
	v_add_f32_e32 v9, v63, v9
	v_fmac_f32_e32 v1, v61, v70
	v_add_f32_e32 v8, v8, v0
	v_mul_f32_e32 v0, v61, v73
	v_add_f32_e32 v9, v9, v1
	v_fma_f32 v54, v60, v72, -v0
	ds_read2_b64 v[0:3], v53 offset0:192 offset1:208
	ds_read_b128 v[66:69], v49 offset:4208
	v_add_f32_e32 v54, v10, v54
	v_mul_f32_e32 v56, v60, v73
	v_fmac_f32_e32 v56, v61, v72
	s_waitcnt lgkmcnt(1)
	v_mul_f32_e32 v10, v5, v1
	v_fma_f32 v10, v4, v0, -v10
	v_add_f32_e32 v35, v35, v10
	v_mul_f32_e32 v10, v5, v3
	v_add_f32_e32 v56, v11, v56
	v_mul_f32_e32 v11, v4, v1
	v_fma_f32 v10, v4, v2, -v10
	v_mul_f32_e32 v4, v4, v3
	v_fmac_f32_e32 v11, v5, v0
	v_fmac_f32_e32 v4, v5, v2
	v_add_f32_e32 v5, v50, v10
	s_waitcnt lgkmcnt(0)
	v_mul_f32_e32 v10, v67, v1
	v_fma_f32 v10, v66, v0, -v10
	v_mul_f32_e32 v1, v66, v1
	v_fmac_f32_e32 v1, v67, v0
	v_add_f32_e32 v0, v8, v10
	v_mul_f32_e32 v8, v67, v3
	v_add_f32_e32 v48, v48, v11
	v_add_f32_e32 v1, v9, v1
	v_fma_f32 v50, v66, v2, -v8
	ds_read2_b64 v[8:11], v53 offset0:224 offset1:240
	v_mul_f32_e32 v3, v66, v3
	v_fmac_f32_e32 v3, v67, v2
	v_add_f32_e32 v4, v52, v4
	v_add_f32_e32 v52, v56, v3
	s_waitcnt lgkmcnt(0)
	v_mul_f32_e32 v2, v7, v9
	v_fma_f32 v2, v6, v8, -v2
	v_mul_f32_e32 v3, v6, v9
	v_fmac_f32_e32 v3, v7, v8
	v_add_f32_e32 v35, v35, v2
	v_mul_f32_e32 v2, v7, v11
	v_add_f32_e32 v48, v48, v3
	v_fma_f32 v2, v6, v10, -v2
	v_mul_f32_e32 v3, v6, v11
	v_add_f32_e32 v50, v54, v50
	v_fmac_f32_e32 v3, v7, v10
	v_add_f32_e32 v54, v5, v2
	v_mul_f32_e32 v2, v69, v9
	v_add_f32_e32 v56, v4, v3
	v_fma_f32 v2, v68, v8, -v2
	v_mul_f32_e32 v3, v68, v9
	v_fmac_f32_e32 v3, v69, v8
	v_add_f32_e32 v62, v0, v2
	v_mul_f32_e32 v0, v69, v11
	v_add_f32_e32 v63, v1, v3
	v_fma_f32 v8, v68, v10, -v0
	ds_read_b128 v[0:3], v49 offset:128
	ds_read2_b64 v[4:7], v55 offset1:16
	v_mul_f32_e32 v9, v68, v11
	v_fmac_f32_e32 v9, v69, v10
	v_add_f32_e32 v50, v50, v8
	v_add_f32_e32 v52, v52, v9
	s_waitcnt lgkmcnt(0)
	v_mul_f32_e32 v58, v1, v5
	v_fma_f32 v58, v0, v4, -v58
	v_mul_f32_e32 v59, v0, v5
	v_fmac_f32_e32 v59, v1, v4
	v_add_f32_e32 v35, v35, v58
	v_mul_f32_e32 v58, v1, v7
	ds_read_b128 v[8:11], v49 offset:144
	v_add_f32_e32 v48, v48, v59
	v_fma_f32 v66, v0, v6, -v58
	ds_read_b128 v[58:61], v49 offset:4224
	v_mul_f32_e32 v0, v0, v7
	ds_read2_b64 v[70:73], v55 offset0:32 offset1:48
	v_fmac_f32_e32 v0, v1, v6
	v_add_f32_e32 v1, v54, v66
	s_waitcnt lgkmcnt(1)
	v_mul_f32_e32 v54, v59, v5
	v_fma_f32 v54, v58, v4, -v54
	v_mul_f32_e32 v5, v58, v5
	v_fmac_f32_e32 v5, v59, v4
	v_add_f32_e32 v4, v62, v54
	v_mul_f32_e32 v54, v59, v7
	v_fma_f32 v54, v58, v6, -v54
	v_mul_f32_e32 v7, v58, v7
	v_fmac_f32_e32 v7, v59, v6
	v_add_f32_e32 v6, v50, v54
	s_waitcnt lgkmcnt(0)
	v_mul_f32_e32 v50, v3, v71
	v_fma_f32 v50, v2, v70, -v50
	v_add_f32_e32 v35, v35, v50
	v_mul_f32_e32 v50, v3, v73
	v_add_f32_e32 v7, v52, v7
	v_mul_f32_e32 v52, v2, v71
	v_fma_f32 v50, v2, v72, -v50
	v_mul_f32_e32 v2, v2, v73
	v_add_f32_e32 v0, v56, v0
	v_fmac_f32_e32 v52, v3, v70
	v_fmac_f32_e32 v2, v3, v72
	v_add_f32_e32 v48, v48, v52
	v_add_f32_e32 v52, v0, v2
	v_mul_f32_e32 v0, v61, v71
	v_add_f32_e32 v50, v1, v50
	v_fma_f32 v0, v60, v70, -v0
	v_mul_f32_e32 v1, v60, v71
	v_add_f32_e32 v5, v63, v5
	v_fmac_f32_e32 v1, v61, v70
	v_add_f32_e32 v4, v4, v0
	v_mul_f32_e32 v0, v61, v73
	v_add_f32_e32 v5, v5, v1
	v_fma_f32 v54, v60, v72, -v0
	ds_read2_b64 v[0:3], v55 offset0:64 offset1:80
	ds_read_b128 v[66:69], v49 offset:4240
	v_mul_f32_e32 v56, v60, v73
	v_add_f32_e32 v54, v6, v54
	v_fmac_f32_e32 v56, v61, v72
	s_waitcnt lgkmcnt(1)
	v_mul_f32_e32 v6, v9, v1
	v_fma_f32 v6, v8, v0, -v6
	v_add_f32_e32 v56, v7, v56
	v_mul_f32_e32 v7, v8, v1
	v_add_f32_e32 v35, v35, v6
	v_mul_f32_e32 v6, v9, v3
	v_fmac_f32_e32 v7, v9, v0
	v_fma_f32 v6, v8, v2, -v6
	v_add_f32_e32 v48, v48, v7
	v_mul_f32_e32 v7, v8, v3
	v_add_f32_e32 v8, v50, v6
	s_waitcnt lgkmcnt(0)
	v_mul_f32_e32 v6, v67, v1
	v_fma_f32 v6, v66, v0, -v6
	v_mul_f32_e32 v1, v66, v1
	v_fmac_f32_e32 v7, v9, v2
	v_fmac_f32_e32 v1, v67, v0
	v_add_f32_e32 v0, v4, v6
	v_mul_f32_e32 v4, v67, v3
	v_add_f32_e32 v9, v52, v7
	v_add_f32_e32 v1, v5, v1
	v_fma_f32 v50, v66, v2, -v4
	ds_read2_b64 v[4:7], v55 offset0:96 offset1:112
	v_mul_f32_e32 v3, v66, v3
	v_fmac_f32_e32 v3, v67, v2
	v_add_f32_e32 v52, v56, v3
	v_add_f32_e32 v50, v54, v50
	s_waitcnt lgkmcnt(0)
	v_mul_f32_e32 v2, v11, v5
	v_fma_f32 v2, v10, v4, -v2
	v_mul_f32_e32 v3, v10, v5
	v_fmac_f32_e32 v3, v11, v4
	v_add_f32_e32 v35, v35, v2
	v_mul_f32_e32 v2, v11, v7
	v_add_f32_e32 v48, v48, v3
	v_fma_f32 v2, v10, v6, -v2
	v_mul_f32_e32 v3, v10, v7
	v_fmac_f32_e32 v3, v11, v6
	v_add_f32_e32 v54, v8, v2
	v_mul_f32_e32 v2, v69, v5
	v_add_f32_e32 v56, v9, v3
	;; [unrolled: 6-line block ×3, first 2 shown]
	v_fma_f32 v4, v68, v6, -v0
	ds_read_b128 v[0:3], v49 offset:160
	ds_read2_b64 v[8:11], v55 offset0:128 offset1:144
	v_mul_f32_e32 v5, v68, v7
	v_fmac_f32_e32 v5, v69, v6
	v_add_f32_e32 v50, v50, v4
	v_add_f32_e32 v52, v52, v5
	s_waitcnt lgkmcnt(0)
	v_mul_f32_e32 v58, v1, v9
	v_fma_f32 v58, v0, v8, -v58
	v_mul_f32_e32 v59, v0, v9
	v_fmac_f32_e32 v59, v1, v8
	v_add_f32_e32 v35, v35, v58
	v_mul_f32_e32 v58, v1, v11
	ds_read_b128 v[4:7], v49 offset:176
	v_add_f32_e32 v48, v48, v59
	v_fma_f32 v66, v0, v10, -v58
	ds_read_b128 v[58:61], v49 offset:4256
	v_mul_f32_e32 v0, v0, v11
	ds_read2_b64 v[70:73], v55 offset0:160 offset1:176
	v_fmac_f32_e32 v0, v1, v10
	v_add_f32_e32 v1, v54, v66
	s_waitcnt lgkmcnt(1)
	v_mul_f32_e32 v54, v59, v9
	v_fma_f32 v54, v58, v8, -v54
	v_mul_f32_e32 v9, v58, v9
	v_fmac_f32_e32 v9, v59, v8
	v_add_f32_e32 v8, v62, v54
	v_mul_f32_e32 v54, v59, v11
	v_fma_f32 v54, v58, v10, -v54
	v_mul_f32_e32 v11, v58, v11
	v_fmac_f32_e32 v11, v59, v10
	v_add_f32_e32 v10, v50, v54
	s_waitcnt lgkmcnt(0)
	v_mul_f32_e32 v50, v3, v71
	v_fma_f32 v50, v2, v70, -v50
	v_add_f32_e32 v35, v35, v50
	v_mul_f32_e32 v50, v3, v73
	v_add_f32_e32 v11, v52, v11
	v_mul_f32_e32 v52, v2, v71
	v_fma_f32 v50, v2, v72, -v50
	v_mul_f32_e32 v2, v2, v73
	v_add_f32_e32 v0, v56, v0
	v_fmac_f32_e32 v52, v3, v70
	v_fmac_f32_e32 v2, v3, v72
	v_add_f32_e32 v48, v48, v52
	v_add_f32_e32 v52, v0, v2
	v_mul_f32_e32 v0, v61, v71
	v_add_f32_e32 v50, v1, v50
	v_fma_f32 v0, v60, v70, -v0
	v_mul_f32_e32 v1, v60, v71
	v_add_f32_e32 v9, v63, v9
	v_fmac_f32_e32 v1, v61, v70
	v_add_f32_e32 v8, v8, v0
	v_mul_f32_e32 v0, v61, v73
	v_add_f32_e32 v9, v9, v1
	v_fma_f32 v54, v60, v72, -v0
	ds_read2_b64 v[0:3], v55 offset0:192 offset1:208
	ds_read_b128 v[66:69], v49 offset:4272
	v_add_f32_e32 v54, v10, v54
	v_mul_f32_e32 v56, v60, v73
	v_fmac_f32_e32 v56, v61, v72
	s_waitcnt lgkmcnt(1)
	v_mul_f32_e32 v10, v5, v1
	v_fma_f32 v10, v4, v0, -v10
	v_add_f32_e32 v35, v35, v10
	v_mul_f32_e32 v10, v5, v3
	v_add_f32_e32 v56, v11, v56
	v_mul_f32_e32 v11, v4, v1
	v_fma_f32 v10, v4, v2, -v10
	v_mul_f32_e32 v4, v4, v3
	v_fmac_f32_e32 v11, v5, v0
	v_fmac_f32_e32 v4, v5, v2
	v_add_f32_e32 v5, v50, v10
	s_waitcnt lgkmcnt(0)
	v_mul_f32_e32 v10, v67, v1
	v_fma_f32 v10, v66, v0, -v10
	v_mul_f32_e32 v1, v66, v1
	v_fmac_f32_e32 v1, v67, v0
	v_add_f32_e32 v0, v8, v10
	v_mul_f32_e32 v8, v67, v3
	v_add_f32_e32 v48, v48, v11
	v_add_f32_e32 v1, v9, v1
	v_fma_f32 v50, v66, v2, -v8
	ds_read2_b64 v[8:11], v55 offset0:224 offset1:240
	v_mul_f32_e32 v3, v66, v3
	v_fmac_f32_e32 v3, v67, v2
	v_add_f32_e32 v4, v52, v4
	v_add_f32_e32 v52, v56, v3
	s_waitcnt lgkmcnt(0)
	v_mul_f32_e32 v2, v7, v9
	v_fma_f32 v2, v6, v8, -v2
	v_mul_f32_e32 v3, v6, v9
	v_fmac_f32_e32 v3, v7, v8
	v_add_f32_e32 v35, v35, v2
	v_mul_f32_e32 v2, v7, v11
	v_add_f32_e32 v48, v48, v3
	v_fma_f32 v2, v6, v10, -v2
	v_mul_f32_e32 v3, v6, v11
	v_add_f32_e32 v50, v54, v50
	v_fmac_f32_e32 v3, v7, v10
	v_add_f32_e32 v54, v5, v2
	v_mul_f32_e32 v2, v69, v9
	v_add_f32_e32 v56, v4, v3
	v_fma_f32 v2, v68, v8, -v2
	v_mul_f32_e32 v3, v68, v9
	v_fmac_f32_e32 v3, v69, v8
	v_add_f32_e32 v62, v0, v2
	v_mul_f32_e32 v0, v69, v11
	v_add_f32_e32 v63, v1, v3
	v_fma_f32 v8, v68, v10, -v0
	ds_read_b128 v[0:3], v49 offset:192
	ds_read2_b64 v[4:7], v57 offset1:16
	v_mul_f32_e32 v9, v68, v11
	v_fmac_f32_e32 v9, v69, v10
	v_add_f32_e32 v50, v50, v8
	v_add_f32_e32 v52, v52, v9
	s_waitcnt lgkmcnt(0)
	v_mul_f32_e32 v58, v1, v5
	v_fma_f32 v58, v0, v4, -v58
	v_mul_f32_e32 v59, v0, v5
	v_fmac_f32_e32 v59, v1, v4
	v_add_f32_e32 v35, v35, v58
	v_mul_f32_e32 v58, v1, v7
	ds_read_b128 v[8:11], v49 offset:208
	v_add_f32_e32 v48, v48, v59
	v_fma_f32 v66, v0, v6, -v58
	ds_read_b128 v[58:61], v49 offset:4288
	v_mul_f32_e32 v0, v0, v7
	ds_read2_b64 v[70:73], v57 offset0:32 offset1:48
	v_fmac_f32_e32 v0, v1, v6
	v_add_f32_e32 v1, v54, v66
	s_waitcnt lgkmcnt(1)
	v_mul_f32_e32 v54, v59, v5
	v_fma_f32 v54, v58, v4, -v54
	v_mul_f32_e32 v5, v58, v5
	v_fmac_f32_e32 v5, v59, v4
	v_add_f32_e32 v4, v62, v54
	v_mul_f32_e32 v54, v59, v7
	v_fma_f32 v54, v58, v6, -v54
	v_mul_f32_e32 v7, v58, v7
	v_fmac_f32_e32 v7, v59, v6
	v_add_f32_e32 v6, v50, v54
	s_waitcnt lgkmcnt(0)
	v_mul_f32_e32 v50, v3, v71
	v_fma_f32 v50, v2, v70, -v50
	v_add_f32_e32 v35, v35, v50
	v_mul_f32_e32 v50, v3, v73
	v_add_f32_e32 v7, v52, v7
	v_mul_f32_e32 v52, v2, v71
	v_fma_f32 v50, v2, v72, -v50
	v_mul_f32_e32 v2, v2, v73
	v_add_f32_e32 v0, v56, v0
	v_fmac_f32_e32 v52, v3, v70
	v_fmac_f32_e32 v2, v3, v72
	v_add_f32_e32 v48, v48, v52
	v_add_f32_e32 v52, v0, v2
	v_mul_f32_e32 v0, v61, v71
	v_add_f32_e32 v50, v1, v50
	v_fma_f32 v0, v60, v70, -v0
	v_mul_f32_e32 v1, v60, v71
	v_add_f32_e32 v5, v63, v5
	v_fmac_f32_e32 v1, v61, v70
	v_add_f32_e32 v4, v4, v0
	v_mul_f32_e32 v0, v61, v73
	v_add_f32_e32 v5, v5, v1
	v_fma_f32 v54, v60, v72, -v0
	ds_read2_b64 v[0:3], v57 offset0:64 offset1:80
	ds_read_b128 v[66:69], v49 offset:4304
	v_mul_f32_e32 v56, v60, v73
	v_add_f32_e32 v54, v6, v54
	v_fmac_f32_e32 v56, v61, v72
	s_waitcnt lgkmcnt(1)
	v_mul_f32_e32 v6, v9, v1
	v_fma_f32 v6, v8, v0, -v6
	v_add_f32_e32 v56, v7, v56
	v_mul_f32_e32 v7, v8, v1
	v_add_f32_e32 v35, v35, v6
	v_mul_f32_e32 v6, v9, v3
	v_fmac_f32_e32 v7, v9, v0
	v_fma_f32 v6, v8, v2, -v6
	v_add_f32_e32 v48, v48, v7
	v_mul_f32_e32 v7, v8, v3
	v_add_f32_e32 v8, v50, v6
	s_waitcnt lgkmcnt(0)
	v_mul_f32_e32 v6, v67, v1
	v_fma_f32 v6, v66, v0, -v6
	v_mul_f32_e32 v1, v66, v1
	v_fmac_f32_e32 v7, v9, v2
	v_fmac_f32_e32 v1, v67, v0
	v_add_f32_e32 v0, v4, v6
	v_mul_f32_e32 v4, v67, v3
	v_add_f32_e32 v9, v52, v7
	v_add_f32_e32 v1, v5, v1
	v_fma_f32 v50, v66, v2, -v4
	ds_read2_b64 v[4:7], v57 offset0:96 offset1:112
	v_mul_f32_e32 v3, v66, v3
	v_fmac_f32_e32 v3, v67, v2
	v_add_f32_e32 v52, v56, v3
	v_add_f32_e32 v50, v54, v50
	s_waitcnt lgkmcnt(0)
	v_mul_f32_e32 v2, v11, v5
	v_fma_f32 v2, v10, v4, -v2
	v_mul_f32_e32 v3, v10, v5
	v_fmac_f32_e32 v3, v11, v4
	v_add_f32_e32 v35, v35, v2
	v_mul_f32_e32 v2, v11, v7
	v_add_f32_e32 v48, v48, v3
	v_fma_f32 v2, v10, v6, -v2
	v_mul_f32_e32 v3, v10, v7
	v_fmac_f32_e32 v3, v11, v6
	v_add_f32_e32 v54, v8, v2
	v_mul_f32_e32 v2, v69, v5
	v_add_f32_e32 v56, v9, v3
	v_fma_f32 v2, v68, v4, -v2
	v_mul_f32_e32 v3, v68, v5
	v_fmac_f32_e32 v3, v69, v4
	v_add_f32_e32 v62, v0, v2
	v_mul_f32_e32 v0, v69, v7
	v_add_f32_e32 v63, v1, v3
	v_fma_f32 v4, v68, v6, -v0
	ds_read_b128 v[0:3], v49 offset:224
	ds_read2_b64 v[8:11], v57 offset0:128 offset1:144
	v_mul_f32_e32 v5, v68, v7
	v_fmac_f32_e32 v5, v69, v6
	v_add_f32_e32 v50, v50, v4
	v_add_f32_e32 v52, v52, v5
	s_waitcnt lgkmcnt(0)
	v_mul_f32_e32 v58, v1, v9
	v_fma_f32 v58, v0, v8, -v58
	v_mul_f32_e32 v59, v0, v9
	v_fmac_f32_e32 v59, v1, v8
	v_add_f32_e32 v35, v35, v58
	v_mul_f32_e32 v58, v1, v11
	ds_read_b128 v[4:7], v49 offset:240
	v_add_f32_e32 v48, v48, v59
	v_fma_f32 v66, v0, v10, -v58
	ds_read_b128 v[58:61], v49 offset:4320
	v_mul_f32_e32 v0, v0, v11
	ds_read2_b64 v[70:73], v57 offset0:160 offset1:176
	v_fmac_f32_e32 v0, v1, v10
	v_add_f32_e32 v1, v54, v66
	s_waitcnt lgkmcnt(1)
	v_mul_f32_e32 v54, v59, v9
	v_fma_f32 v54, v58, v8, -v54
	v_mul_f32_e32 v9, v58, v9
	v_fmac_f32_e32 v9, v59, v8
	v_add_f32_e32 v8, v62, v54
	v_mul_f32_e32 v54, v59, v11
	v_fma_f32 v54, v58, v10, -v54
	v_mul_f32_e32 v11, v58, v11
	v_fmac_f32_e32 v11, v59, v10
	v_add_f32_e32 v10, v50, v54
	s_waitcnt lgkmcnt(0)
	v_mul_f32_e32 v50, v3, v71
	v_fma_f32 v50, v2, v70, -v50
	v_add_f32_e32 v35, v35, v50
	v_mul_f32_e32 v50, v3, v73
	v_add_f32_e32 v11, v52, v11
	v_mul_f32_e32 v52, v2, v71
	v_fma_f32 v50, v2, v72, -v50
	v_mul_f32_e32 v2, v2, v73
	v_add_f32_e32 v0, v56, v0
	v_fmac_f32_e32 v52, v3, v70
	v_fmac_f32_e32 v2, v3, v72
	v_add_f32_e32 v48, v48, v52
	v_add_f32_e32 v52, v0, v2
	v_mul_f32_e32 v0, v61, v71
	v_add_f32_e32 v50, v1, v50
	v_fma_f32 v0, v60, v70, -v0
	v_mul_f32_e32 v1, v60, v71
	v_add_f32_e32 v9, v63, v9
	v_fmac_f32_e32 v1, v61, v70
	v_add_f32_e32 v8, v8, v0
	v_mul_f32_e32 v0, v61, v73
	v_add_f32_e32 v9, v9, v1
	v_fma_f32 v54, v60, v72, -v0
	ds_read2_b64 v[0:3], v57 offset0:192 offset1:208
	ds_read_b128 v[66:69], v49 offset:4336
	v_add_f32_e32 v54, v10, v54
	v_mul_f32_e32 v56, v60, v73
	v_fmac_f32_e32 v56, v61, v72
	s_waitcnt lgkmcnt(1)
	v_mul_f32_e32 v10, v5, v1
	v_fma_f32 v10, v4, v0, -v10
	v_add_f32_e32 v35, v35, v10
	v_mul_f32_e32 v10, v5, v3
	v_add_f32_e32 v56, v11, v56
	v_mul_f32_e32 v11, v4, v1
	v_fma_f32 v10, v4, v2, -v10
	v_mul_f32_e32 v4, v4, v3
	v_fmac_f32_e32 v11, v5, v0
	v_fmac_f32_e32 v4, v5, v2
	v_add_f32_e32 v5, v50, v10
	s_waitcnt lgkmcnt(0)
	v_mul_f32_e32 v10, v67, v1
	v_fma_f32 v10, v66, v0, -v10
	v_mul_f32_e32 v1, v66, v1
	v_fmac_f32_e32 v1, v67, v0
	v_add_f32_e32 v0, v8, v10
	v_mul_f32_e32 v8, v67, v3
	v_add_f32_e32 v48, v48, v11
	v_add_f32_e32 v1, v9, v1
	v_fma_f32 v50, v66, v2, -v8
	ds_read2_b64 v[8:11], v57 offset0:224 offset1:240
	v_mul_f32_e32 v3, v66, v3
	v_fmac_f32_e32 v3, v67, v2
	v_add_f32_e32 v2, v54, v50
	v_add_f32_e32 v4, v52, v4
	s_waitcnt lgkmcnt(0)
	v_mul_f32_e32 v50, v7, v9
	v_fma_f32 v50, v6, v8, -v50
	v_add_f32_e32 v60, v35, v50
	v_mul_f32_e32 v35, v7, v11
	v_mul_f32_e32 v52, v6, v9
	v_fma_f32 v35, v6, v10, -v35
	v_mul_f32_e32 v6, v6, v11
	v_fmac_f32_e32 v6, v7, v10
	v_add_f32_e32 v3, v56, v3
	v_add_f32_e32 v56, v5, v35
	v_add_f32_e32 v58, v4, v6
	v_mul_f32_e32 v4, v69, v9
	v_mul_f32_e32 v5, v68, v9
	s_add_u32 s40, s40, 32
	v_fmac_f32_e32 v52, v7, v8
	v_fma_f32 v4, v68, v8, -v4
	v_fmac_f32_e32 v5, v69, v8
	s_addc_u32 s41, s41, 0
	s_sub_i32 s4, s40, 32
	v_add_f32_e32 v62, v48, v52
	v_add_f32_e32 v52, v0, v4
	;; [unrolled: 1-line block ×3, first 2 shown]
	v_mul_f32_e32 v0, v69, v11
	v_mul_f32_e32 v1, v68, v11
	s_add_u32 s36, s36, 0x100
	v_fma_f32 v0, v68, v10, -v0
	v_fmac_f32_e32 v1, v69, v10
	s_addc_u32 s37, s37, 0
	v_add_f32_e32 v50, v2, v0
	v_add_f32_e32 v48, v3, v1
	s_cmp_ge_i32 s4, s52
	s_barrier
	s_cbranch_scc1 .LBB79_51
.LBB79_7:                               ;   Parent Loop BB79_4 Depth=1
                                        ; =>  This Inner Loop Header: Depth=2
	v_lshl_add_u64 v[4:5], v[12:13], 0, s[40:41]
	v_cmp_le_i64_e64 s[14:15], s[34:35], v[4:5]
	v_cmp_eq_u64_e64 s[4:5], s[40:41], v[26:27]
	v_cmp_gt_i64_e64 s[12:13], v[4:5], v[16:17]
	s_and_b64 s[46:47], s[30:31], s[4:5]
	s_or_b64 s[4:5], s[14:15], s[12:13]
	s_or_b64 s[4:5], s[4:5], s[46:47]
	v_lshl_add_u64 v[0:1], v[18:19], 0, s[36:37]
	s_nor_b64 s[4:5], s[0:1], s[4:5]
	s_and_saveexec_b64 s[44:45], s[4:5]
	s_xor_b64 s[4:5], exec, s[44:45]
	s_cbranch_execz .LBB79_9
; %bb.8:                                ;   in Loop: Header=BB79_7 Depth=2
	global_load_dwordx2 v[2:3], v[0:1], off
	s_waitcnt vmcnt(0)
	ds_write_b64 v43, v[2:3]
.LBB79_9:                               ;   in Loop: Header=BB79_7 Depth=2
	s_or_saveexec_b64 s[4:5], s[4:5]
	s_xor_b64 s[44:45], s[46:47], -1
	s_xor_b64 exec, exec, s[4:5]
	s_cbranch_execz .LBB79_15
; %bb.10:                               ;   in Loop: Header=BB79_7 Depth=2
	s_and_saveexec_b64 s[50:51], s[44:45]
	s_xor_b64 s[50:51], exec, s[50:51]
; %bb.11:                               ;   in Loop: Header=BB79_7 Depth=2
	ds_write_b64 v43, v[64:65]
; %bb.12:                               ;   in Loop: Header=BB79_7 Depth=2
	s_andn2_saveexec_b64 s[50:51], s[50:51]
; %bb.13:                               ;   in Loop: Header=BB79_7 Depth=2
	ds_write_b64 v43, v[40:41]
; %bb.14:                               ;   in Loop: Header=BB79_7 Depth=2
	s_or_b64 exec, exec, s[50:51]
.LBB79_15:                              ;   in Loop: Header=BB79_7 Depth=2
	s_or_b64 exec, exec, s[4:5]
	v_cmp_eq_u64_e64 s[4:5], s[40:41], v[28:29]
	s_and_b64 s[50:51], s[30:31], s[4:5]
	v_cmp_lt_i64_e64 s[4:5], v[22:23], v[4:5]
	s_or_b64 s[4:5], s[14:15], s[4:5]
	s_or_b64 s[4:5], s[4:5], s[50:51]
	s_nor_b64 s[4:5], s[16:17], s[4:5]
	v_lshl_add_u64 v[2:3], v[38:39], 0, s[36:37]
	s_and_saveexec_b64 s[14:15], s[4:5]
	s_xor_b64 s[4:5], exec, s[14:15]
	s_cbranch_execz .LBB79_17
; %bb.16:                               ;   in Loop: Header=BB79_7 Depth=2
	global_load_dwordx2 v[6:7], v[2:3], off
	s_waitcnt vmcnt(0)
	ds_write_b64 v43, v[6:7] offset:128
.LBB79_17:                              ;   in Loop: Header=BB79_7 Depth=2
	s_andn2_saveexec_b64 s[4:5], s[4:5]
	s_cbranch_execz .LBB79_23
; %bb.18:                               ;   in Loop: Header=BB79_7 Depth=2
	s_xor_b64 s[14:15], s[50:51], -1
	s_and_saveexec_b64 s[50:51], s[14:15]
	s_xor_b64 s[14:15], exec, s[50:51]
; %bb.19:                               ;   in Loop: Header=BB79_7 Depth=2
	ds_write_b64 v43, v[64:65] offset:128
; %bb.20:                               ;   in Loop: Header=BB79_7 Depth=2
	s_andn2_saveexec_b64 s[14:15], s[14:15]
; %bb.21:                               ;   in Loop: Header=BB79_7 Depth=2
	ds_write_b64 v43, v[40:41] offset:128
; %bb.22:                               ;   in Loop: Header=BB79_7 Depth=2
	s_or_b64 exec, exec, s[14:15]
.LBB79_23:                              ;   in Loop: Header=BB79_7 Depth=2
	s_or_b64 exec, exec, s[4:5]
	v_lshl_add_u64 v[4:5], v[4:5], 0, 16
	v_cmp_eq_u64_e64 s[4:5], s[40:41], v[30:31]
	v_cmp_le_i64_e64 s[14:15], s[34:35], v[4:5]
	s_and_b64 s[50:51], s[30:31], s[4:5]
	v_cmp_gt_i64_e64 s[4:5], v[4:5], v[16:17]
	s_or_b64 s[4:5], s[14:15], s[4:5]
	s_or_b64 s[4:5], s[4:5], s[50:51]
	s_nor_b64 s[4:5], s[0:1], s[4:5]
	s_and_saveexec_b64 s[56:57], s[4:5]
	s_xor_b64 s[4:5], exec, s[56:57]
	s_cbranch_execz .LBB79_25
; %bb.24:                               ;   in Loop: Header=BB79_7 Depth=2
	global_load_dwordx2 v[0:1], v[0:1], off offset:128
	s_waitcnt vmcnt(0)
	ds_write_b64 v43, v[0:1] offset:4096
.LBB79_25:                              ;   in Loop: Header=BB79_7 Depth=2
	s_andn2_saveexec_b64 s[4:5], s[4:5]
	s_cbranch_execz .LBB79_31
; %bb.26:                               ;   in Loop: Header=BB79_7 Depth=2
	s_xor_b64 s[50:51], s[50:51], -1
	s_and_saveexec_b64 s[56:57], s[50:51]
	s_xor_b64 s[50:51], exec, s[56:57]
; %bb.27:                               ;   in Loop: Header=BB79_7 Depth=2
	ds_write_b64 v43, v[64:65] offset:4096
; %bb.28:                               ;   in Loop: Header=BB79_7 Depth=2
	s_andn2_saveexec_b64 s[50:51], s[50:51]
; %bb.29:                               ;   in Loop: Header=BB79_7 Depth=2
	ds_write_b64 v43, v[40:41] offset:4096
; %bb.30:                               ;   in Loop: Header=BB79_7 Depth=2
	s_or_b64 exec, exec, s[50:51]
.LBB79_31:                              ;   in Loop: Header=BB79_7 Depth=2
	s_or_b64 exec, exec, s[4:5]
	s_or_b64 s[4:5], s[14:15], s[12:13]
	s_or_b64 s[4:5], s[4:5], s[46:47]
	s_nor_b64 s[4:5], s[16:17], s[4:5]
	s_and_saveexec_b64 s[12:13], s[4:5]
	s_xor_b64 s[4:5], exec, s[12:13]
	s_cbranch_execz .LBB79_33
; %bb.32:                               ;   in Loop: Header=BB79_7 Depth=2
	global_load_dwordx2 v[0:1], v[2:3], off offset:128
	s_waitcnt vmcnt(0)
	ds_write_b64 v43, v[0:1] offset:4224
.LBB79_33:                              ;   in Loop: Header=BB79_7 Depth=2
	s_andn2_saveexec_b64 s[4:5], s[4:5]
	s_cbranch_execz .LBB79_39
; %bb.34:                               ;   in Loop: Header=BB79_7 Depth=2
	s_and_saveexec_b64 s[12:13], s[44:45]
	s_xor_b64 s[12:13], exec, s[12:13]
; %bb.35:                               ;   in Loop: Header=BB79_7 Depth=2
	ds_write_b64 v43, v[64:65] offset:4224
; %bb.36:                               ;   in Loop: Header=BB79_7 Depth=2
	s_andn2_saveexec_b64 s[12:13], s[12:13]
; %bb.37:                               ;   in Loop: Header=BB79_7 Depth=2
	ds_write_b64 v43, v[40:41] offset:4224
; %bb.38:                               ;   in Loop: Header=BB79_7 Depth=2
	s_or_b64 exec, exec, s[12:13]
.LBB79_39:                              ;   in Loop: Header=BB79_7 Depth=2
	s_or_b64 exec, exec, s[4:5]
	v_lshl_add_u64 v[2:3], v[14:15], 0, s[40:41]
	v_cmp_gt_i64_e64 s[12:13], s[34:35], v[2:3]
	v_lshl_add_u64 v[0:1], v[44:45], 0, s[36:37]
	s_and_b64 s[14:15], vcc, s[12:13]
	v_mov_b32_e32 v4, 0
	v_mov_b32_e32 v5, 0
	s_and_saveexec_b64 s[4:5], s[14:15]
	s_cbranch_execz .LBB79_41
; %bb.40:                               ;   in Loop: Header=BB79_7 Depth=2
	global_load_dwordx2 v[4:5], v[0:1], off
.LBB79_41:                              ;   in Loop: Header=BB79_7 Depth=2
	s_or_b64 exec, exec, s[4:5]
	v_cmp_gt_i64_e64 s[14:15], s[38:39], v[2:3]
	s_and_b64 s[4:5], vcc, s[14:15]
	s_xor_b64 s[4:5], s[4:5], -1
	s_waitcnt vmcnt(0)
	ds_write_b64 v51, v[4:5]
	s_and_saveexec_b64 s[44:45], s[4:5]
	s_xor_b64 s[4:5], exec, s[44:45]
; %bb.42:                               ;   in Loop: Header=BB79_7 Depth=2
	ds_write_b64 v51, v[64:65] offset:128
                                        ; implicit-def: $vgpr0_vgpr1
; %bb.43:                               ;   in Loop: Header=BB79_7 Depth=2
	s_andn2_saveexec_b64 s[4:5], s[4:5]
	s_cbranch_execz .LBB79_45
; %bb.44:                               ;   in Loop: Header=BB79_7 Depth=2
	global_load_dwordx2 v[0:1], v[0:1], off offset:128
	s_waitcnt vmcnt(0)
	ds_write_b64 v51, v[0:1] offset:128
.LBB79_45:                              ;   in Loop: Header=BB79_7 Depth=2
	s_or_b64 exec, exec, s[4:5]
	v_lshl_add_u64 v[0:1], v[46:47], 0, s[36:37]
	s_and_b64 s[12:13], s[10:11], s[12:13]
	v_mov_b32_e32 v2, 0
	v_mov_b32_e32 v3, 0
	s_and_saveexec_b64 s[4:5], s[12:13]
	s_cbranch_execz .LBB79_47
; %bb.46:                               ;   in Loop: Header=BB79_7 Depth=2
	global_load_dwordx2 v[2:3], v[0:1], off
.LBB79_47:                              ;   in Loop: Header=BB79_7 Depth=2
	s_or_b64 exec, exec, s[4:5]
	s_and_b64 s[4:5], s[10:11], s[14:15]
	s_xor_b64 s[4:5], s[4:5], -1
	s_waitcnt vmcnt(0)
	ds_write_b64 v51, v[2:3] offset:4096
	s_and_saveexec_b64 s[12:13], s[4:5]
	s_xor_b64 s[4:5], exec, s[12:13]
; %bb.48:                               ;   in Loop: Header=BB79_7 Depth=2
	ds_write_b64 v51, v[64:65] offset:4224
                                        ; implicit-def: $vgpr0_vgpr1
; %bb.49:                               ;   in Loop: Header=BB79_7 Depth=2
	s_andn2_saveexec_b64 s[4:5], s[4:5]
	s_cbranch_execz .LBB79_6
; %bb.50:                               ;   in Loop: Header=BB79_7 Depth=2
	global_load_dwordx2 v[0:1], v[0:1], off offset:128
	s_waitcnt vmcnt(0)
	ds_write_b64 v51, v[0:1] offset:4224
	s_branch .LBB79_6
.LBB79_51:                              ;   in Loop: Header=BB79_4 Depth=1
	v_mul_lo_u32 v2, s21, v42
	v_mul_lo_u32 v3, s20, v21
	v_mad_u64_u32 v[0:1], s[4:5], s20, v42, 0
	v_cmp_gt_i32_e32 vcc, s26, v42
	v_add3_u32 v1, v1, v3, v2
	v_lshl_add_u64 v[0:1], v[0:1], 3, s[22:23]
	s_and_b64 s[10:11], s[18:19], vcc
	s_and_saveexec_b64 s[4:5], s[10:11]
	s_cbranch_execz .LBB79_53
; %bb.52:                               ;   in Loop: Header=BB79_4 Depth=1
	v_lshl_add_u64 v[2:3], v[16:17], 3, v[0:1]
	global_load_dwordx2 v[4:5], v[2:3], off
	v_pk_mul_f32 v[6:7], v[62:63], s[24:25] op_sel_hi:[0,1]
	v_pk_fma_f32 v[8:9], v[60:61], s[28:29], v[6:7] neg_lo:[0,0,1] neg_hi:[0,0,1]
	v_pk_fma_f32 v[6:7], v[60:61], s[28:29], v[6:7] op_sel_hi:[0,1,1]
	v_mov_b32_e32 v9, v7
	s_waitcnt vmcnt(0)
	v_pk_add_f32 v[4:5], v[4:5], v[8:9]
	global_store_dwordx2 v[2:3], v[4:5], off
.LBB79_53:                              ;   in Loop: Header=BB79_4 Depth=1
	s_or_b64 exec, exec, s[4:5]
	s_and_b64 s[10:11], s[6:7], vcc
	s_and_saveexec_b64 s[4:5], s[10:11]
	s_cbranch_execz .LBB79_55
; %bb.54:                               ;   in Loop: Header=BB79_4 Depth=1
	v_lshl_add_u64 v[0:1], v[24:25], 3, v[0:1]
	global_load_dwordx2 v[2:3], v[0:1], off
	v_pk_mul_f32 v[4:5], v[58:59], s[24:25] op_sel_hi:[0,1]
	v_pk_fma_f32 v[6:7], v[56:57], s[28:29], v[4:5] neg_lo:[0,0,1] neg_hi:[0,0,1]
	v_pk_fma_f32 v[4:5], v[56:57], s[28:29], v[4:5] op_sel_hi:[0,1,1]
	v_mov_b32_e32 v7, v5
	s_waitcnt vmcnt(0)
	v_pk_add_f32 v[2:3], v[2:3], v[6:7]
	global_store_dwordx2 v[0:1], v[2:3], off
.LBB79_55:                              ;   in Loop: Header=BB79_4 Depth=1
	s_or_b64 exec, exec, s[4:5]
	v_add_u32_e32 v0, 16, v42
	v_ashrrev_i32_e32 v1, 31, v0
	v_cmp_gt_i32_e32 vcc, s26, v0
	v_mul_lo_u32 v2, s20, v1
	v_mul_lo_u32 v3, s21, v0
	v_mad_u64_u32 v[0:1], s[4:5], s20, v0, 0
	v_add3_u32 v1, v1, v2, v3
	v_lshl_add_u64 v[0:1], v[0:1], 3, s[22:23]
	s_and_b64 s[10:11], s[18:19], vcc
	s_and_saveexec_b64 s[4:5], s[10:11]
	s_cbranch_execz .LBB79_57
; %bb.56:                               ;   in Loop: Header=BB79_4 Depth=1
	v_lshl_add_u64 v[2:3], v[16:17], 3, v[0:1]
	global_load_dwordx2 v[4:5], v[2:3], off
	v_pk_mul_f32 v[6:7], v[54:55], s[24:25] op_sel_hi:[0,1]
	v_pk_fma_f32 v[8:9], v[52:53], s[28:29], v[6:7] neg_lo:[0,0,1] neg_hi:[0,0,1]
	v_pk_fma_f32 v[6:7], v[52:53], s[28:29], v[6:7] op_sel_hi:[0,1,1]
	v_mov_b32_e32 v9, v7
	s_waitcnt vmcnt(0)
	v_pk_add_f32 v[4:5], v[4:5], v[8:9]
	global_store_dwordx2 v[2:3], v[4:5], off
.LBB79_57:                              ;   in Loop: Header=BB79_4 Depth=1
	s_or_b64 exec, exec, s[4:5]
	s_and_b64 s[10:11], s[6:7], vcc
	s_and_saveexec_b64 s[4:5], s[10:11]
	s_cbranch_execz .LBB79_3
; %bb.58:                               ;   in Loop: Header=BB79_4 Depth=1
	v_lshl_add_u64 v[0:1], v[24:25], 3, v[0:1]
	global_load_dwordx2 v[2:3], v[0:1], off
	v_pk_mul_f32 v[4:5], v[48:49], s[24:25] op_sel_hi:[0,1]
	v_pk_fma_f32 v[6:7], v[50:51], s[28:29], v[4:5] neg_lo:[0,0,1] neg_hi:[0,0,1]
	v_pk_fma_f32 v[4:5], v[50:51], s[28:29], v[4:5] op_sel_hi:[0,1,1]
	v_mov_b32_e32 v7, v5
	s_waitcnt vmcnt(0)
	v_pk_add_f32 v[2:3], v[2:3], v[6:7]
	global_store_dwordx2 v[0:1], v[2:3], off
	s_branch .LBB79_3
.LBB79_59:
	s_endpgm
	.section	.rodata,"a",@progbits
	.p2align	6, 0x0
	.amdhsa_kernel _ZL30rocblas_trmm_outofplace_kernelI19rocblas_complex_numIfELi32ELi2ELb1ELb1ELb1ELb0ES1_KS1_S1_Ev17rocblas_diagonal_iiT6_lPT7_lllS6_lllPT8_llli
		.amdhsa_group_segment_fixed_size 16384
		.amdhsa_private_segment_fixed_size 0
		.amdhsa_kernarg_size 392
		.amdhsa_user_sgpr_count 2
		.amdhsa_user_sgpr_dispatch_ptr 0
		.amdhsa_user_sgpr_queue_ptr 0
		.amdhsa_user_sgpr_kernarg_segment_ptr 1
		.amdhsa_user_sgpr_dispatch_id 0
		.amdhsa_user_sgpr_kernarg_preload_length 0
		.amdhsa_user_sgpr_kernarg_preload_offset 0
		.amdhsa_user_sgpr_private_segment_size 0
		.amdhsa_uses_dynamic_stack 0
		.amdhsa_enable_private_segment 0
		.amdhsa_system_sgpr_workgroup_id_x 1
		.amdhsa_system_sgpr_workgroup_id_y 1
		.amdhsa_system_sgpr_workgroup_id_z 1
		.amdhsa_system_sgpr_workgroup_info 0
		.amdhsa_system_vgpr_workitem_id 1
		.amdhsa_next_free_vgpr 82
		.amdhsa_next_free_sgpr 58
		.amdhsa_accum_offset 84
		.amdhsa_reserve_vcc 1
		.amdhsa_float_round_mode_32 0
		.amdhsa_float_round_mode_16_64 0
		.amdhsa_float_denorm_mode_32 3
		.amdhsa_float_denorm_mode_16_64 3
		.amdhsa_dx10_clamp 1
		.amdhsa_ieee_mode 1
		.amdhsa_fp16_overflow 0
		.amdhsa_tg_split 0
		.amdhsa_exception_fp_ieee_invalid_op 0
		.amdhsa_exception_fp_denorm_src 0
		.amdhsa_exception_fp_ieee_div_zero 0
		.amdhsa_exception_fp_ieee_overflow 0
		.amdhsa_exception_fp_ieee_underflow 0
		.amdhsa_exception_fp_ieee_inexact 0
		.amdhsa_exception_int_div_zero 0
	.end_amdhsa_kernel
	.section	.text._ZL30rocblas_trmm_outofplace_kernelI19rocblas_complex_numIfELi32ELi2ELb1ELb1ELb1ELb0ES1_KS1_S1_Ev17rocblas_diagonal_iiT6_lPT7_lllS6_lllPT8_llli,"axG",@progbits,_ZL30rocblas_trmm_outofplace_kernelI19rocblas_complex_numIfELi32ELi2ELb1ELb1ELb1ELb0ES1_KS1_S1_Ev17rocblas_diagonal_iiT6_lPT7_lllS6_lllPT8_llli,comdat
.Lfunc_end79:
	.size	_ZL30rocblas_trmm_outofplace_kernelI19rocblas_complex_numIfELi32ELi2ELb1ELb1ELb1ELb0ES1_KS1_S1_Ev17rocblas_diagonal_iiT6_lPT7_lllS6_lllPT8_llli, .Lfunc_end79-_ZL30rocblas_trmm_outofplace_kernelI19rocblas_complex_numIfELi32ELi2ELb1ELb1ELb1ELb0ES1_KS1_S1_Ev17rocblas_diagonal_iiT6_lPT7_lllS6_lllPT8_llli
                                        ; -- End function
	.set _ZL30rocblas_trmm_outofplace_kernelI19rocblas_complex_numIfELi32ELi2ELb1ELb1ELb1ELb0ES1_KS1_S1_Ev17rocblas_diagonal_iiT6_lPT7_lllS6_lllPT8_llli.num_vgpr, 82
	.set _ZL30rocblas_trmm_outofplace_kernelI19rocblas_complex_numIfELi32ELi2ELb1ELb1ELb1ELb0ES1_KS1_S1_Ev17rocblas_diagonal_iiT6_lPT7_lllS6_lllPT8_llli.num_agpr, 0
	.set _ZL30rocblas_trmm_outofplace_kernelI19rocblas_complex_numIfELi32ELi2ELb1ELb1ELb1ELb0ES1_KS1_S1_Ev17rocblas_diagonal_iiT6_lPT7_lllS6_lllPT8_llli.numbered_sgpr, 58
	.set _ZL30rocblas_trmm_outofplace_kernelI19rocblas_complex_numIfELi32ELi2ELb1ELb1ELb1ELb0ES1_KS1_S1_Ev17rocblas_diagonal_iiT6_lPT7_lllS6_lllPT8_llli.num_named_barrier, 0
	.set _ZL30rocblas_trmm_outofplace_kernelI19rocblas_complex_numIfELi32ELi2ELb1ELb1ELb1ELb0ES1_KS1_S1_Ev17rocblas_diagonal_iiT6_lPT7_lllS6_lllPT8_llli.private_seg_size, 0
	.set _ZL30rocblas_trmm_outofplace_kernelI19rocblas_complex_numIfELi32ELi2ELb1ELb1ELb1ELb0ES1_KS1_S1_Ev17rocblas_diagonal_iiT6_lPT7_lllS6_lllPT8_llli.uses_vcc, 1
	.set _ZL30rocblas_trmm_outofplace_kernelI19rocblas_complex_numIfELi32ELi2ELb1ELb1ELb1ELb0ES1_KS1_S1_Ev17rocblas_diagonal_iiT6_lPT7_lllS6_lllPT8_llli.uses_flat_scratch, 0
	.set _ZL30rocblas_trmm_outofplace_kernelI19rocblas_complex_numIfELi32ELi2ELb1ELb1ELb1ELb0ES1_KS1_S1_Ev17rocblas_diagonal_iiT6_lPT7_lllS6_lllPT8_llli.has_dyn_sized_stack, 0
	.set _ZL30rocblas_trmm_outofplace_kernelI19rocblas_complex_numIfELi32ELi2ELb1ELb1ELb1ELb0ES1_KS1_S1_Ev17rocblas_diagonal_iiT6_lPT7_lllS6_lllPT8_llli.has_recursion, 0
	.set _ZL30rocblas_trmm_outofplace_kernelI19rocblas_complex_numIfELi32ELi2ELb1ELb1ELb1ELb0ES1_KS1_S1_Ev17rocblas_diagonal_iiT6_lPT7_lllS6_lllPT8_llli.has_indirect_call, 0
	.section	.AMDGPU.csdata,"",@progbits
; Kernel info:
; codeLenInByte = 6296
; TotalNumSgprs: 64
; NumVgprs: 82
; NumAgprs: 0
; TotalNumVgprs: 82
; ScratchSize: 0
; MemoryBound: 1
; FloatMode: 240
; IeeeMode: 1
; LDSByteSize: 16384 bytes/workgroup (compile time only)
; SGPRBlocks: 7
; VGPRBlocks: 10
; NumSGPRsForWavesPerEU: 64
; NumVGPRsForWavesPerEU: 82
; AccumOffset: 84
; Occupancy: 5
; WaveLimiterHint : 0
; COMPUTE_PGM_RSRC2:SCRATCH_EN: 0
; COMPUTE_PGM_RSRC2:USER_SGPR: 2
; COMPUTE_PGM_RSRC2:TRAP_HANDLER: 0
; COMPUTE_PGM_RSRC2:TGID_X_EN: 1
; COMPUTE_PGM_RSRC2:TGID_Y_EN: 1
; COMPUTE_PGM_RSRC2:TGID_Z_EN: 1
; COMPUTE_PGM_RSRC2:TIDIG_COMP_CNT: 1
; COMPUTE_PGM_RSRC3_GFX90A:ACCUM_OFFSET: 20
; COMPUTE_PGM_RSRC3_GFX90A:TG_SPLIT: 0
	.section	.text._ZL30rocblas_trmm_outofplace_kernelI19rocblas_complex_numIfELi32ELi2ELb1ELb0ELb1ELb1EPKS1_S2_S1_Ev17rocblas_diagonal_iiT6_lPT7_lllS7_lllPT8_llli,"axG",@progbits,_ZL30rocblas_trmm_outofplace_kernelI19rocblas_complex_numIfELi32ELi2ELb1ELb0ELb1ELb1EPKS1_S2_S1_Ev17rocblas_diagonal_iiT6_lPT7_lllS7_lllPT8_llli,comdat
	.globl	_ZL30rocblas_trmm_outofplace_kernelI19rocblas_complex_numIfELi32ELi2ELb1ELb0ELb1ELb1EPKS1_S2_S1_Ev17rocblas_diagonal_iiT6_lPT7_lllS7_lllPT8_llli ; -- Begin function _ZL30rocblas_trmm_outofplace_kernelI19rocblas_complex_numIfELi32ELi2ELb1ELb0ELb1ELb1EPKS1_S2_S1_Ev17rocblas_diagonal_iiT6_lPT7_lllS7_lllPT8_llli
	.p2align	8
	.type	_ZL30rocblas_trmm_outofplace_kernelI19rocblas_complex_numIfELi32ELi2ELb1ELb0ELb1ELb1EPKS1_S2_S1_Ev17rocblas_diagonal_iiT6_lPT7_lllS7_lllPT8_llli,@function
_ZL30rocblas_trmm_outofplace_kernelI19rocblas_complex_numIfELi32ELi2ELb1ELb0ELb1ELb1EPKS1_S2_S1_Ev17rocblas_diagonal_iiT6_lPT7_lllS7_lllPT8_llli: ; @_ZL30rocblas_trmm_outofplace_kernelI19rocblas_complex_numIfELi32ELi2ELb1ELb0ELb1ELb1EPKS1_S2_S1_Ev17rocblas_diagonal_iiT6_lPT7_lllS7_lllPT8_llli
; %bb.0:
	s_load_dwordx16 s[16:31], s[0:1], 0x10
	s_waitcnt lgkmcnt(0)
	s_mul_i32 s5, s19, s4
	s_mul_hi_u32 s6, s18, s4
	s_add_i32 s7, s6, s5
	s_mul_i32 s6, s18, s4
	s_lshl_b64 s[6:7], s[6:7], 3
	s_add_u32 s6, s16, s6
	s_addc_u32 s7, s17, s7
	s_load_dwordx2 s[18:19], s[6:7], 0x0
	s_waitcnt lgkmcnt(0)
	s_or_b32 s5, s18, s19
	s_bitset0_b32 s5, 31
	s_cmp_eq_u32 s5, 0
	s_cbranch_scc1 .LBB80_60
; %bb.1:
	s_load_dwordx4 s[44:47], s[0:1], 0x0
	s_waitcnt lgkmcnt(0)
	s_add_i32 s5, s46, -1
	s_ashr_i32 s6, s5, 31
	s_lshr_b32 s6, s6, 27
	s_add_i32 s5, s5, s6
	s_ashr_i32 s33, s5, 5
	s_cmp_gt_i32 s3, s33
	s_cbranch_scc1 .LBB80_60
; %bb.2:
	s_load_dwordx8 s[36:43], s[0:1], 0x50
	s_load_dwordx4 s[48:51], s[0:1], 0x70
	s_mul_i32 s5, s27, s4
	s_mul_hi_u32 s6, s26, s4
	s_add_i32 s7, s6, s5
	s_mul_i32 s6, s26, s4
	s_lshl_b64 s[8:9], s[6:7], 3
	s_add_u32 s5, s20, s8
	s_addc_u32 s7, s21, s9
	s_lshl_b64 s[10:11], s[22:23], 3
	s_add_u32 s6, s5, s10
	s_load_dword s47, s[0:1], 0x8c
	s_waitcnt lgkmcnt(0)
	s_mul_i32 s0, s51, s4
	s_mul_hi_u32 s1, s50, s4
	s_addc_u32 s7, s7, s11
	s_add_i32 s1, s1, s0
	s_mul_i32 s0, s50, s4
	s_lshl_b64 s[0:1], s[0:1], 3
	s_add_u32 s5, s40, s0
	s_addc_u32 s12, s41, s1
	s_lshl_b64 s[0:1], s[42:43], 3
	s_add_u32 s22, s5, s0
	v_bfe_u32 v47, v0, 10, 10
	s_addc_u32 s23, s12, s1
	s_lshl_b32 s2, s2, 5
	v_and_b32_e32 v4, 0x3ff, v0
	v_add_u32_e32 v12, s2, v47
	v_add_u32_e32 v14, s2, v4
	s_sub_i32 s2, s45, s2
	s_cmp_gt_i32 s2, 0
	v_ashrrev_i32_e32 v15, 31, v14
	s_cselect_b64 s[26:27], -1, 0
	s_cmpk_eq_i32 s44, 0x84
	v_mul_lo_u32 v2, s24, v15
	v_mul_lo_u32 v3, s25, v14
	v_mad_u64_u32 v[0:1], s[0:1], s24, v14, 0
	s_cselect_b64 s[34:35], -1, 0
	s_ashr_i32 s41, s45, 31
	s_ashr_i32 s52, s46, 31
	v_ashrrev_i32_e32 v13, 31, v12
	v_add3_u32 v1, v1, v2, v3
	s_add_u32 s42, s45, -16
	v_lshl_add_u64 v[0:1], v[0:1], 3, s[6:7]
	v_lshlrev_b64 v[2:3], 3, v[12:13]
	s_addc_u32 s43, s41, -1
	v_lshl_add_u64 v[16:17], v[0:1], 0, v[2:3]
	v_lshlrev_b32_e32 v0, 8, v47
	v_lshlrev_b32_e32 v49, 3, v4
	s_add_u32 s8, s10, s8
	v_add_u32_e32 v51, v49, v0
	v_add_u32_e32 v53, 0x2000, v0
	v_lshlrev_b64 v[0:1], 3, v[14:15]
	s_mov_b64 s[12:13], 0x80
	s_addc_u32 s9, s11, s9
	v_lshl_add_u64 v[4:5], v[0:1], 0, s[12:13]
	v_mov_b64_e32 v[6:7], s[8:9]
	v_mul_lo_u32 v8, s24, v5
	v_mul_lo_u32 v9, s25, v4
	v_mad_u64_u32 v[4:5], s[8:9], s24, v4, v[6:7]
	s_mul_i32 s5, s39, s4
	s_mul_hi_u32 s8, s38, s4
	s_add_i32 s5, s8, s5
	s_mul_i32 s4, s38, s4
	s_lshl_b64 s[4:5], s[4:5], 3
	s_lshl_b64 s[8:9], s[30:31], 3
	s_add_u32 s4, s4, s8
	s_addc_u32 s5, s5, s9
	v_sub_co_u32_e32 v22, vcc, v14, v12
	v_add3_u32 v5, v9, v5, v8
	s_add_u32 s4, s28, s4
	s_mov_b32 s40, s45
	v_lshl_add_u64 v[18:19], v[14:15], 0, 16
	v_add_u32_e32 v20, 16, v14
	v_subb_co_u32_e32 v23, vcc, v15, v13, vcc
	v_lshl_add_u64 v[2:3], v[4:5], 0, v[2:3]
	s_addc_u32 s5, s29, s5
	v_mov_b32_e32 v36, 0
	v_add_u32_e32 v55, v53, v49
	v_cmp_le_i32_e64 s[0:1], s45, v14
	v_cmp_le_i64_e64 s[14:15], s[40:41], v[18:19]
	v_cmp_gt_i32_e64 s[16:17], s45, v14
	v_cmp_gt_i32_e64 s[6:7], s45, v20
	v_ashrrev_i32_e32 v21, 31, v20
	s_mov_b32 s44, s19
	s_mov_b32 s45, s18
	v_lshl_add_u64 v[24:25], v[22:23], 0, 16
	v_lshl_add_u64 v[26:27], v[22:23], 0, -16
	v_lshl_add_u64 v[28:29], s[20:21], 0, v[2:3]
	v_lshl_add_u64 v[30:31], s[4:5], 0, v[0:1]
	s_lshl_b64 s[20:21], s[36:37], 3
	v_lshl_add_u32 v32, s3, 5, v47
	s_lshl_b32 s53, s47, 5
	v_mov_b64_e32 v[34:35], 0x80
	v_mov_b32_e32 v37, v36
	v_mov_b32_e32 v38, 1.0
	v_mov_b32_e32 v39, v36
	v_add_u32_e32 v57, 0x800, v49
	v_add_u32_e32 v59, 0x1000, v49
	;; [unrolled: 1-line block ×3, first 2 shown]
	s_branch .LBB80_4
.LBB80_3:                               ;   in Loop: Header=BB80_4 Depth=1
	s_or_b64 exec, exec, s[4:5]
	s_add_i32 s3, s47, s3
	s_cmp_le_i32 s3, s33
	v_add_u32_e32 v32, s53, v32
	s_cbranch_scc0 .LBB80_60
.LBB80_4:                               ; =>This Loop Header: Depth=1
                                        ;     Child Loop BB80_7 Depth 2
	v_lshl_add_u32 v40, s3, 5, v47
	s_andn2_b64 vcc, exec, s[26:27]
	v_ashrrev_i32_e32 v41, 31, v40
	s_cbranch_vccnz .LBB80_51
; %bb.5:                                ;   in Loop: Header=BB80_4 Depth=1
	v_ashrrev_i32_e32 v33, 31, v32
	v_mad_u64_u32 v[42:43], s[4:5], s20, v32, v[30:31]
	v_mul_lo_u32 v0, s21, v32
	v_mul_lo_u32 v1, s20, v33
	v_add3_u32 v43, v0, v43, v1
	v_lshl_add_u64 v[0:1], v[32:33], 3, v[34:35]
	v_mul_lo_u32 v1, s36, v1
	v_mul_lo_u32 v2, s37, v0
	v_mad_u64_u32 v[44:45], s[4:5], s36, v0, v[30:31]
	v_add3_u32 v45, v2, v45, v1
	v_mov_b32_e32 v1, s52
	v_sub_co_u32_e32 v0, vcc, s46, v40
	s_mov_b64 s[24:25], 0
	s_nop 0
	v_subb_co_u32_e32 v1, vcc, v1, v41, vcc
	v_cmp_lt_i64_e32 vcc, 0, v[0:1]
	v_cmp_lt_i64_e64 s[8:9], 16, v[0:1]
	v_mov_b32_e32 v46, 0
	s_mov_b64 s[28:29], 0
	v_mov_b32_e32 v48, 0
	v_mov_b32_e32 v52, 0
	;; [unrolled: 1-line block ×7, first 2 shown]
	s_branch .LBB80_7
.LBB80_6:                               ;   in Loop: Header=BB80_7 Depth=2
	s_or_b64 exec, exec, s[4:5]
	s_waitcnt lgkmcnt(0)
	s_barrier
	ds_read2_b64 v[62:65], v49 offset1:16
	ds_read_b128 v[66:69], v53
	ds_read_b128 v[8:11], v53 offset:16
	ds_read_b128 v[4:7], v53 offset:32
	;; [unrolled: 1-line block ×3, first 2 shown]
	ds_read2_b64 v[78:81], v49 offset0:32 offset1:48
	s_waitcnt lgkmcnt(4)
	v_mul_f32_e32 v33, v67, v63
	v_mul_f32_e32 v70, v66, v63
	v_fma_f32 v33, v66, v62, -v33
	v_fmac_f32_e32 v70, v67, v62
	v_add_f32_e32 v33, v58, v33
	v_add_f32_e32 v58, v60, v70
	ds_read_b128 v[70:73], v53 offset:4096
	ds_read_b128 v[74:77], v53 offset:4112
	v_mul_f32_e32 v60, v67, v65
	v_fma_f32 v60, v66, v64, -v60
	v_add_f32_e32 v54, v54, v60
	s_waitcnt lgkmcnt(1)
	v_mul_f32_e32 v60, v71, v63
	v_mul_f32_e32 v63, v70, v63
	v_fma_f32 v60, v70, v62, -v60
	v_fmac_f32_e32 v63, v71, v62
	v_mul_f32_e32 v62, v70, v65
	v_fmac_f32_e32 v62, v71, v64
	v_add_f32_e32 v46, v46, v62
	v_mul_f32_e32 v62, v68, v79
	v_mul_f32_e32 v66, v66, v65
	v_add_f32_e32 v50, v50, v60
	v_mul_f32_e32 v60, v71, v65
	v_fmac_f32_e32 v62, v69, v78
	v_fmac_f32_e32 v66, v67, v64
	v_fma_f32 v60, v70, v64, -v60
	v_add_f32_e32 v58, v58, v62
	v_mul_f32_e32 v62, v68, v81
	v_add_f32_e32 v56, v56, v66
	v_add_f32_e32 v48, v48, v60
	v_mul_f32_e32 v60, v69, v79
	v_fmac_f32_e32 v62, v69, v80
	v_fma_f32 v60, v68, v78, -v60
	v_add_f32_e32 v56, v56, v62
	v_mul_f32_e32 v62, v72, v79
	v_add_f32_e32 v52, v52, v63
	v_add_f32_e32 v33, v33, v60
	v_mul_f32_e32 v60, v69, v81
	v_fmac_f32_e32 v62, v73, v78
	v_fma_f32 v60, v68, v80, -v60
	v_add_f32_e32 v52, v52, v62
	ds_read2_b64 v[62:65], v49 offset0:64 offset1:80
	v_add_f32_e32 v54, v54, v60
	v_mul_f32_e32 v60, v73, v79
	v_fma_f32 v60, v72, v78, -v60
	v_add_f32_e32 v50, v50, v60
	v_mul_f32_e32 v60, v73, v81
	v_fma_f32 v60, v72, v80, -v60
	v_mul_f32_e32 v66, v72, v81
	v_add_f32_e32 v48, v48, v60
	s_waitcnt lgkmcnt(0)
	v_mul_f32_e32 v60, v9, v63
	v_fmac_f32_e32 v66, v73, v80
	v_fma_f32 v60, v8, v62, -v60
	v_add_f32_e32 v46, v46, v66
	v_mul_f32_e32 v66, v8, v63
	v_add_f32_e32 v33, v33, v60
	v_mul_f32_e32 v60, v9, v65
	v_fmac_f32_e32 v66, v9, v62
	v_fma_f32 v60, v8, v64, -v60
	v_mul_f32_e32 v8, v8, v65
	v_add_f32_e32 v58, v58, v66
	v_fmac_f32_e32 v8, v9, v64
	ds_read2_b64 v[66:69], v49 offset0:96 offset1:112
	v_add_f32_e32 v9, v54, v60
	v_add_f32_e32 v8, v56, v8
	v_mul_f32_e32 v54, v75, v63
	v_mul_f32_e32 v56, v74, v63
	v_fma_f32 v54, v74, v62, -v54
	v_fmac_f32_e32 v56, v75, v62
	v_add_f32_e32 v50, v50, v54
	v_add_f32_e32 v52, v52, v56
	v_mul_f32_e32 v54, v75, v65
	v_mul_f32_e32 v56, v74, v65
	v_fma_f32 v54, v74, v64, -v54
	v_fmac_f32_e32 v56, v75, v64
	v_add_f32_e32 v48, v48, v54
	v_add_f32_e32 v46, v46, v56
	s_waitcnt lgkmcnt(0)
	v_mul_f32_e32 v54, v11, v67
	v_mul_f32_e32 v56, v10, v67
	v_fma_f32 v54, v10, v66, -v54
	v_fmac_f32_e32 v56, v11, v66
	v_add_f32_e32 v33, v33, v54
	v_add_f32_e32 v54, v58, v56
	v_mul_f32_e32 v56, v11, v69
	v_fma_f32 v56, v10, v68, -v56
	v_mul_f32_e32 v10, v10, v69
	v_fmac_f32_e32 v10, v11, v68
	v_add_f32_e32 v58, v8, v10
	v_mul_f32_e32 v8, v77, v67
	v_add_f32_e32 v56, v9, v56
	v_fma_f32 v8, v76, v66, -v8
	v_mul_f32_e32 v9, v76, v67
	v_fmac_f32_e32 v9, v77, v66
	v_add_f32_e32 v50, v50, v8
	v_mul_f32_e32 v8, v77, v69
	v_add_f32_e32 v52, v52, v9
	v_fma_f32 v60, v76, v68, -v8
	ds_read2_b64 v[8:11], v49 offset0:128 offset1:144
	v_mul_f32_e32 v62, v76, v69
	v_fmac_f32_e32 v62, v77, v68
	v_add_f32_e32 v46, v46, v62
	v_add_f32_e32 v48, v48, v60
	s_waitcnt lgkmcnt(0)
	v_mul_f32_e32 v62, v4, v9
	v_fmac_f32_e32 v62, v5, v8
	v_add_f32_e32 v54, v54, v62
	ds_read_b128 v[62:65], v53 offset:4128
	ds_read_b128 v[66:69], v53 offset:4144
	v_mul_f32_e32 v60, v5, v9
	v_fma_f32 v60, v4, v8, -v60
	v_add_f32_e32 v33, v33, v60
	v_mul_f32_e32 v60, v5, v11
	v_fma_f32 v60, v4, v10, -v60
	v_mul_f32_e32 v4, v4, v11
	ds_read2_b64 v[70:73], v49 offset0:160 offset1:176
	v_fmac_f32_e32 v4, v5, v10
	v_add_f32_e32 v5, v56, v60
	s_waitcnt lgkmcnt(2)
	v_mul_f32_e32 v56, v63, v9
	v_fma_f32 v56, v62, v8, -v56
	v_mul_f32_e32 v9, v62, v9
	v_fmac_f32_e32 v9, v63, v8
	v_add_f32_e32 v8, v50, v56
	v_mul_f32_e32 v50, v63, v11
	v_mul_f32_e32 v11, v62, v11
	v_fma_f32 v50, v62, v10, -v50
	v_fmac_f32_e32 v11, v63, v10
	v_add_f32_e32 v10, v48, v50
	v_add_f32_e32 v11, v46, v11
	s_waitcnt lgkmcnt(0)
	v_mul_f32_e32 v46, v7, v71
	v_mul_f32_e32 v48, v6, v71
	v_fma_f32 v46, v6, v70, -v46
	v_fmac_f32_e32 v48, v7, v70
	v_add_f32_e32 v33, v33, v46
	v_add_f32_e32 v46, v54, v48
	v_mul_f32_e32 v48, v7, v73
	v_fma_f32 v48, v6, v72, -v48
	v_mul_f32_e32 v6, v6, v73
	v_add_f32_e32 v4, v58, v4
	v_fmac_f32_e32 v6, v7, v72
	v_add_f32_e32 v50, v4, v6
	v_mul_f32_e32 v4, v65, v71
	v_add_f32_e32 v48, v5, v48
	v_fma_f32 v4, v64, v70, -v4
	v_mul_f32_e32 v5, v64, v71
	v_add_f32_e32 v9, v52, v9
	v_fmac_f32_e32 v5, v65, v70
	v_add_f32_e32 v8, v8, v4
	v_mul_f32_e32 v4, v65, v73
	v_add_f32_e32 v9, v9, v5
	v_fma_f32 v52, v64, v72, -v4
	ds_read2_b64 v[4:7], v49 offset0:192 offset1:208
	v_add_f32_e32 v52, v10, v52
	v_mul_f32_e32 v54, v64, v73
	v_fmac_f32_e32 v54, v65, v72
	v_add_f32_e32 v54, v11, v54
	s_waitcnt lgkmcnt(0)
	v_mul_f32_e32 v10, v1, v5
	v_fma_f32 v10, v0, v4, -v10
	v_add_f32_e32 v33, v33, v10
	v_mul_f32_e32 v10, v1, v7
	v_mul_f32_e32 v11, v0, v5
	v_fma_f32 v10, v0, v6, -v10
	v_mul_f32_e32 v0, v0, v7
	v_fmac_f32_e32 v11, v1, v4
	v_fmac_f32_e32 v0, v1, v6
	v_add_f32_e32 v1, v48, v10
	v_mul_f32_e32 v10, v67, v5
	v_fma_f32 v10, v66, v4, -v10
	v_mul_f32_e32 v5, v66, v5
	v_fmac_f32_e32 v5, v67, v4
	v_add_f32_e32 v4, v8, v10
	v_mul_f32_e32 v8, v67, v7
	v_add_f32_e32 v46, v46, v11
	v_add_f32_e32 v5, v9, v5
	v_fma_f32 v48, v66, v6, -v8
	ds_read2_b64 v[8:11], v49 offset0:224 offset1:240
	v_mul_f32_e32 v7, v66, v7
	v_fmac_f32_e32 v7, v67, v6
	v_add_f32_e32 v0, v50, v0
	v_add_f32_e32 v50, v54, v7
	s_waitcnt lgkmcnt(0)
	v_mul_f32_e32 v6, v3, v9
	v_fma_f32 v6, v2, v8, -v6
	v_add_f32_e32 v33, v33, v6
	v_mul_f32_e32 v6, v3, v11
	v_mul_f32_e32 v7, v2, v9
	v_fma_f32 v6, v2, v10, -v6
	v_mul_f32_e32 v2, v2, v11
	v_fmac_f32_e32 v2, v3, v10
	v_add_f32_e32 v54, v0, v2
	v_mul_f32_e32 v0, v69, v9
	v_add_f32_e32 v48, v52, v48
	v_add_f32_e32 v52, v1, v6
	v_fma_f32 v0, v68, v8, -v0
	v_mul_f32_e32 v1, v68, v9
	v_fmac_f32_e32 v7, v3, v8
	v_fmac_f32_e32 v1, v69, v8
	v_add_f32_e32 v56, v4, v0
	v_mul_f32_e32 v0, v69, v11
	v_add_f32_e32 v46, v46, v7
	v_add_f32_e32 v58, v5, v1
	v_fma_f32 v8, v68, v10, -v0
	ds_read_b128 v[0:3], v53 offset:64
	ds_read2_b64 v[4:7], v57 offset1:16
	v_mul_f32_e32 v9, v68, v11
	v_fmac_f32_e32 v9, v69, v10
	v_add_f32_e32 v48, v48, v8
	v_add_f32_e32 v50, v50, v9
	s_waitcnt lgkmcnt(0)
	v_mul_f32_e32 v62, v0, v5
	v_fmac_f32_e32 v62, v1, v4
	ds_read_b128 v[8:11], v53 offset:80
	v_add_f32_e32 v46, v46, v62
	ds_read_b128 v[62:65], v53 offset:4160
	v_mul_f32_e32 v60, v1, v5
	v_fma_f32 v60, v0, v4, -v60
	v_add_f32_e32 v33, v33, v60
	v_mul_f32_e32 v60, v1, v7
	v_fma_f32 v60, v0, v6, -v60
	v_mul_f32_e32 v0, v0, v7
	ds_read2_b64 v[70:73], v57 offset0:32 offset1:48
	v_fmac_f32_e32 v0, v1, v6
	v_add_f32_e32 v1, v52, v60
	s_waitcnt lgkmcnt(1)
	v_mul_f32_e32 v52, v63, v5
	v_fma_f32 v52, v62, v4, -v52
	v_mul_f32_e32 v5, v62, v5
	v_fmac_f32_e32 v5, v63, v4
	v_add_f32_e32 v4, v56, v52
	v_mul_f32_e32 v52, v63, v7
	v_fma_f32 v52, v62, v6, -v52
	v_mul_f32_e32 v7, v62, v7
	v_fmac_f32_e32 v7, v63, v6
	v_add_f32_e32 v6, v48, v52
	s_waitcnt lgkmcnt(0)
	v_mul_f32_e32 v48, v3, v71
	v_fma_f32 v48, v2, v70, -v48
	v_add_f32_e32 v33, v33, v48
	v_mul_f32_e32 v48, v3, v73
	v_add_f32_e32 v7, v50, v7
	v_mul_f32_e32 v50, v2, v71
	v_fma_f32 v48, v2, v72, -v48
	v_mul_f32_e32 v2, v2, v73
	v_add_f32_e32 v0, v54, v0
	v_fmac_f32_e32 v50, v3, v70
	v_fmac_f32_e32 v2, v3, v72
	v_add_f32_e32 v46, v46, v50
	v_add_f32_e32 v50, v0, v2
	v_mul_f32_e32 v0, v65, v71
	v_add_f32_e32 v48, v1, v48
	v_fma_f32 v0, v64, v70, -v0
	v_mul_f32_e32 v1, v64, v71
	v_add_f32_e32 v5, v58, v5
	v_fmac_f32_e32 v1, v65, v70
	v_add_f32_e32 v4, v4, v0
	v_mul_f32_e32 v0, v65, v73
	v_add_f32_e32 v5, v5, v1
	v_fma_f32 v52, v64, v72, -v0
	ds_read2_b64 v[0:3], v57 offset0:64 offset1:80
	ds_read_b128 v[66:69], v53 offset:4176
	v_mul_f32_e32 v54, v64, v73
	v_add_f32_e32 v52, v6, v52
	v_fmac_f32_e32 v54, v65, v72
	s_waitcnt lgkmcnt(1)
	v_mul_f32_e32 v6, v9, v1
	v_fma_f32 v6, v8, v0, -v6
	v_add_f32_e32 v54, v7, v54
	v_mul_f32_e32 v7, v8, v1
	v_add_f32_e32 v33, v33, v6
	v_mul_f32_e32 v6, v9, v3
	v_fmac_f32_e32 v7, v9, v0
	v_fma_f32 v6, v8, v2, -v6
	v_add_f32_e32 v46, v46, v7
	v_mul_f32_e32 v7, v8, v3
	v_add_f32_e32 v8, v48, v6
	s_waitcnt lgkmcnt(0)
	v_mul_f32_e32 v6, v67, v1
	v_fma_f32 v6, v66, v0, -v6
	v_mul_f32_e32 v1, v66, v1
	v_fmac_f32_e32 v7, v9, v2
	v_fmac_f32_e32 v1, v67, v0
	v_add_f32_e32 v0, v4, v6
	v_mul_f32_e32 v4, v67, v3
	v_add_f32_e32 v9, v50, v7
	v_add_f32_e32 v1, v5, v1
	v_fma_f32 v48, v66, v2, -v4
	ds_read2_b64 v[4:7], v57 offset0:96 offset1:112
	v_mul_f32_e32 v3, v66, v3
	v_fmac_f32_e32 v3, v67, v2
	v_add_f32_e32 v50, v54, v3
	v_add_f32_e32 v48, v52, v48
	s_waitcnt lgkmcnt(0)
	v_mul_f32_e32 v2, v11, v5
	v_fma_f32 v2, v10, v4, -v2
	v_mul_f32_e32 v3, v10, v5
	v_fmac_f32_e32 v3, v11, v4
	v_add_f32_e32 v33, v33, v2
	v_mul_f32_e32 v2, v11, v7
	v_add_f32_e32 v46, v46, v3
	v_fma_f32 v2, v10, v6, -v2
	v_mul_f32_e32 v3, v10, v7
	v_fmac_f32_e32 v3, v11, v6
	v_add_f32_e32 v52, v8, v2
	v_mul_f32_e32 v2, v69, v5
	v_add_f32_e32 v54, v9, v3
	;; [unrolled: 6-line block ×3, first 2 shown]
	v_fma_f32 v4, v68, v6, -v0
	ds_read_b128 v[0:3], v53 offset:96
	ds_read2_b64 v[8:11], v57 offset0:128 offset1:144
	v_mul_f32_e32 v5, v68, v7
	v_fmac_f32_e32 v5, v69, v6
	v_add_f32_e32 v48, v48, v4
	v_add_f32_e32 v50, v50, v5
	s_waitcnt lgkmcnt(0)
	v_mul_f32_e32 v62, v0, v9
	v_fmac_f32_e32 v62, v1, v8
	ds_read_b128 v[4:7], v53 offset:112
	v_add_f32_e32 v46, v46, v62
	ds_read_b128 v[62:65], v53 offset:4192
	v_mul_f32_e32 v60, v1, v9
	v_fma_f32 v60, v0, v8, -v60
	v_add_f32_e32 v33, v33, v60
	v_mul_f32_e32 v60, v1, v11
	v_fma_f32 v60, v0, v10, -v60
	v_mul_f32_e32 v0, v0, v11
	ds_read2_b64 v[70:73], v57 offset0:160 offset1:176
	v_fmac_f32_e32 v0, v1, v10
	v_add_f32_e32 v1, v52, v60
	s_waitcnt lgkmcnt(1)
	v_mul_f32_e32 v52, v63, v9
	v_fma_f32 v52, v62, v8, -v52
	v_mul_f32_e32 v9, v62, v9
	v_fmac_f32_e32 v9, v63, v8
	v_add_f32_e32 v8, v56, v52
	v_mul_f32_e32 v52, v63, v11
	v_fma_f32 v52, v62, v10, -v52
	v_mul_f32_e32 v11, v62, v11
	v_fmac_f32_e32 v11, v63, v10
	v_add_f32_e32 v10, v48, v52
	s_waitcnt lgkmcnt(0)
	v_mul_f32_e32 v48, v3, v71
	v_fma_f32 v48, v2, v70, -v48
	v_add_f32_e32 v33, v33, v48
	v_mul_f32_e32 v48, v3, v73
	v_add_f32_e32 v11, v50, v11
	v_mul_f32_e32 v50, v2, v71
	v_fma_f32 v48, v2, v72, -v48
	v_mul_f32_e32 v2, v2, v73
	v_add_f32_e32 v0, v54, v0
	v_fmac_f32_e32 v50, v3, v70
	v_fmac_f32_e32 v2, v3, v72
	v_add_f32_e32 v46, v46, v50
	v_add_f32_e32 v50, v0, v2
	v_mul_f32_e32 v0, v65, v71
	v_add_f32_e32 v48, v1, v48
	v_fma_f32 v0, v64, v70, -v0
	v_mul_f32_e32 v1, v64, v71
	v_add_f32_e32 v9, v58, v9
	v_fmac_f32_e32 v1, v65, v70
	v_add_f32_e32 v8, v8, v0
	v_mul_f32_e32 v0, v65, v73
	v_add_f32_e32 v9, v9, v1
	v_fma_f32 v52, v64, v72, -v0
	ds_read2_b64 v[0:3], v57 offset0:192 offset1:208
	ds_read_b128 v[66:69], v53 offset:4208
	v_add_f32_e32 v52, v10, v52
	v_mul_f32_e32 v54, v64, v73
	v_fmac_f32_e32 v54, v65, v72
	s_waitcnt lgkmcnt(1)
	v_mul_f32_e32 v10, v5, v1
	v_fma_f32 v10, v4, v0, -v10
	v_add_f32_e32 v33, v33, v10
	v_mul_f32_e32 v10, v5, v3
	v_add_f32_e32 v54, v11, v54
	v_mul_f32_e32 v11, v4, v1
	v_fma_f32 v10, v4, v2, -v10
	v_mul_f32_e32 v4, v4, v3
	v_fmac_f32_e32 v11, v5, v0
	v_fmac_f32_e32 v4, v5, v2
	v_add_f32_e32 v5, v48, v10
	s_waitcnt lgkmcnt(0)
	v_mul_f32_e32 v10, v67, v1
	v_fma_f32 v10, v66, v0, -v10
	v_mul_f32_e32 v1, v66, v1
	v_fmac_f32_e32 v1, v67, v0
	v_add_f32_e32 v0, v8, v10
	v_mul_f32_e32 v8, v67, v3
	v_add_f32_e32 v46, v46, v11
	v_add_f32_e32 v1, v9, v1
	v_fma_f32 v48, v66, v2, -v8
	ds_read2_b64 v[8:11], v57 offset0:224 offset1:240
	v_mul_f32_e32 v3, v66, v3
	v_fmac_f32_e32 v3, v67, v2
	v_add_f32_e32 v4, v50, v4
	v_add_f32_e32 v50, v54, v3
	s_waitcnt lgkmcnt(0)
	v_mul_f32_e32 v2, v7, v9
	v_fma_f32 v2, v6, v8, -v2
	v_mul_f32_e32 v3, v6, v9
	v_fmac_f32_e32 v3, v7, v8
	v_add_f32_e32 v33, v33, v2
	v_mul_f32_e32 v2, v7, v11
	v_add_f32_e32 v46, v46, v3
	v_fma_f32 v2, v6, v10, -v2
	v_mul_f32_e32 v3, v6, v11
	v_add_f32_e32 v48, v52, v48
	v_fmac_f32_e32 v3, v7, v10
	v_add_f32_e32 v52, v5, v2
	v_mul_f32_e32 v2, v69, v9
	v_add_f32_e32 v54, v4, v3
	v_fma_f32 v2, v68, v8, -v2
	v_mul_f32_e32 v3, v68, v9
	v_fmac_f32_e32 v3, v69, v8
	v_add_f32_e32 v56, v0, v2
	v_mul_f32_e32 v0, v69, v11
	v_add_f32_e32 v58, v1, v3
	v_fma_f32 v8, v68, v10, -v0
	ds_read_b128 v[0:3], v53 offset:128
	ds_read2_b64 v[4:7], v59 offset1:16
	v_mul_f32_e32 v9, v68, v11
	v_fmac_f32_e32 v9, v69, v10
	v_add_f32_e32 v48, v48, v8
	v_add_f32_e32 v50, v50, v9
	s_waitcnt lgkmcnt(0)
	v_mul_f32_e32 v62, v0, v5
	v_fmac_f32_e32 v62, v1, v4
	ds_read_b128 v[8:11], v53 offset:144
	v_add_f32_e32 v46, v46, v62
	ds_read_b128 v[62:65], v53 offset:4224
	v_mul_f32_e32 v60, v1, v5
	v_fma_f32 v60, v0, v4, -v60
	v_add_f32_e32 v33, v33, v60
	v_mul_f32_e32 v60, v1, v7
	v_fma_f32 v60, v0, v6, -v60
	v_mul_f32_e32 v0, v0, v7
	ds_read2_b64 v[70:73], v59 offset0:32 offset1:48
	v_fmac_f32_e32 v0, v1, v6
	v_add_f32_e32 v1, v52, v60
	s_waitcnt lgkmcnt(1)
	v_mul_f32_e32 v52, v63, v5
	v_fma_f32 v52, v62, v4, -v52
	v_mul_f32_e32 v5, v62, v5
	v_fmac_f32_e32 v5, v63, v4
	v_add_f32_e32 v4, v56, v52
	v_mul_f32_e32 v52, v63, v7
	v_fma_f32 v52, v62, v6, -v52
	v_mul_f32_e32 v7, v62, v7
	v_fmac_f32_e32 v7, v63, v6
	v_add_f32_e32 v6, v48, v52
	s_waitcnt lgkmcnt(0)
	v_mul_f32_e32 v48, v3, v71
	v_fma_f32 v48, v2, v70, -v48
	v_add_f32_e32 v33, v33, v48
	v_mul_f32_e32 v48, v3, v73
	v_add_f32_e32 v7, v50, v7
	v_mul_f32_e32 v50, v2, v71
	v_fma_f32 v48, v2, v72, -v48
	v_mul_f32_e32 v2, v2, v73
	v_add_f32_e32 v0, v54, v0
	v_fmac_f32_e32 v50, v3, v70
	v_fmac_f32_e32 v2, v3, v72
	v_add_f32_e32 v46, v46, v50
	v_add_f32_e32 v50, v0, v2
	v_mul_f32_e32 v0, v65, v71
	v_add_f32_e32 v48, v1, v48
	v_fma_f32 v0, v64, v70, -v0
	v_mul_f32_e32 v1, v64, v71
	v_add_f32_e32 v5, v58, v5
	v_fmac_f32_e32 v1, v65, v70
	v_add_f32_e32 v4, v4, v0
	v_mul_f32_e32 v0, v65, v73
	v_add_f32_e32 v5, v5, v1
	v_fma_f32 v52, v64, v72, -v0
	ds_read2_b64 v[0:3], v59 offset0:64 offset1:80
	ds_read_b128 v[66:69], v53 offset:4240
	v_mul_f32_e32 v54, v64, v73
	v_add_f32_e32 v52, v6, v52
	v_fmac_f32_e32 v54, v65, v72
	s_waitcnt lgkmcnt(1)
	v_mul_f32_e32 v6, v9, v1
	v_fma_f32 v6, v8, v0, -v6
	v_add_f32_e32 v54, v7, v54
	v_mul_f32_e32 v7, v8, v1
	v_add_f32_e32 v33, v33, v6
	v_mul_f32_e32 v6, v9, v3
	v_fmac_f32_e32 v7, v9, v0
	v_fma_f32 v6, v8, v2, -v6
	v_add_f32_e32 v46, v46, v7
	v_mul_f32_e32 v7, v8, v3
	v_add_f32_e32 v8, v48, v6
	s_waitcnt lgkmcnt(0)
	v_mul_f32_e32 v6, v67, v1
	v_fma_f32 v6, v66, v0, -v6
	v_mul_f32_e32 v1, v66, v1
	v_fmac_f32_e32 v7, v9, v2
	v_fmac_f32_e32 v1, v67, v0
	v_add_f32_e32 v0, v4, v6
	v_mul_f32_e32 v4, v67, v3
	v_add_f32_e32 v9, v50, v7
	v_add_f32_e32 v1, v5, v1
	v_fma_f32 v48, v66, v2, -v4
	ds_read2_b64 v[4:7], v59 offset0:96 offset1:112
	v_mul_f32_e32 v3, v66, v3
	v_fmac_f32_e32 v3, v67, v2
	v_add_f32_e32 v50, v54, v3
	v_add_f32_e32 v48, v52, v48
	s_waitcnt lgkmcnt(0)
	v_mul_f32_e32 v2, v11, v5
	v_fma_f32 v2, v10, v4, -v2
	v_mul_f32_e32 v3, v10, v5
	v_fmac_f32_e32 v3, v11, v4
	v_add_f32_e32 v33, v33, v2
	v_mul_f32_e32 v2, v11, v7
	v_add_f32_e32 v46, v46, v3
	v_fma_f32 v2, v10, v6, -v2
	v_mul_f32_e32 v3, v10, v7
	v_fmac_f32_e32 v3, v11, v6
	v_add_f32_e32 v52, v8, v2
	v_mul_f32_e32 v2, v69, v5
	v_add_f32_e32 v54, v9, v3
	;; [unrolled: 6-line block ×3, first 2 shown]
	v_fma_f32 v4, v68, v6, -v0
	ds_read_b128 v[0:3], v53 offset:160
	ds_read2_b64 v[8:11], v59 offset0:128 offset1:144
	v_mul_f32_e32 v5, v68, v7
	v_fmac_f32_e32 v5, v69, v6
	v_add_f32_e32 v48, v48, v4
	v_add_f32_e32 v50, v50, v5
	s_waitcnt lgkmcnt(0)
	v_mul_f32_e32 v62, v0, v9
	v_fmac_f32_e32 v62, v1, v8
	ds_read_b128 v[4:7], v53 offset:176
	v_add_f32_e32 v46, v46, v62
	ds_read_b128 v[62:65], v53 offset:4256
	v_mul_f32_e32 v60, v1, v9
	v_fma_f32 v60, v0, v8, -v60
	v_add_f32_e32 v33, v33, v60
	v_mul_f32_e32 v60, v1, v11
	v_fma_f32 v60, v0, v10, -v60
	v_mul_f32_e32 v0, v0, v11
	ds_read2_b64 v[70:73], v59 offset0:160 offset1:176
	v_fmac_f32_e32 v0, v1, v10
	v_add_f32_e32 v1, v52, v60
	s_waitcnt lgkmcnt(1)
	v_mul_f32_e32 v52, v63, v9
	v_fma_f32 v52, v62, v8, -v52
	v_mul_f32_e32 v9, v62, v9
	v_fmac_f32_e32 v9, v63, v8
	v_add_f32_e32 v8, v56, v52
	v_mul_f32_e32 v52, v63, v11
	v_fma_f32 v52, v62, v10, -v52
	v_mul_f32_e32 v11, v62, v11
	v_fmac_f32_e32 v11, v63, v10
	v_add_f32_e32 v10, v48, v52
	s_waitcnt lgkmcnt(0)
	v_mul_f32_e32 v48, v3, v71
	v_fma_f32 v48, v2, v70, -v48
	v_add_f32_e32 v33, v33, v48
	v_mul_f32_e32 v48, v3, v73
	v_add_f32_e32 v11, v50, v11
	v_mul_f32_e32 v50, v2, v71
	v_fma_f32 v48, v2, v72, -v48
	v_mul_f32_e32 v2, v2, v73
	v_add_f32_e32 v0, v54, v0
	v_fmac_f32_e32 v50, v3, v70
	v_fmac_f32_e32 v2, v3, v72
	v_add_f32_e32 v46, v46, v50
	v_add_f32_e32 v50, v0, v2
	v_mul_f32_e32 v0, v65, v71
	v_add_f32_e32 v48, v1, v48
	v_fma_f32 v0, v64, v70, -v0
	v_mul_f32_e32 v1, v64, v71
	v_add_f32_e32 v9, v58, v9
	v_fmac_f32_e32 v1, v65, v70
	v_add_f32_e32 v8, v8, v0
	v_mul_f32_e32 v0, v65, v73
	v_add_f32_e32 v9, v9, v1
	v_fma_f32 v52, v64, v72, -v0
	ds_read2_b64 v[0:3], v59 offset0:192 offset1:208
	ds_read_b128 v[66:69], v53 offset:4272
	v_add_f32_e32 v52, v10, v52
	v_mul_f32_e32 v54, v64, v73
	v_fmac_f32_e32 v54, v65, v72
	s_waitcnt lgkmcnt(1)
	v_mul_f32_e32 v10, v5, v1
	v_fma_f32 v10, v4, v0, -v10
	v_add_f32_e32 v33, v33, v10
	v_mul_f32_e32 v10, v5, v3
	v_add_f32_e32 v54, v11, v54
	v_mul_f32_e32 v11, v4, v1
	v_fma_f32 v10, v4, v2, -v10
	v_mul_f32_e32 v4, v4, v3
	v_fmac_f32_e32 v11, v5, v0
	v_fmac_f32_e32 v4, v5, v2
	v_add_f32_e32 v5, v48, v10
	s_waitcnt lgkmcnt(0)
	v_mul_f32_e32 v10, v67, v1
	v_fma_f32 v10, v66, v0, -v10
	v_mul_f32_e32 v1, v66, v1
	v_fmac_f32_e32 v1, v67, v0
	v_add_f32_e32 v0, v8, v10
	v_mul_f32_e32 v8, v67, v3
	v_add_f32_e32 v46, v46, v11
	v_add_f32_e32 v1, v9, v1
	v_fma_f32 v48, v66, v2, -v8
	ds_read2_b64 v[8:11], v59 offset0:224 offset1:240
	v_mul_f32_e32 v3, v66, v3
	v_fmac_f32_e32 v3, v67, v2
	v_add_f32_e32 v4, v50, v4
	v_add_f32_e32 v50, v54, v3
	s_waitcnt lgkmcnt(0)
	v_mul_f32_e32 v2, v7, v9
	v_fma_f32 v2, v6, v8, -v2
	v_mul_f32_e32 v3, v6, v9
	v_fmac_f32_e32 v3, v7, v8
	v_add_f32_e32 v33, v33, v2
	v_mul_f32_e32 v2, v7, v11
	v_add_f32_e32 v46, v46, v3
	v_fma_f32 v2, v6, v10, -v2
	v_mul_f32_e32 v3, v6, v11
	v_add_f32_e32 v48, v52, v48
	v_fmac_f32_e32 v3, v7, v10
	v_add_f32_e32 v52, v5, v2
	v_mul_f32_e32 v2, v69, v9
	v_add_f32_e32 v54, v4, v3
	v_fma_f32 v2, v68, v8, -v2
	v_mul_f32_e32 v3, v68, v9
	v_fmac_f32_e32 v3, v69, v8
	v_add_f32_e32 v56, v0, v2
	v_mul_f32_e32 v0, v69, v11
	v_add_f32_e32 v58, v1, v3
	v_fma_f32 v8, v68, v10, -v0
	ds_read_b128 v[0:3], v53 offset:192
	ds_read2_b64 v[4:7], v61 offset1:16
	v_mul_f32_e32 v9, v68, v11
	v_fmac_f32_e32 v9, v69, v10
	v_add_f32_e32 v48, v48, v8
	v_add_f32_e32 v50, v50, v9
	s_waitcnt lgkmcnt(0)
	v_mul_f32_e32 v62, v0, v5
	v_fmac_f32_e32 v62, v1, v4
	ds_read_b128 v[8:11], v53 offset:208
	v_add_f32_e32 v46, v46, v62
	ds_read_b128 v[62:65], v53 offset:4288
	v_mul_f32_e32 v60, v1, v5
	v_fma_f32 v60, v0, v4, -v60
	v_add_f32_e32 v33, v33, v60
	v_mul_f32_e32 v60, v1, v7
	v_fma_f32 v60, v0, v6, -v60
	v_mul_f32_e32 v0, v0, v7
	ds_read2_b64 v[70:73], v61 offset0:32 offset1:48
	v_fmac_f32_e32 v0, v1, v6
	v_add_f32_e32 v1, v52, v60
	s_waitcnt lgkmcnt(1)
	v_mul_f32_e32 v52, v63, v5
	v_fma_f32 v52, v62, v4, -v52
	v_mul_f32_e32 v5, v62, v5
	v_fmac_f32_e32 v5, v63, v4
	v_add_f32_e32 v4, v56, v52
	v_mul_f32_e32 v52, v63, v7
	v_fma_f32 v52, v62, v6, -v52
	v_mul_f32_e32 v7, v62, v7
	v_fmac_f32_e32 v7, v63, v6
	v_add_f32_e32 v6, v48, v52
	s_waitcnt lgkmcnt(0)
	v_mul_f32_e32 v48, v3, v71
	v_fma_f32 v48, v2, v70, -v48
	v_add_f32_e32 v33, v33, v48
	v_mul_f32_e32 v48, v3, v73
	v_add_f32_e32 v7, v50, v7
	v_mul_f32_e32 v50, v2, v71
	v_fma_f32 v48, v2, v72, -v48
	v_mul_f32_e32 v2, v2, v73
	v_add_f32_e32 v0, v54, v0
	v_fmac_f32_e32 v50, v3, v70
	v_fmac_f32_e32 v2, v3, v72
	v_add_f32_e32 v46, v46, v50
	v_add_f32_e32 v50, v0, v2
	v_mul_f32_e32 v0, v65, v71
	v_add_f32_e32 v48, v1, v48
	v_fma_f32 v0, v64, v70, -v0
	v_mul_f32_e32 v1, v64, v71
	v_add_f32_e32 v5, v58, v5
	v_fmac_f32_e32 v1, v65, v70
	v_add_f32_e32 v4, v4, v0
	v_mul_f32_e32 v0, v65, v73
	v_add_f32_e32 v5, v5, v1
	v_fma_f32 v52, v64, v72, -v0
	ds_read2_b64 v[0:3], v61 offset0:64 offset1:80
	ds_read_b128 v[66:69], v53 offset:4304
	v_mul_f32_e32 v54, v64, v73
	v_add_f32_e32 v52, v6, v52
	v_fmac_f32_e32 v54, v65, v72
	s_waitcnt lgkmcnt(1)
	v_mul_f32_e32 v6, v9, v1
	v_fma_f32 v6, v8, v0, -v6
	v_add_f32_e32 v54, v7, v54
	v_mul_f32_e32 v7, v8, v1
	v_add_f32_e32 v33, v33, v6
	v_mul_f32_e32 v6, v9, v3
	v_fmac_f32_e32 v7, v9, v0
	v_fma_f32 v6, v8, v2, -v6
	v_add_f32_e32 v46, v46, v7
	v_mul_f32_e32 v7, v8, v3
	v_add_f32_e32 v8, v48, v6
	s_waitcnt lgkmcnt(0)
	v_mul_f32_e32 v6, v67, v1
	v_fma_f32 v6, v66, v0, -v6
	v_mul_f32_e32 v1, v66, v1
	v_fmac_f32_e32 v7, v9, v2
	v_fmac_f32_e32 v1, v67, v0
	v_add_f32_e32 v0, v4, v6
	v_mul_f32_e32 v4, v67, v3
	v_add_f32_e32 v9, v50, v7
	v_add_f32_e32 v1, v5, v1
	v_fma_f32 v48, v66, v2, -v4
	ds_read2_b64 v[4:7], v61 offset0:96 offset1:112
	v_mul_f32_e32 v3, v66, v3
	v_fmac_f32_e32 v3, v67, v2
	v_add_f32_e32 v50, v54, v3
	v_add_f32_e32 v48, v52, v48
	s_waitcnt lgkmcnt(0)
	v_mul_f32_e32 v2, v11, v5
	v_fma_f32 v2, v10, v4, -v2
	v_mul_f32_e32 v3, v10, v5
	v_fmac_f32_e32 v3, v11, v4
	v_add_f32_e32 v33, v33, v2
	v_mul_f32_e32 v2, v11, v7
	v_add_f32_e32 v46, v46, v3
	v_fma_f32 v2, v10, v6, -v2
	v_mul_f32_e32 v3, v10, v7
	v_fmac_f32_e32 v3, v11, v6
	v_add_f32_e32 v52, v8, v2
	v_mul_f32_e32 v2, v69, v5
	v_add_f32_e32 v54, v9, v3
	;; [unrolled: 6-line block ×3, first 2 shown]
	v_fma_f32 v4, v68, v6, -v0
	ds_read_b128 v[0:3], v53 offset:224
	ds_read2_b64 v[8:11], v61 offset0:128 offset1:144
	v_mul_f32_e32 v5, v68, v7
	v_fmac_f32_e32 v5, v69, v6
	v_add_f32_e32 v48, v48, v4
	v_add_f32_e32 v50, v50, v5
	s_waitcnt lgkmcnt(0)
	v_mul_f32_e32 v62, v0, v9
	v_fmac_f32_e32 v62, v1, v8
	ds_read_b128 v[4:7], v53 offset:240
	v_add_f32_e32 v46, v46, v62
	ds_read_b128 v[62:65], v53 offset:4320
	v_mul_f32_e32 v60, v1, v9
	v_fma_f32 v60, v0, v8, -v60
	v_add_f32_e32 v33, v33, v60
	v_mul_f32_e32 v60, v1, v11
	v_fma_f32 v60, v0, v10, -v60
	v_mul_f32_e32 v0, v0, v11
	ds_read2_b64 v[70:73], v61 offset0:160 offset1:176
	v_fmac_f32_e32 v0, v1, v10
	v_add_f32_e32 v1, v52, v60
	s_waitcnt lgkmcnt(1)
	v_mul_f32_e32 v52, v63, v9
	v_fma_f32 v52, v62, v8, -v52
	v_mul_f32_e32 v9, v62, v9
	v_fmac_f32_e32 v9, v63, v8
	v_add_f32_e32 v8, v56, v52
	v_mul_f32_e32 v52, v63, v11
	v_fma_f32 v52, v62, v10, -v52
	v_mul_f32_e32 v11, v62, v11
	v_fmac_f32_e32 v11, v63, v10
	v_add_f32_e32 v10, v48, v52
	s_waitcnt lgkmcnt(0)
	v_mul_f32_e32 v48, v3, v71
	v_fma_f32 v48, v2, v70, -v48
	v_add_f32_e32 v33, v33, v48
	v_mul_f32_e32 v48, v3, v73
	v_add_f32_e32 v11, v50, v11
	v_mul_f32_e32 v50, v2, v71
	v_fma_f32 v48, v2, v72, -v48
	v_mul_f32_e32 v2, v2, v73
	v_add_f32_e32 v0, v54, v0
	v_fmac_f32_e32 v50, v3, v70
	v_fmac_f32_e32 v2, v3, v72
	v_add_f32_e32 v46, v46, v50
	v_add_f32_e32 v50, v0, v2
	v_mul_f32_e32 v0, v65, v71
	v_add_f32_e32 v48, v1, v48
	v_fma_f32 v0, v64, v70, -v0
	v_mul_f32_e32 v1, v64, v71
	v_add_f32_e32 v9, v58, v9
	v_fmac_f32_e32 v1, v65, v70
	v_add_f32_e32 v8, v8, v0
	v_mul_f32_e32 v0, v65, v73
	v_add_f32_e32 v9, v9, v1
	v_fma_f32 v52, v64, v72, -v0
	ds_read2_b64 v[0:3], v61 offset0:192 offset1:208
	ds_read_b128 v[66:69], v53 offset:4336
	v_add_f32_e32 v52, v10, v52
	v_mul_f32_e32 v54, v64, v73
	v_fmac_f32_e32 v54, v65, v72
	s_waitcnt lgkmcnt(1)
	v_mul_f32_e32 v10, v5, v1
	v_fma_f32 v10, v4, v0, -v10
	v_add_f32_e32 v33, v33, v10
	v_mul_f32_e32 v10, v5, v3
	v_add_f32_e32 v54, v11, v54
	v_mul_f32_e32 v11, v4, v1
	v_fma_f32 v10, v4, v2, -v10
	v_mul_f32_e32 v4, v4, v3
	v_fmac_f32_e32 v11, v5, v0
	v_fmac_f32_e32 v4, v5, v2
	v_add_f32_e32 v5, v48, v10
	s_waitcnt lgkmcnt(0)
	v_mul_f32_e32 v10, v67, v1
	v_fma_f32 v10, v66, v0, -v10
	v_mul_f32_e32 v1, v66, v1
	v_fmac_f32_e32 v1, v67, v0
	v_add_f32_e32 v0, v8, v10
	v_mul_f32_e32 v8, v67, v3
	v_add_f32_e32 v46, v46, v11
	v_add_f32_e32 v1, v9, v1
	v_fma_f32 v48, v66, v2, -v8
	ds_read2_b64 v[8:11], v61 offset0:224 offset1:240
	v_mul_f32_e32 v3, v66, v3
	v_fmac_f32_e32 v3, v67, v2
	v_add_f32_e32 v2, v52, v48
	v_add_f32_e32 v4, v50, v4
	s_waitcnt lgkmcnt(0)
	v_mul_f32_e32 v48, v7, v9
	v_fma_f32 v48, v6, v8, -v48
	v_add_f32_e32 v58, v33, v48
	v_mul_f32_e32 v33, v7, v11
	v_mul_f32_e32 v50, v6, v9
	v_fma_f32 v33, v6, v10, -v33
	v_mul_f32_e32 v6, v6, v11
	v_fmac_f32_e32 v6, v7, v10
	v_add_f32_e32 v3, v54, v3
	v_add_f32_e32 v54, v5, v33
	;; [unrolled: 1-line block ×3, first 2 shown]
	v_mul_f32_e32 v4, v69, v9
	v_mul_f32_e32 v5, v68, v9
	s_add_u32 s28, s28, 32
	v_fmac_f32_e32 v50, v7, v8
	v_fma_f32 v4, v68, v8, -v4
	v_fmac_f32_e32 v5, v69, v8
	s_addc_u32 s29, s29, 0
	v_add_f32_e32 v60, v46, v50
	v_add_f32_e32 v50, v0, v4
	;; [unrolled: 1-line block ×3, first 2 shown]
	v_mul_f32_e32 v0, v69, v11
	v_mul_f32_e32 v1, v68, v11
	s_add_u32 s24, s24, 0x100
	v_fma_f32 v0, v68, v10, -v0
	v_fmac_f32_e32 v1, v69, v10
	s_addc_u32 s25, s25, 0
	v_add_f32_e32 v48, v2, v0
	v_add_f32_e32 v46, v3, v1
	s_cmp_ge_i32 s28, s2
	s_barrier
	s_cbranch_scc1 .LBB80_52
.LBB80_7:                               ;   Parent Loop BB80_4 Depth=1
                                        ; =>  This Inner Loop Header: Depth=2
	v_lshl_add_u64 v[4:5], v[12:13], 0, s[28:29]
	v_cmp_le_i64_e64 s[12:13], s[40:41], v[4:5]
	v_cmp_eq_u64_e64 s[4:5], s[28:29], v[22:23]
	v_cmp_lt_i64_e64 s[10:11], v[4:5], v[14:15]
	s_and_b64 s[38:39], s[34:35], s[4:5]
	s_or_b64 s[4:5], s[12:13], s[10:11]
	s_or_b64 s[4:5], s[4:5], s[38:39]
	v_lshl_add_u64 v[0:1], v[16:17], 0, s[24:25]
	s_nor_b64 s[4:5], s[0:1], s[4:5]
	s_and_saveexec_b64 s[30:31], s[4:5]
	s_xor_b64 s[4:5], exec, s[30:31]
	s_cbranch_execz .LBB80_9
; %bb.8:                                ;   in Loop: Header=BB80_7 Depth=2
	global_load_dwordx2 v[2:3], v[0:1], off
	s_waitcnt vmcnt(0)
	v_xor_b32_e32 v3, 0x80000000, v3
	ds_write_b64 v51, v[2:3]
.LBB80_9:                               ;   in Loop: Header=BB80_7 Depth=2
	s_or_saveexec_b64 s[4:5], s[4:5]
	s_xor_b64 s[30:31], s[38:39], -1
	s_xor_b64 exec, exec, s[4:5]
	s_cbranch_execz .LBB80_15
; %bb.10:                               ;   in Loop: Header=BB80_7 Depth=2
	s_and_saveexec_b64 s[50:51], s[30:31]
	s_xor_b64 s[50:51], exec, s[50:51]
; %bb.11:                               ;   in Loop: Header=BB80_7 Depth=2
	ds_write_b64 v51, v[36:37]
; %bb.12:                               ;   in Loop: Header=BB80_7 Depth=2
	s_andn2_saveexec_b64 s[50:51], s[50:51]
; %bb.13:                               ;   in Loop: Header=BB80_7 Depth=2
	ds_write_b64 v51, v[38:39]
; %bb.14:                               ;   in Loop: Header=BB80_7 Depth=2
	s_or_b64 exec, exec, s[50:51]
.LBB80_15:                              ;   in Loop: Header=BB80_7 Depth=2
	s_or_b64 exec, exec, s[4:5]
	v_cmp_eq_u64_e64 s[4:5], s[28:29], v[24:25]
	s_and_b64 s[50:51], s[34:35], s[4:5]
	v_cmp_gt_i64_e64 s[4:5], v[18:19], v[4:5]
	s_or_b64 s[4:5], s[12:13], s[4:5]
	s_or_b64 s[4:5], s[4:5], s[50:51]
	s_nor_b64 s[4:5], s[14:15], s[4:5]
	v_lshl_add_u64 v[2:3], v[28:29], 0, s[24:25]
	s_and_saveexec_b64 s[12:13], s[4:5]
	s_xor_b64 s[4:5], exec, s[12:13]
	s_cbranch_execz .LBB80_17
; %bb.16:                               ;   in Loop: Header=BB80_7 Depth=2
	global_load_dwordx2 v[6:7], v[2:3], off
	s_waitcnt vmcnt(0)
	v_xor_b32_e32 v7, 0x80000000, v7
	ds_write_b64 v51, v[6:7] offset:128
.LBB80_17:                              ;   in Loop: Header=BB80_7 Depth=2
	s_andn2_saveexec_b64 s[4:5], s[4:5]
	s_cbranch_execz .LBB80_23
; %bb.18:                               ;   in Loop: Header=BB80_7 Depth=2
	s_xor_b64 s[12:13], s[50:51], -1
	s_and_saveexec_b64 s[50:51], s[12:13]
	s_xor_b64 s[12:13], exec, s[50:51]
; %bb.19:                               ;   in Loop: Header=BB80_7 Depth=2
	ds_write_b64 v51, v[36:37] offset:128
; %bb.20:                               ;   in Loop: Header=BB80_7 Depth=2
	s_andn2_saveexec_b64 s[12:13], s[12:13]
; %bb.21:                               ;   in Loop: Header=BB80_7 Depth=2
	ds_write_b64 v51, v[38:39] offset:128
; %bb.22:                               ;   in Loop: Header=BB80_7 Depth=2
	s_or_b64 exec, exec, s[12:13]
.LBB80_23:                              ;   in Loop: Header=BB80_7 Depth=2
	s_or_b64 exec, exec, s[4:5]
	v_lshl_add_u64 v[4:5], v[4:5], 0, 16
	v_cmp_eq_u64_e64 s[4:5], s[28:29], v[26:27]
	v_cmp_le_i64_e64 s[12:13], s[40:41], v[4:5]
	s_and_b64 s[50:51], s[34:35], s[4:5]
	v_cmp_lt_i64_e64 s[4:5], v[4:5], v[14:15]
	s_or_b64 s[4:5], s[12:13], s[4:5]
	s_or_b64 s[4:5], s[4:5], s[50:51]
	s_nor_b64 s[4:5], s[0:1], s[4:5]
	s_and_saveexec_b64 s[54:55], s[4:5]
	s_xor_b64 s[4:5], exec, s[54:55]
	s_cbranch_execz .LBB80_25
; %bb.24:                               ;   in Loop: Header=BB80_7 Depth=2
	global_load_dwordx2 v[0:1], v[0:1], off offset:128
	s_waitcnt vmcnt(0)
	v_xor_b32_e32 v1, 0x80000000, v1
	ds_write_b64 v51, v[0:1] offset:4096
.LBB80_25:                              ;   in Loop: Header=BB80_7 Depth=2
	s_andn2_saveexec_b64 s[4:5], s[4:5]
	s_cbranch_execz .LBB80_31
; %bb.26:                               ;   in Loop: Header=BB80_7 Depth=2
	s_xor_b64 s[50:51], s[50:51], -1
	s_and_saveexec_b64 s[54:55], s[50:51]
	s_xor_b64 s[50:51], exec, s[54:55]
; %bb.27:                               ;   in Loop: Header=BB80_7 Depth=2
	ds_write_b64 v51, v[36:37] offset:4096
; %bb.28:                               ;   in Loop: Header=BB80_7 Depth=2
	s_andn2_saveexec_b64 s[50:51], s[50:51]
; %bb.29:                               ;   in Loop: Header=BB80_7 Depth=2
	ds_write_b64 v51, v[38:39] offset:4096
; %bb.30:                               ;   in Loop: Header=BB80_7 Depth=2
	s_or_b64 exec, exec, s[50:51]
.LBB80_31:                              ;   in Loop: Header=BB80_7 Depth=2
	s_or_b64 exec, exec, s[4:5]
	s_or_b64 s[4:5], s[12:13], s[10:11]
	s_or_b64 s[4:5], s[4:5], s[38:39]
	s_nor_b64 s[4:5], s[14:15], s[4:5]
	s_and_saveexec_b64 s[10:11], s[4:5]
	s_xor_b64 s[4:5], exec, s[10:11]
	s_cbranch_execz .LBB80_33
; %bb.32:                               ;   in Loop: Header=BB80_7 Depth=2
	global_load_dwordx2 v[0:1], v[2:3], off offset:128
	s_waitcnt vmcnt(0)
	v_xor_b32_e32 v1, 0x80000000, v1
	ds_write_b64 v51, v[0:1] offset:4224
.LBB80_33:                              ;   in Loop: Header=BB80_7 Depth=2
	s_andn2_saveexec_b64 s[4:5], s[4:5]
	s_cbranch_execz .LBB80_39
; %bb.34:                               ;   in Loop: Header=BB80_7 Depth=2
	s_and_saveexec_b64 s[10:11], s[30:31]
	s_xor_b64 s[10:11], exec, s[10:11]
; %bb.35:                               ;   in Loop: Header=BB80_7 Depth=2
	ds_write_b64 v51, v[36:37] offset:4224
; %bb.36:                               ;   in Loop: Header=BB80_7 Depth=2
	s_andn2_saveexec_b64 s[10:11], s[10:11]
; %bb.37:                               ;   in Loop: Header=BB80_7 Depth=2
	ds_write_b64 v51, v[38:39] offset:4224
; %bb.38:                               ;   in Loop: Header=BB80_7 Depth=2
	s_or_b64 exec, exec, s[10:11]
.LBB80_39:                              ;   in Loop: Header=BB80_7 Depth=2
	s_or_b64 exec, exec, s[4:5]
	v_lshl_add_u64 v[2:3], v[14:15], 0, s[28:29]
	v_cmp_gt_i64_e64 s[10:11], s[40:41], v[2:3]
	v_lshl_add_u64 v[0:1], v[42:43], 0, s[24:25]
	s_and_b64 s[12:13], vcc, s[10:11]
	v_mov_b32_e32 v4, 0
	v_mov_b32_e32 v5, 0
	s_and_saveexec_b64 s[4:5], s[12:13]
	s_cbranch_execz .LBB80_41
; %bb.40:                               ;   in Loop: Header=BB80_7 Depth=2
	global_load_dwordx2 v[4:5], v[0:1], off
.LBB80_41:                              ;   in Loop: Header=BB80_7 Depth=2
	s_or_b64 exec, exec, s[4:5]
	v_cmp_gt_i64_e64 s[12:13], s[42:43], v[2:3]
	s_and_b64 s[4:5], vcc, s[12:13]
	s_xor_b64 s[4:5], s[4:5], -1
	s_waitcnt vmcnt(0)
	ds_write_b64 v55, v[4:5]
	s_and_saveexec_b64 s[30:31], s[4:5]
	s_xor_b64 s[4:5], exec, s[30:31]
; %bb.42:                               ;   in Loop: Header=BB80_7 Depth=2
	ds_write_b64 v55, v[36:37] offset:128
                                        ; implicit-def: $vgpr0_vgpr1
; %bb.43:                               ;   in Loop: Header=BB80_7 Depth=2
	s_andn2_saveexec_b64 s[4:5], s[4:5]
	s_cbranch_execz .LBB80_45
; %bb.44:                               ;   in Loop: Header=BB80_7 Depth=2
	global_load_dwordx2 v[0:1], v[0:1], off offset:128
	s_waitcnt vmcnt(0)
	ds_write_b64 v55, v[0:1] offset:128
.LBB80_45:                              ;   in Loop: Header=BB80_7 Depth=2
	s_or_b64 exec, exec, s[4:5]
	v_lshl_add_u64 v[0:1], v[44:45], 0, s[24:25]
	s_and_b64 s[10:11], s[8:9], s[10:11]
	v_mov_b32_e32 v2, 0
	v_mov_b32_e32 v3, 0
	s_and_saveexec_b64 s[4:5], s[10:11]
	s_cbranch_execz .LBB80_47
; %bb.46:                               ;   in Loop: Header=BB80_7 Depth=2
	global_load_dwordx2 v[2:3], v[0:1], off
.LBB80_47:                              ;   in Loop: Header=BB80_7 Depth=2
	s_or_b64 exec, exec, s[4:5]
	s_and_b64 s[4:5], s[8:9], s[12:13]
	s_xor_b64 s[4:5], s[4:5], -1
	s_waitcnt vmcnt(0)
	ds_write_b64 v55, v[2:3] offset:4096
	s_and_saveexec_b64 s[10:11], s[4:5]
	s_xor_b64 s[4:5], exec, s[10:11]
; %bb.48:                               ;   in Loop: Header=BB80_7 Depth=2
	ds_write_b64 v55, v[36:37] offset:4224
                                        ; implicit-def: $vgpr0_vgpr1
; %bb.49:                               ;   in Loop: Header=BB80_7 Depth=2
	s_andn2_saveexec_b64 s[4:5], s[4:5]
	s_cbranch_execz .LBB80_6
; %bb.50:                               ;   in Loop: Header=BB80_7 Depth=2
	global_load_dwordx2 v[0:1], v[0:1], off offset:128
	s_waitcnt vmcnt(0)
	ds_write_b64 v55, v[0:1] offset:4224
	s_branch .LBB80_6
.LBB80_51:                              ;   in Loop: Header=BB80_4 Depth=1
	v_mov_b32_e32 v58, 0
	v_mov_b32_e32 v60, 0
	;; [unrolled: 1-line block ×8, first 2 shown]
.LBB80_52:                              ;   in Loop: Header=BB80_4 Depth=1
	v_mul_lo_u32 v2, s49, v40
	v_mul_lo_u32 v3, s48, v41
	v_mad_u64_u32 v[0:1], s[4:5], s48, v40, 0
	v_cmp_gt_i32_e32 vcc, s46, v40
	v_add3_u32 v1, v1, v3, v2
	v_lshl_add_u64 v[0:1], v[0:1], 3, s[22:23]
	s_and_b64 s[8:9], s[16:17], vcc
	s_and_saveexec_b64 s[4:5], s[8:9]
	s_cbranch_execz .LBB80_54
; %bb.53:                               ;   in Loop: Header=BB80_4 Depth=1
	v_lshl_add_u64 v[2:3], v[14:15], 3, v[0:1]
	global_load_dwordx2 v[4:5], v[2:3], off
	v_pk_mul_f32 v[6:7], v[60:61], s[44:45] op_sel_hi:[0,1]
	v_pk_fma_f32 v[8:9], v[58:59], s[18:19], v[6:7] neg_lo:[0,0,1] neg_hi:[0,0,1]
	v_pk_fma_f32 v[6:7], v[58:59], s[18:19], v[6:7] op_sel_hi:[0,1,1]
	v_mov_b32_e32 v9, v7
	s_waitcnt vmcnt(0)
	v_pk_add_f32 v[4:5], v[4:5], v[8:9]
	global_store_dwordx2 v[2:3], v[4:5], off
.LBB80_54:                              ;   in Loop: Header=BB80_4 Depth=1
	s_or_b64 exec, exec, s[4:5]
	s_and_b64 s[8:9], s[6:7], vcc
	s_and_saveexec_b64 s[4:5], s[8:9]
	s_cbranch_execz .LBB80_56
; %bb.55:                               ;   in Loop: Header=BB80_4 Depth=1
	v_lshl_add_u64 v[0:1], v[20:21], 3, v[0:1]
	global_load_dwordx2 v[2:3], v[0:1], off
	v_pk_mul_f32 v[4:5], v[56:57], s[44:45] op_sel_hi:[0,1]
	v_pk_fma_f32 v[6:7], v[54:55], s[18:19], v[4:5] neg_lo:[0,0,1] neg_hi:[0,0,1]
	v_pk_fma_f32 v[4:5], v[54:55], s[18:19], v[4:5] op_sel_hi:[0,1,1]
	v_mov_b32_e32 v7, v5
	s_waitcnt vmcnt(0)
	v_pk_add_f32 v[2:3], v[2:3], v[6:7]
	global_store_dwordx2 v[0:1], v[2:3], off
.LBB80_56:                              ;   in Loop: Header=BB80_4 Depth=1
	s_or_b64 exec, exec, s[4:5]
	v_add_u32_e32 v0, 16, v40
	v_ashrrev_i32_e32 v1, 31, v0
	v_cmp_gt_i32_e32 vcc, s46, v0
	v_mul_lo_u32 v2, s48, v1
	v_mul_lo_u32 v3, s49, v0
	v_mad_u64_u32 v[0:1], s[4:5], s48, v0, 0
	v_add3_u32 v1, v1, v2, v3
	v_lshl_add_u64 v[0:1], v[0:1], 3, s[22:23]
	s_and_b64 s[8:9], s[16:17], vcc
	s_and_saveexec_b64 s[4:5], s[8:9]
	s_cbranch_execz .LBB80_58
; %bb.57:                               ;   in Loop: Header=BB80_4 Depth=1
	v_lshl_add_u64 v[2:3], v[14:15], 3, v[0:1]
	global_load_dwordx2 v[4:5], v[2:3], off
	v_pk_mul_f32 v[6:7], v[52:53], s[44:45] op_sel_hi:[0,1]
	v_pk_fma_f32 v[8:9], v[50:51], s[18:19], v[6:7] neg_lo:[0,0,1] neg_hi:[0,0,1]
	v_pk_fma_f32 v[6:7], v[50:51], s[18:19], v[6:7] op_sel_hi:[0,1,1]
	v_mov_b32_e32 v9, v7
	s_waitcnt vmcnt(0)
	v_pk_add_f32 v[4:5], v[4:5], v[8:9]
	global_store_dwordx2 v[2:3], v[4:5], off
.LBB80_58:                              ;   in Loop: Header=BB80_4 Depth=1
	s_or_b64 exec, exec, s[4:5]
	s_and_b64 s[8:9], s[6:7], vcc
	s_and_saveexec_b64 s[4:5], s[8:9]
	s_cbranch_execz .LBB80_3
; %bb.59:                               ;   in Loop: Header=BB80_4 Depth=1
	v_lshl_add_u64 v[0:1], v[20:21], 3, v[0:1]
	global_load_dwordx2 v[2:3], v[0:1], off
	v_pk_mul_f32 v[4:5], v[46:47], s[44:45] op_sel_hi:[0,1]
	v_pk_fma_f32 v[6:7], v[48:49], s[18:19], v[4:5] neg_lo:[0,0,1] neg_hi:[0,0,1]
	v_pk_fma_f32 v[4:5], v[48:49], s[18:19], v[4:5] op_sel_hi:[0,1,1]
	v_mov_b32_e32 v7, v5
	s_waitcnt vmcnt(0)
	v_pk_add_f32 v[2:3], v[2:3], v[6:7]
	global_store_dwordx2 v[0:1], v[2:3], off
	s_branch .LBB80_3
.LBB80_60:
	s_endpgm
	.section	.rodata,"a",@progbits
	.p2align	6, 0x0
	.amdhsa_kernel _ZL30rocblas_trmm_outofplace_kernelI19rocblas_complex_numIfELi32ELi2ELb1ELb0ELb1ELb1EPKS1_S2_S1_Ev17rocblas_diagonal_iiT6_lPT7_lllS7_lllPT8_llli
		.amdhsa_group_segment_fixed_size 16384
		.amdhsa_private_segment_fixed_size 0
		.amdhsa_kernarg_size 392
		.amdhsa_user_sgpr_count 2
		.amdhsa_user_sgpr_dispatch_ptr 0
		.amdhsa_user_sgpr_queue_ptr 0
		.amdhsa_user_sgpr_kernarg_segment_ptr 1
		.amdhsa_user_sgpr_dispatch_id 0
		.amdhsa_user_sgpr_kernarg_preload_length 0
		.amdhsa_user_sgpr_kernarg_preload_offset 0
		.amdhsa_user_sgpr_private_segment_size 0
		.amdhsa_uses_dynamic_stack 0
		.amdhsa_enable_private_segment 0
		.amdhsa_system_sgpr_workgroup_id_x 1
		.amdhsa_system_sgpr_workgroup_id_y 1
		.amdhsa_system_sgpr_workgroup_id_z 1
		.amdhsa_system_sgpr_workgroup_info 0
		.amdhsa_system_vgpr_workitem_id 1
		.amdhsa_next_free_vgpr 82
		.amdhsa_next_free_sgpr 56
		.amdhsa_accum_offset 84
		.amdhsa_reserve_vcc 1
		.amdhsa_float_round_mode_32 0
		.amdhsa_float_round_mode_16_64 0
		.amdhsa_float_denorm_mode_32 3
		.amdhsa_float_denorm_mode_16_64 3
		.amdhsa_dx10_clamp 1
		.amdhsa_ieee_mode 1
		.amdhsa_fp16_overflow 0
		.amdhsa_tg_split 0
		.amdhsa_exception_fp_ieee_invalid_op 0
		.amdhsa_exception_fp_denorm_src 0
		.amdhsa_exception_fp_ieee_div_zero 0
		.amdhsa_exception_fp_ieee_overflow 0
		.amdhsa_exception_fp_ieee_underflow 0
		.amdhsa_exception_fp_ieee_inexact 0
		.amdhsa_exception_int_div_zero 0
	.end_amdhsa_kernel
	.section	.text._ZL30rocblas_trmm_outofplace_kernelI19rocblas_complex_numIfELi32ELi2ELb1ELb0ELb1ELb1EPKS1_S2_S1_Ev17rocblas_diagonal_iiT6_lPT7_lllS7_lllPT8_llli,"axG",@progbits,_ZL30rocblas_trmm_outofplace_kernelI19rocblas_complex_numIfELi32ELi2ELb1ELb0ELb1ELb1EPKS1_S2_S1_Ev17rocblas_diagonal_iiT6_lPT7_lllS7_lllPT8_llli,comdat
.Lfunc_end80:
	.size	_ZL30rocblas_trmm_outofplace_kernelI19rocblas_complex_numIfELi32ELi2ELb1ELb0ELb1ELb1EPKS1_S2_S1_Ev17rocblas_diagonal_iiT6_lPT7_lllS7_lllPT8_llli, .Lfunc_end80-_ZL30rocblas_trmm_outofplace_kernelI19rocblas_complex_numIfELi32ELi2ELb1ELb0ELb1ELb1EPKS1_S2_S1_Ev17rocblas_diagonal_iiT6_lPT7_lllS7_lllPT8_llli
                                        ; -- End function
	.set _ZL30rocblas_trmm_outofplace_kernelI19rocblas_complex_numIfELi32ELi2ELb1ELb0ELb1ELb1EPKS1_S2_S1_Ev17rocblas_diagonal_iiT6_lPT7_lllS7_lllPT8_llli.num_vgpr, 82
	.set _ZL30rocblas_trmm_outofplace_kernelI19rocblas_complex_numIfELi32ELi2ELb1ELb0ELb1ELb1EPKS1_S2_S1_Ev17rocblas_diagonal_iiT6_lPT7_lllS7_lllPT8_llli.num_agpr, 0
	.set _ZL30rocblas_trmm_outofplace_kernelI19rocblas_complex_numIfELi32ELi2ELb1ELb0ELb1ELb1EPKS1_S2_S1_Ev17rocblas_diagonal_iiT6_lPT7_lllS7_lllPT8_llli.numbered_sgpr, 56
	.set _ZL30rocblas_trmm_outofplace_kernelI19rocblas_complex_numIfELi32ELi2ELb1ELb0ELb1ELb1EPKS1_S2_S1_Ev17rocblas_diagonal_iiT6_lPT7_lllS7_lllPT8_llli.num_named_barrier, 0
	.set _ZL30rocblas_trmm_outofplace_kernelI19rocblas_complex_numIfELi32ELi2ELb1ELb0ELb1ELb1EPKS1_S2_S1_Ev17rocblas_diagonal_iiT6_lPT7_lllS7_lllPT8_llli.private_seg_size, 0
	.set _ZL30rocblas_trmm_outofplace_kernelI19rocblas_complex_numIfELi32ELi2ELb1ELb0ELb1ELb1EPKS1_S2_S1_Ev17rocblas_diagonal_iiT6_lPT7_lllS7_lllPT8_llli.uses_vcc, 1
	.set _ZL30rocblas_trmm_outofplace_kernelI19rocblas_complex_numIfELi32ELi2ELb1ELb0ELb1ELb1EPKS1_S2_S1_Ev17rocblas_diagonal_iiT6_lPT7_lllS7_lllPT8_llli.uses_flat_scratch, 0
	.set _ZL30rocblas_trmm_outofplace_kernelI19rocblas_complex_numIfELi32ELi2ELb1ELb0ELb1ELb1EPKS1_S2_S1_Ev17rocblas_diagonal_iiT6_lPT7_lllS7_lllPT8_llli.has_dyn_sized_stack, 0
	.set _ZL30rocblas_trmm_outofplace_kernelI19rocblas_complex_numIfELi32ELi2ELb1ELb0ELb1ELb1EPKS1_S2_S1_Ev17rocblas_diagonal_iiT6_lPT7_lllS7_lllPT8_llli.has_recursion, 0
	.set _ZL30rocblas_trmm_outofplace_kernelI19rocblas_complex_numIfELi32ELi2ELb1ELb0ELb1ELb1EPKS1_S2_S1_Ev17rocblas_diagonal_iiT6_lPT7_lllS7_lllPT8_llli.has_indirect_call, 0
	.section	.AMDGPU.csdata,"",@progbits
; Kernel info:
; codeLenInByte = 6360
; TotalNumSgprs: 62
; NumVgprs: 82
; NumAgprs: 0
; TotalNumVgprs: 82
; ScratchSize: 0
; MemoryBound: 0
; FloatMode: 240
; IeeeMode: 1
; LDSByteSize: 16384 bytes/workgroup (compile time only)
; SGPRBlocks: 7
; VGPRBlocks: 10
; NumSGPRsForWavesPerEU: 62
; NumVGPRsForWavesPerEU: 82
; AccumOffset: 84
; Occupancy: 5
; WaveLimiterHint : 0
; COMPUTE_PGM_RSRC2:SCRATCH_EN: 0
; COMPUTE_PGM_RSRC2:USER_SGPR: 2
; COMPUTE_PGM_RSRC2:TRAP_HANDLER: 0
; COMPUTE_PGM_RSRC2:TGID_X_EN: 1
; COMPUTE_PGM_RSRC2:TGID_Y_EN: 1
; COMPUTE_PGM_RSRC2:TGID_Z_EN: 1
; COMPUTE_PGM_RSRC2:TIDIG_COMP_CNT: 1
; COMPUTE_PGM_RSRC3_GFX90A:ACCUM_OFFSET: 20
; COMPUTE_PGM_RSRC3_GFX90A:TG_SPLIT: 0
	.section	.text._ZL30rocblas_trmm_outofplace_kernelI19rocblas_complex_numIfELi32ELi2ELb1ELb0ELb1ELb1ES1_KS1_S1_Ev17rocblas_diagonal_iiT6_lPT7_lllS6_lllPT8_llli,"axG",@progbits,_ZL30rocblas_trmm_outofplace_kernelI19rocblas_complex_numIfELi32ELi2ELb1ELb0ELb1ELb1ES1_KS1_S1_Ev17rocblas_diagonal_iiT6_lPT7_lllS6_lllPT8_llli,comdat
	.globl	_ZL30rocblas_trmm_outofplace_kernelI19rocblas_complex_numIfELi32ELi2ELb1ELb0ELb1ELb1ES1_KS1_S1_Ev17rocblas_diagonal_iiT6_lPT7_lllS6_lllPT8_llli ; -- Begin function _ZL30rocblas_trmm_outofplace_kernelI19rocblas_complex_numIfELi32ELi2ELb1ELb0ELb1ELb1ES1_KS1_S1_Ev17rocblas_diagonal_iiT6_lPT7_lllS6_lllPT8_llli
	.p2align	8
	.type	_ZL30rocblas_trmm_outofplace_kernelI19rocblas_complex_numIfELi32ELi2ELb1ELb0ELb1ELb1ES1_KS1_S1_Ev17rocblas_diagonal_iiT6_lPT7_lllS6_lllPT8_llli,@function
_ZL30rocblas_trmm_outofplace_kernelI19rocblas_complex_numIfELi32ELi2ELb1ELb0ELb1ELb1ES1_KS1_S1_Ev17rocblas_diagonal_iiT6_lPT7_lllS6_lllPT8_llli: ; @_ZL30rocblas_trmm_outofplace_kernelI19rocblas_complex_numIfELi32ELi2ELb1ELb0ELb1ELb1ES1_KS1_S1_Ev17rocblas_diagonal_iiT6_lPT7_lllS6_lllPT8_llli
; %bb.0:
	s_load_dwordx4 s[24:27], s[0:1], 0x0
	s_load_dword s29, s[0:1], 0x10
	s_waitcnt lgkmcnt(0)
	s_or_b32 s5, s27, s29
	s_bitset0_b32 s5, 31
	s_cmp_eq_u32 s5, 0
	s_cbranch_scc1 .LBB81_60
; %bb.1:
	s_add_i32 s5, s26, -1
	s_ashr_i32 s6, s5, 31
	s_lshr_b32 s6, s6, 27
	s_add_i32 s5, s5, s6
	s_ashr_i32 s33, s5, 5
	s_cmp_gt_i32 s3, s33
	s_cbranch_scc1 .LBB81_60
; %bb.2:
	s_load_dwordx16 s[36:51], s[0:1], 0x20
	s_load_dwordx8 s[16:23], s[0:1], 0x60
	v_bfe_u32 v47, v0, 10, 10
	v_and_b32_e32 v4, 0x3ff, v0
	v_lshlrev_b32_e32 v49, 3, v4
	s_waitcnt lgkmcnt(0)
	s_mul_i32 s5, s43, s4
	s_mul_hi_u32 s6, s42, s4
	s_add_i32 s7, s6, s5
	s_mul_i32 s6, s42, s4
	s_lshl_b64 s[8:9], s[6:7], 3
	s_add_u32 s5, s36, s8
	s_addc_u32 s7, s37, s9
	s_lshl_b64 s[10:11], s[38:39], 3
	s_add_u32 s6, s5, s10
	s_mul_i32 s5, s23, s4
	s_mul_hi_u32 s12, s22, s4
	s_addc_u32 s7, s7, s11
	s_add_i32 s13, s12, s5
	s_mul_i32 s12, s22, s4
	s_lshl_b64 s[12:13], s[12:13], 3
	s_add_u32 s5, s16, s12
	s_addc_u32 s14, s17, s13
	s_lshl_b64 s[12:13], s[18:19], 3
	s_add_u32 s22, s5, s12
	s_addc_u32 s23, s14, s13
	s_lshl_b32 s2, s2, 5
	v_add_u32_e32 v12, s2, v47
	v_add_u32_e32 v14, s2, v4
	s_sub_i32 s2, s25, s2
	v_mad_u64_u32 v[0:1], s[12:13], s40, v14, 0
	s_cmp_gt_i32 s2, 0
	v_ashrrev_i32_e32 v15, 31, v14
	s_cselect_b64 s[12:13], -1, 0
	s_cmpk_eq_i32 s24, 0x84
	v_mul_lo_u32 v2, s40, v15
	v_mul_lo_u32 v3, s41, v14
	s_cselect_b64 s[30:31], -1, 0
	s_ashr_i32 s35, s25, 31
	s_ashr_i32 s52, s26, 31
	v_ashrrev_i32_e32 v13, 31, v12
	v_add3_u32 v1, v1, v2, v3
	s_add_u32 s38, s25, -16
	v_lshl_add_u64 v[0:1], v[0:1], 3, s[6:7]
	v_lshlrev_b64 v[2:3], 3, v[12:13]
	s_addc_u32 s39, s35, -1
	v_lshl_add_u64 v[16:17], v[0:1], 0, v[2:3]
	v_lshlrev_b32_e32 v0, 8, v47
	s_add_u32 s8, s10, s8
	v_add_u32_e32 v51, v49, v0
	v_add_u32_e32 v53, 0x2000, v0
	v_lshlrev_b64 v[0:1], 3, v[14:15]
	s_mov_b64 s[14:15], 0x80
	s_addc_u32 s9, s11, s9
	v_lshl_add_u64 v[4:5], v[0:1], 0, s[14:15]
	v_mov_b64_e32 v[6:7], s[8:9]
	v_mul_lo_u32 v8, s40, v5
	v_mul_lo_u32 v9, s41, v4
	v_mad_u64_u32 v[4:5], s[8:9], s40, v4, v[6:7]
	s_mul_i32 s5, s51, s4
	s_mul_hi_u32 s8, s50, s4
	s_add_i32 s5, s8, s5
	s_mul_i32 s4, s50, s4
	s_lshl_b64 s[4:5], s[4:5], 3
	s_lshl_b64 s[8:9], s[46:47], 3
	s_load_dword s54, s[0:1], 0x8c
	s_add_u32 s4, s4, s8
	s_addc_u32 s5, s5, s9
	s_add_u32 s4, s44, s4
	v_sub_co_u32_e32 v22, vcc, v14, v12
	v_add3_u32 v5, v9, v5, v8
	s_addc_u32 s5, s45, s5
	s_mov_b32 s34, s25
	v_lshl_add_u64 v[18:19], v[14:15], 0, 16
	v_add_u32_e32 v20, 16, v14
	v_subb_co_u32_e32 v23, vcc, v15, v13, vcc
	v_lshl_add_u64 v[2:3], v[4:5], 0, v[2:3]
	v_lshl_add_u64 v[30:31], s[4:5], 0, v[0:1]
	v_cndmask_b32_e64 v0, 0, 1, s[12:13]
	v_mov_b32_e32 v36, 0
	s_mov_b32 s28, s27
	s_mov_b32 s53, s26
	v_add_u32_e32 v55, v53, v49
	v_cmp_le_i32_e64 s[0:1], s25, v14
	v_cmp_le_i64_e64 s[16:17], s[34:35], v[18:19]
	v_cmp_gt_i32_e64 s[18:19], s25, v14
	v_cmp_gt_i32_e64 s[6:7], s25, v20
	v_ashrrev_i32_e32 v21, 31, v20
	s_mov_b32 s24, s29
	s_mov_b32 s25, s27
	v_lshl_add_u64 v[24:25], v[22:23], 0, 16
	v_lshl_add_u64 v[26:27], v[22:23], 0, -16
	v_lshl_add_u64 v[28:29], s[36:37], 0, v[2:3]
	s_lshl_b64 s[36:37], s[48:49], 3
	v_lshl_add_u32 v32, s3, 5, v47
	s_waitcnt lgkmcnt(0)
	s_lshl_b32 s27, s54, 5
	v_cmp_ne_u32_e64 s[8:9], 1, v0
	v_mov_b64_e32 v[34:35], 0x80
	v_mov_b32_e32 v37, v36
	v_mov_b32_e32 v38, 1.0
	v_mov_b32_e32 v39, v36
	v_add_u32_e32 v57, 0x800, v49
	v_add_u32_e32 v59, 0x1000, v49
	;; [unrolled: 1-line block ×3, first 2 shown]
	s_branch .LBB81_4
.LBB81_3:                               ;   in Loop: Header=BB81_4 Depth=1
	s_or_b64 exec, exec, s[4:5]
	s_add_i32 s3, s54, s3
	s_cmp_le_i32 s3, s33
	v_add_u32_e32 v32, s27, v32
	s_cbranch_scc0 .LBB81_60
.LBB81_4:                               ; =>This Loop Header: Depth=1
                                        ;     Child Loop BB81_7 Depth 2
	v_lshl_add_u32 v40, s3, 5, v47
	s_and_b64 vcc, exec, s[8:9]
	v_ashrrev_i32_e32 v41, 31, v40
	s_cbranch_vccnz .LBB81_51
; %bb.5:                                ;   in Loop: Header=BB81_4 Depth=1
	v_ashrrev_i32_e32 v33, 31, v32
	v_mad_u64_u32 v[42:43], s[4:5], s36, v32, v[30:31]
	v_mul_lo_u32 v0, s37, v32
	v_mul_lo_u32 v1, s36, v33
	v_add3_u32 v43, v0, v43, v1
	v_lshl_add_u64 v[0:1], v[32:33], 3, v[34:35]
	v_mul_lo_u32 v1, s48, v1
	v_mul_lo_u32 v2, s49, v0
	v_mad_u64_u32 v[44:45], s[4:5], s48, v0, v[30:31]
	v_add3_u32 v45, v2, v45, v1
	v_mov_b32_e32 v1, s52
	v_sub_co_u32_e32 v0, vcc, s53, v40
	s_mov_b64 s[40:41], 0
	s_nop 0
	v_subb_co_u32_e32 v1, vcc, v1, v41, vcc
	v_cmp_lt_i64_e32 vcc, 0, v[0:1]
	v_cmp_lt_i64_e64 s[10:11], 16, v[0:1]
	v_mov_b32_e32 v46, 0
	s_mov_b64 s[42:43], 0
	v_mov_b32_e32 v48, 0
	v_mov_b32_e32 v52, 0
	;; [unrolled: 1-line block ×7, first 2 shown]
	s_branch .LBB81_7
.LBB81_6:                               ;   in Loop: Header=BB81_7 Depth=2
	s_or_b64 exec, exec, s[4:5]
	s_waitcnt lgkmcnt(0)
	s_barrier
	ds_read2_b64 v[62:65], v49 offset1:16
	ds_read_b128 v[66:69], v53
	ds_read_b128 v[8:11], v53 offset:16
	ds_read_b128 v[4:7], v53 offset:32
	;; [unrolled: 1-line block ×3, first 2 shown]
	ds_read2_b64 v[78:81], v49 offset0:32 offset1:48
	s_waitcnt lgkmcnt(4)
	v_mul_f32_e32 v33, v67, v63
	v_mul_f32_e32 v70, v66, v63
	v_fma_f32 v33, v66, v62, -v33
	v_fmac_f32_e32 v70, v67, v62
	v_add_f32_e32 v33, v58, v33
	v_add_f32_e32 v58, v60, v70
	ds_read_b128 v[70:73], v53 offset:4096
	ds_read_b128 v[74:77], v53 offset:4112
	v_mul_f32_e32 v60, v67, v65
	v_fma_f32 v60, v66, v64, -v60
	v_add_f32_e32 v54, v54, v60
	s_waitcnt lgkmcnt(1)
	v_mul_f32_e32 v60, v71, v63
	v_mul_f32_e32 v63, v70, v63
	v_fma_f32 v60, v70, v62, -v60
	v_fmac_f32_e32 v63, v71, v62
	v_mul_f32_e32 v62, v70, v65
	v_fmac_f32_e32 v62, v71, v64
	v_add_f32_e32 v46, v46, v62
	v_mul_f32_e32 v62, v68, v79
	v_mul_f32_e32 v66, v66, v65
	v_add_f32_e32 v50, v50, v60
	v_mul_f32_e32 v60, v71, v65
	v_fmac_f32_e32 v62, v69, v78
	v_fmac_f32_e32 v66, v67, v64
	v_fma_f32 v60, v70, v64, -v60
	v_add_f32_e32 v58, v58, v62
	v_mul_f32_e32 v62, v68, v81
	v_add_f32_e32 v56, v56, v66
	v_add_f32_e32 v48, v48, v60
	v_mul_f32_e32 v60, v69, v79
	v_fmac_f32_e32 v62, v69, v80
	v_fma_f32 v60, v68, v78, -v60
	v_add_f32_e32 v56, v56, v62
	v_mul_f32_e32 v62, v72, v79
	v_add_f32_e32 v52, v52, v63
	v_add_f32_e32 v33, v33, v60
	v_mul_f32_e32 v60, v69, v81
	v_fmac_f32_e32 v62, v73, v78
	v_fma_f32 v60, v68, v80, -v60
	v_add_f32_e32 v52, v52, v62
	ds_read2_b64 v[62:65], v49 offset0:64 offset1:80
	v_add_f32_e32 v54, v54, v60
	v_mul_f32_e32 v60, v73, v79
	v_fma_f32 v60, v72, v78, -v60
	v_add_f32_e32 v50, v50, v60
	v_mul_f32_e32 v60, v73, v81
	v_fma_f32 v60, v72, v80, -v60
	v_mul_f32_e32 v66, v72, v81
	v_add_f32_e32 v48, v48, v60
	s_waitcnt lgkmcnt(0)
	v_mul_f32_e32 v60, v9, v63
	v_fmac_f32_e32 v66, v73, v80
	v_fma_f32 v60, v8, v62, -v60
	v_add_f32_e32 v46, v46, v66
	v_mul_f32_e32 v66, v8, v63
	v_add_f32_e32 v33, v33, v60
	v_mul_f32_e32 v60, v9, v65
	v_fmac_f32_e32 v66, v9, v62
	v_fma_f32 v60, v8, v64, -v60
	v_mul_f32_e32 v8, v8, v65
	v_add_f32_e32 v58, v58, v66
	v_fmac_f32_e32 v8, v9, v64
	ds_read2_b64 v[66:69], v49 offset0:96 offset1:112
	v_add_f32_e32 v9, v54, v60
	v_add_f32_e32 v8, v56, v8
	v_mul_f32_e32 v54, v75, v63
	v_mul_f32_e32 v56, v74, v63
	v_fma_f32 v54, v74, v62, -v54
	v_fmac_f32_e32 v56, v75, v62
	v_add_f32_e32 v50, v50, v54
	v_add_f32_e32 v52, v52, v56
	v_mul_f32_e32 v54, v75, v65
	v_mul_f32_e32 v56, v74, v65
	v_fma_f32 v54, v74, v64, -v54
	v_fmac_f32_e32 v56, v75, v64
	v_add_f32_e32 v48, v48, v54
	v_add_f32_e32 v46, v46, v56
	s_waitcnt lgkmcnt(0)
	v_mul_f32_e32 v54, v11, v67
	v_mul_f32_e32 v56, v10, v67
	v_fma_f32 v54, v10, v66, -v54
	v_fmac_f32_e32 v56, v11, v66
	v_add_f32_e32 v33, v33, v54
	v_add_f32_e32 v54, v58, v56
	v_mul_f32_e32 v56, v11, v69
	v_fma_f32 v56, v10, v68, -v56
	v_mul_f32_e32 v10, v10, v69
	v_fmac_f32_e32 v10, v11, v68
	v_add_f32_e32 v58, v8, v10
	v_mul_f32_e32 v8, v77, v67
	v_add_f32_e32 v56, v9, v56
	v_fma_f32 v8, v76, v66, -v8
	v_mul_f32_e32 v9, v76, v67
	v_fmac_f32_e32 v9, v77, v66
	v_add_f32_e32 v50, v50, v8
	v_mul_f32_e32 v8, v77, v69
	v_add_f32_e32 v52, v52, v9
	v_fma_f32 v60, v76, v68, -v8
	ds_read2_b64 v[8:11], v49 offset0:128 offset1:144
	v_mul_f32_e32 v62, v76, v69
	v_fmac_f32_e32 v62, v77, v68
	v_add_f32_e32 v46, v46, v62
	v_add_f32_e32 v48, v48, v60
	s_waitcnt lgkmcnt(0)
	v_mul_f32_e32 v62, v4, v9
	v_fmac_f32_e32 v62, v5, v8
	v_add_f32_e32 v54, v54, v62
	ds_read_b128 v[62:65], v53 offset:4128
	ds_read_b128 v[66:69], v53 offset:4144
	v_mul_f32_e32 v60, v5, v9
	v_fma_f32 v60, v4, v8, -v60
	v_add_f32_e32 v33, v33, v60
	v_mul_f32_e32 v60, v5, v11
	v_fma_f32 v60, v4, v10, -v60
	v_mul_f32_e32 v4, v4, v11
	ds_read2_b64 v[70:73], v49 offset0:160 offset1:176
	v_fmac_f32_e32 v4, v5, v10
	v_add_f32_e32 v5, v56, v60
	s_waitcnt lgkmcnt(2)
	v_mul_f32_e32 v56, v63, v9
	v_fma_f32 v56, v62, v8, -v56
	v_mul_f32_e32 v9, v62, v9
	v_fmac_f32_e32 v9, v63, v8
	v_add_f32_e32 v8, v50, v56
	v_mul_f32_e32 v50, v63, v11
	v_mul_f32_e32 v11, v62, v11
	v_fma_f32 v50, v62, v10, -v50
	v_fmac_f32_e32 v11, v63, v10
	v_add_f32_e32 v10, v48, v50
	v_add_f32_e32 v11, v46, v11
	s_waitcnt lgkmcnt(0)
	v_mul_f32_e32 v46, v7, v71
	v_mul_f32_e32 v48, v6, v71
	v_fma_f32 v46, v6, v70, -v46
	v_fmac_f32_e32 v48, v7, v70
	v_add_f32_e32 v33, v33, v46
	v_add_f32_e32 v46, v54, v48
	v_mul_f32_e32 v48, v7, v73
	v_fma_f32 v48, v6, v72, -v48
	v_mul_f32_e32 v6, v6, v73
	v_add_f32_e32 v4, v58, v4
	v_fmac_f32_e32 v6, v7, v72
	v_add_f32_e32 v50, v4, v6
	v_mul_f32_e32 v4, v65, v71
	v_add_f32_e32 v48, v5, v48
	v_fma_f32 v4, v64, v70, -v4
	v_mul_f32_e32 v5, v64, v71
	v_add_f32_e32 v9, v52, v9
	v_fmac_f32_e32 v5, v65, v70
	v_add_f32_e32 v8, v8, v4
	v_mul_f32_e32 v4, v65, v73
	v_add_f32_e32 v9, v9, v5
	v_fma_f32 v52, v64, v72, -v4
	ds_read2_b64 v[4:7], v49 offset0:192 offset1:208
	v_add_f32_e32 v52, v10, v52
	v_mul_f32_e32 v54, v64, v73
	v_fmac_f32_e32 v54, v65, v72
	v_add_f32_e32 v54, v11, v54
	s_waitcnt lgkmcnt(0)
	v_mul_f32_e32 v10, v1, v5
	v_fma_f32 v10, v0, v4, -v10
	v_add_f32_e32 v33, v33, v10
	v_mul_f32_e32 v10, v1, v7
	v_mul_f32_e32 v11, v0, v5
	v_fma_f32 v10, v0, v6, -v10
	v_mul_f32_e32 v0, v0, v7
	v_fmac_f32_e32 v11, v1, v4
	v_fmac_f32_e32 v0, v1, v6
	v_add_f32_e32 v1, v48, v10
	v_mul_f32_e32 v10, v67, v5
	v_fma_f32 v10, v66, v4, -v10
	v_mul_f32_e32 v5, v66, v5
	v_fmac_f32_e32 v5, v67, v4
	v_add_f32_e32 v4, v8, v10
	v_mul_f32_e32 v8, v67, v7
	v_add_f32_e32 v46, v46, v11
	v_add_f32_e32 v5, v9, v5
	v_fma_f32 v48, v66, v6, -v8
	ds_read2_b64 v[8:11], v49 offset0:224 offset1:240
	v_mul_f32_e32 v7, v66, v7
	v_fmac_f32_e32 v7, v67, v6
	v_add_f32_e32 v0, v50, v0
	v_add_f32_e32 v50, v54, v7
	s_waitcnt lgkmcnt(0)
	v_mul_f32_e32 v6, v3, v9
	v_fma_f32 v6, v2, v8, -v6
	v_add_f32_e32 v33, v33, v6
	v_mul_f32_e32 v6, v3, v11
	v_mul_f32_e32 v7, v2, v9
	v_fma_f32 v6, v2, v10, -v6
	v_mul_f32_e32 v2, v2, v11
	v_fmac_f32_e32 v2, v3, v10
	v_add_f32_e32 v54, v0, v2
	v_mul_f32_e32 v0, v69, v9
	v_add_f32_e32 v48, v52, v48
	v_add_f32_e32 v52, v1, v6
	v_fma_f32 v0, v68, v8, -v0
	v_mul_f32_e32 v1, v68, v9
	v_fmac_f32_e32 v7, v3, v8
	v_fmac_f32_e32 v1, v69, v8
	v_add_f32_e32 v56, v4, v0
	v_mul_f32_e32 v0, v69, v11
	v_add_f32_e32 v46, v46, v7
	v_add_f32_e32 v58, v5, v1
	v_fma_f32 v8, v68, v10, -v0
	ds_read_b128 v[0:3], v53 offset:64
	ds_read2_b64 v[4:7], v57 offset1:16
	v_mul_f32_e32 v9, v68, v11
	v_fmac_f32_e32 v9, v69, v10
	v_add_f32_e32 v48, v48, v8
	v_add_f32_e32 v50, v50, v9
	s_waitcnt lgkmcnt(0)
	v_mul_f32_e32 v62, v0, v5
	v_fmac_f32_e32 v62, v1, v4
	ds_read_b128 v[8:11], v53 offset:80
	v_add_f32_e32 v46, v46, v62
	ds_read_b128 v[62:65], v53 offset:4160
	v_mul_f32_e32 v60, v1, v5
	v_fma_f32 v60, v0, v4, -v60
	v_add_f32_e32 v33, v33, v60
	v_mul_f32_e32 v60, v1, v7
	v_fma_f32 v60, v0, v6, -v60
	v_mul_f32_e32 v0, v0, v7
	ds_read2_b64 v[70:73], v57 offset0:32 offset1:48
	v_fmac_f32_e32 v0, v1, v6
	v_add_f32_e32 v1, v52, v60
	s_waitcnt lgkmcnt(1)
	v_mul_f32_e32 v52, v63, v5
	v_fma_f32 v52, v62, v4, -v52
	v_mul_f32_e32 v5, v62, v5
	v_fmac_f32_e32 v5, v63, v4
	v_add_f32_e32 v4, v56, v52
	v_mul_f32_e32 v52, v63, v7
	v_fma_f32 v52, v62, v6, -v52
	v_mul_f32_e32 v7, v62, v7
	v_fmac_f32_e32 v7, v63, v6
	v_add_f32_e32 v6, v48, v52
	s_waitcnt lgkmcnt(0)
	v_mul_f32_e32 v48, v3, v71
	v_fma_f32 v48, v2, v70, -v48
	v_add_f32_e32 v33, v33, v48
	v_mul_f32_e32 v48, v3, v73
	v_add_f32_e32 v7, v50, v7
	v_mul_f32_e32 v50, v2, v71
	v_fma_f32 v48, v2, v72, -v48
	v_mul_f32_e32 v2, v2, v73
	v_add_f32_e32 v0, v54, v0
	v_fmac_f32_e32 v50, v3, v70
	v_fmac_f32_e32 v2, v3, v72
	v_add_f32_e32 v46, v46, v50
	v_add_f32_e32 v50, v0, v2
	v_mul_f32_e32 v0, v65, v71
	v_add_f32_e32 v48, v1, v48
	v_fma_f32 v0, v64, v70, -v0
	v_mul_f32_e32 v1, v64, v71
	v_add_f32_e32 v5, v58, v5
	v_fmac_f32_e32 v1, v65, v70
	v_add_f32_e32 v4, v4, v0
	v_mul_f32_e32 v0, v65, v73
	v_add_f32_e32 v5, v5, v1
	v_fma_f32 v52, v64, v72, -v0
	ds_read2_b64 v[0:3], v57 offset0:64 offset1:80
	ds_read_b128 v[66:69], v53 offset:4176
	v_mul_f32_e32 v54, v64, v73
	v_add_f32_e32 v52, v6, v52
	v_fmac_f32_e32 v54, v65, v72
	s_waitcnt lgkmcnt(1)
	v_mul_f32_e32 v6, v9, v1
	v_fma_f32 v6, v8, v0, -v6
	v_add_f32_e32 v54, v7, v54
	v_mul_f32_e32 v7, v8, v1
	v_add_f32_e32 v33, v33, v6
	v_mul_f32_e32 v6, v9, v3
	v_fmac_f32_e32 v7, v9, v0
	v_fma_f32 v6, v8, v2, -v6
	v_add_f32_e32 v46, v46, v7
	v_mul_f32_e32 v7, v8, v3
	v_add_f32_e32 v8, v48, v6
	s_waitcnt lgkmcnt(0)
	v_mul_f32_e32 v6, v67, v1
	v_fma_f32 v6, v66, v0, -v6
	v_mul_f32_e32 v1, v66, v1
	v_fmac_f32_e32 v7, v9, v2
	v_fmac_f32_e32 v1, v67, v0
	v_add_f32_e32 v0, v4, v6
	v_mul_f32_e32 v4, v67, v3
	v_add_f32_e32 v9, v50, v7
	v_add_f32_e32 v1, v5, v1
	v_fma_f32 v48, v66, v2, -v4
	ds_read2_b64 v[4:7], v57 offset0:96 offset1:112
	v_mul_f32_e32 v3, v66, v3
	v_fmac_f32_e32 v3, v67, v2
	v_add_f32_e32 v50, v54, v3
	v_add_f32_e32 v48, v52, v48
	s_waitcnt lgkmcnt(0)
	v_mul_f32_e32 v2, v11, v5
	v_fma_f32 v2, v10, v4, -v2
	v_mul_f32_e32 v3, v10, v5
	v_fmac_f32_e32 v3, v11, v4
	v_add_f32_e32 v33, v33, v2
	v_mul_f32_e32 v2, v11, v7
	v_add_f32_e32 v46, v46, v3
	v_fma_f32 v2, v10, v6, -v2
	v_mul_f32_e32 v3, v10, v7
	v_fmac_f32_e32 v3, v11, v6
	v_add_f32_e32 v52, v8, v2
	v_mul_f32_e32 v2, v69, v5
	v_add_f32_e32 v54, v9, v3
	v_fma_f32 v2, v68, v4, -v2
	v_mul_f32_e32 v3, v68, v5
	v_fmac_f32_e32 v3, v69, v4
	v_add_f32_e32 v56, v0, v2
	v_mul_f32_e32 v0, v69, v7
	v_add_f32_e32 v58, v1, v3
	v_fma_f32 v4, v68, v6, -v0
	ds_read_b128 v[0:3], v53 offset:96
	ds_read2_b64 v[8:11], v57 offset0:128 offset1:144
	v_mul_f32_e32 v5, v68, v7
	v_fmac_f32_e32 v5, v69, v6
	v_add_f32_e32 v48, v48, v4
	v_add_f32_e32 v50, v50, v5
	s_waitcnt lgkmcnt(0)
	v_mul_f32_e32 v62, v0, v9
	v_fmac_f32_e32 v62, v1, v8
	ds_read_b128 v[4:7], v53 offset:112
	v_add_f32_e32 v46, v46, v62
	ds_read_b128 v[62:65], v53 offset:4192
	v_mul_f32_e32 v60, v1, v9
	v_fma_f32 v60, v0, v8, -v60
	v_add_f32_e32 v33, v33, v60
	v_mul_f32_e32 v60, v1, v11
	v_fma_f32 v60, v0, v10, -v60
	v_mul_f32_e32 v0, v0, v11
	ds_read2_b64 v[70:73], v57 offset0:160 offset1:176
	v_fmac_f32_e32 v0, v1, v10
	v_add_f32_e32 v1, v52, v60
	s_waitcnt lgkmcnt(1)
	v_mul_f32_e32 v52, v63, v9
	v_fma_f32 v52, v62, v8, -v52
	v_mul_f32_e32 v9, v62, v9
	v_fmac_f32_e32 v9, v63, v8
	v_add_f32_e32 v8, v56, v52
	v_mul_f32_e32 v52, v63, v11
	v_fma_f32 v52, v62, v10, -v52
	v_mul_f32_e32 v11, v62, v11
	v_fmac_f32_e32 v11, v63, v10
	v_add_f32_e32 v10, v48, v52
	s_waitcnt lgkmcnt(0)
	v_mul_f32_e32 v48, v3, v71
	v_fma_f32 v48, v2, v70, -v48
	v_add_f32_e32 v33, v33, v48
	v_mul_f32_e32 v48, v3, v73
	v_add_f32_e32 v11, v50, v11
	v_mul_f32_e32 v50, v2, v71
	v_fma_f32 v48, v2, v72, -v48
	v_mul_f32_e32 v2, v2, v73
	v_add_f32_e32 v0, v54, v0
	v_fmac_f32_e32 v50, v3, v70
	v_fmac_f32_e32 v2, v3, v72
	v_add_f32_e32 v46, v46, v50
	v_add_f32_e32 v50, v0, v2
	v_mul_f32_e32 v0, v65, v71
	v_add_f32_e32 v48, v1, v48
	v_fma_f32 v0, v64, v70, -v0
	v_mul_f32_e32 v1, v64, v71
	v_add_f32_e32 v9, v58, v9
	v_fmac_f32_e32 v1, v65, v70
	v_add_f32_e32 v8, v8, v0
	v_mul_f32_e32 v0, v65, v73
	v_add_f32_e32 v9, v9, v1
	v_fma_f32 v52, v64, v72, -v0
	ds_read2_b64 v[0:3], v57 offset0:192 offset1:208
	ds_read_b128 v[66:69], v53 offset:4208
	v_add_f32_e32 v52, v10, v52
	v_mul_f32_e32 v54, v64, v73
	v_fmac_f32_e32 v54, v65, v72
	s_waitcnt lgkmcnt(1)
	v_mul_f32_e32 v10, v5, v1
	v_fma_f32 v10, v4, v0, -v10
	v_add_f32_e32 v33, v33, v10
	v_mul_f32_e32 v10, v5, v3
	v_add_f32_e32 v54, v11, v54
	v_mul_f32_e32 v11, v4, v1
	v_fma_f32 v10, v4, v2, -v10
	v_mul_f32_e32 v4, v4, v3
	v_fmac_f32_e32 v11, v5, v0
	v_fmac_f32_e32 v4, v5, v2
	v_add_f32_e32 v5, v48, v10
	s_waitcnt lgkmcnt(0)
	v_mul_f32_e32 v10, v67, v1
	v_fma_f32 v10, v66, v0, -v10
	v_mul_f32_e32 v1, v66, v1
	v_fmac_f32_e32 v1, v67, v0
	v_add_f32_e32 v0, v8, v10
	v_mul_f32_e32 v8, v67, v3
	v_add_f32_e32 v46, v46, v11
	v_add_f32_e32 v1, v9, v1
	v_fma_f32 v48, v66, v2, -v8
	ds_read2_b64 v[8:11], v57 offset0:224 offset1:240
	v_mul_f32_e32 v3, v66, v3
	v_fmac_f32_e32 v3, v67, v2
	v_add_f32_e32 v4, v50, v4
	v_add_f32_e32 v50, v54, v3
	s_waitcnt lgkmcnt(0)
	v_mul_f32_e32 v2, v7, v9
	v_fma_f32 v2, v6, v8, -v2
	v_mul_f32_e32 v3, v6, v9
	v_fmac_f32_e32 v3, v7, v8
	v_add_f32_e32 v33, v33, v2
	v_mul_f32_e32 v2, v7, v11
	v_add_f32_e32 v46, v46, v3
	v_fma_f32 v2, v6, v10, -v2
	v_mul_f32_e32 v3, v6, v11
	v_add_f32_e32 v48, v52, v48
	v_fmac_f32_e32 v3, v7, v10
	v_add_f32_e32 v52, v5, v2
	v_mul_f32_e32 v2, v69, v9
	v_add_f32_e32 v54, v4, v3
	v_fma_f32 v2, v68, v8, -v2
	v_mul_f32_e32 v3, v68, v9
	v_fmac_f32_e32 v3, v69, v8
	v_add_f32_e32 v56, v0, v2
	v_mul_f32_e32 v0, v69, v11
	v_add_f32_e32 v58, v1, v3
	v_fma_f32 v8, v68, v10, -v0
	ds_read_b128 v[0:3], v53 offset:128
	ds_read2_b64 v[4:7], v59 offset1:16
	v_mul_f32_e32 v9, v68, v11
	v_fmac_f32_e32 v9, v69, v10
	v_add_f32_e32 v48, v48, v8
	v_add_f32_e32 v50, v50, v9
	s_waitcnt lgkmcnt(0)
	v_mul_f32_e32 v62, v0, v5
	v_fmac_f32_e32 v62, v1, v4
	ds_read_b128 v[8:11], v53 offset:144
	v_add_f32_e32 v46, v46, v62
	ds_read_b128 v[62:65], v53 offset:4224
	v_mul_f32_e32 v60, v1, v5
	v_fma_f32 v60, v0, v4, -v60
	v_add_f32_e32 v33, v33, v60
	v_mul_f32_e32 v60, v1, v7
	v_fma_f32 v60, v0, v6, -v60
	v_mul_f32_e32 v0, v0, v7
	ds_read2_b64 v[70:73], v59 offset0:32 offset1:48
	v_fmac_f32_e32 v0, v1, v6
	v_add_f32_e32 v1, v52, v60
	s_waitcnt lgkmcnt(1)
	v_mul_f32_e32 v52, v63, v5
	v_fma_f32 v52, v62, v4, -v52
	v_mul_f32_e32 v5, v62, v5
	v_fmac_f32_e32 v5, v63, v4
	v_add_f32_e32 v4, v56, v52
	v_mul_f32_e32 v52, v63, v7
	v_fma_f32 v52, v62, v6, -v52
	v_mul_f32_e32 v7, v62, v7
	v_fmac_f32_e32 v7, v63, v6
	v_add_f32_e32 v6, v48, v52
	s_waitcnt lgkmcnt(0)
	v_mul_f32_e32 v48, v3, v71
	v_fma_f32 v48, v2, v70, -v48
	v_add_f32_e32 v33, v33, v48
	v_mul_f32_e32 v48, v3, v73
	v_add_f32_e32 v7, v50, v7
	v_mul_f32_e32 v50, v2, v71
	v_fma_f32 v48, v2, v72, -v48
	v_mul_f32_e32 v2, v2, v73
	v_add_f32_e32 v0, v54, v0
	v_fmac_f32_e32 v50, v3, v70
	v_fmac_f32_e32 v2, v3, v72
	v_add_f32_e32 v46, v46, v50
	v_add_f32_e32 v50, v0, v2
	v_mul_f32_e32 v0, v65, v71
	v_add_f32_e32 v48, v1, v48
	v_fma_f32 v0, v64, v70, -v0
	v_mul_f32_e32 v1, v64, v71
	v_add_f32_e32 v5, v58, v5
	v_fmac_f32_e32 v1, v65, v70
	v_add_f32_e32 v4, v4, v0
	v_mul_f32_e32 v0, v65, v73
	v_add_f32_e32 v5, v5, v1
	v_fma_f32 v52, v64, v72, -v0
	ds_read2_b64 v[0:3], v59 offset0:64 offset1:80
	ds_read_b128 v[66:69], v53 offset:4240
	v_mul_f32_e32 v54, v64, v73
	v_add_f32_e32 v52, v6, v52
	v_fmac_f32_e32 v54, v65, v72
	s_waitcnt lgkmcnt(1)
	v_mul_f32_e32 v6, v9, v1
	v_fma_f32 v6, v8, v0, -v6
	v_add_f32_e32 v54, v7, v54
	v_mul_f32_e32 v7, v8, v1
	v_add_f32_e32 v33, v33, v6
	v_mul_f32_e32 v6, v9, v3
	v_fmac_f32_e32 v7, v9, v0
	v_fma_f32 v6, v8, v2, -v6
	v_add_f32_e32 v46, v46, v7
	v_mul_f32_e32 v7, v8, v3
	v_add_f32_e32 v8, v48, v6
	s_waitcnt lgkmcnt(0)
	v_mul_f32_e32 v6, v67, v1
	v_fma_f32 v6, v66, v0, -v6
	v_mul_f32_e32 v1, v66, v1
	v_fmac_f32_e32 v7, v9, v2
	v_fmac_f32_e32 v1, v67, v0
	v_add_f32_e32 v0, v4, v6
	v_mul_f32_e32 v4, v67, v3
	v_add_f32_e32 v9, v50, v7
	v_add_f32_e32 v1, v5, v1
	v_fma_f32 v48, v66, v2, -v4
	ds_read2_b64 v[4:7], v59 offset0:96 offset1:112
	v_mul_f32_e32 v3, v66, v3
	v_fmac_f32_e32 v3, v67, v2
	v_add_f32_e32 v50, v54, v3
	v_add_f32_e32 v48, v52, v48
	s_waitcnt lgkmcnt(0)
	v_mul_f32_e32 v2, v11, v5
	v_fma_f32 v2, v10, v4, -v2
	v_mul_f32_e32 v3, v10, v5
	v_fmac_f32_e32 v3, v11, v4
	v_add_f32_e32 v33, v33, v2
	v_mul_f32_e32 v2, v11, v7
	v_add_f32_e32 v46, v46, v3
	v_fma_f32 v2, v10, v6, -v2
	v_mul_f32_e32 v3, v10, v7
	v_fmac_f32_e32 v3, v11, v6
	v_add_f32_e32 v52, v8, v2
	v_mul_f32_e32 v2, v69, v5
	v_add_f32_e32 v54, v9, v3
	v_fma_f32 v2, v68, v4, -v2
	v_mul_f32_e32 v3, v68, v5
	v_fmac_f32_e32 v3, v69, v4
	v_add_f32_e32 v56, v0, v2
	v_mul_f32_e32 v0, v69, v7
	v_add_f32_e32 v58, v1, v3
	v_fma_f32 v4, v68, v6, -v0
	ds_read_b128 v[0:3], v53 offset:160
	ds_read2_b64 v[8:11], v59 offset0:128 offset1:144
	v_mul_f32_e32 v5, v68, v7
	v_fmac_f32_e32 v5, v69, v6
	v_add_f32_e32 v48, v48, v4
	v_add_f32_e32 v50, v50, v5
	s_waitcnt lgkmcnt(0)
	v_mul_f32_e32 v62, v0, v9
	v_fmac_f32_e32 v62, v1, v8
	ds_read_b128 v[4:7], v53 offset:176
	v_add_f32_e32 v46, v46, v62
	ds_read_b128 v[62:65], v53 offset:4256
	v_mul_f32_e32 v60, v1, v9
	v_fma_f32 v60, v0, v8, -v60
	v_add_f32_e32 v33, v33, v60
	v_mul_f32_e32 v60, v1, v11
	v_fma_f32 v60, v0, v10, -v60
	v_mul_f32_e32 v0, v0, v11
	ds_read2_b64 v[70:73], v59 offset0:160 offset1:176
	v_fmac_f32_e32 v0, v1, v10
	v_add_f32_e32 v1, v52, v60
	s_waitcnt lgkmcnt(1)
	v_mul_f32_e32 v52, v63, v9
	v_fma_f32 v52, v62, v8, -v52
	v_mul_f32_e32 v9, v62, v9
	v_fmac_f32_e32 v9, v63, v8
	v_add_f32_e32 v8, v56, v52
	v_mul_f32_e32 v52, v63, v11
	v_fma_f32 v52, v62, v10, -v52
	v_mul_f32_e32 v11, v62, v11
	v_fmac_f32_e32 v11, v63, v10
	v_add_f32_e32 v10, v48, v52
	s_waitcnt lgkmcnt(0)
	v_mul_f32_e32 v48, v3, v71
	v_fma_f32 v48, v2, v70, -v48
	v_add_f32_e32 v33, v33, v48
	v_mul_f32_e32 v48, v3, v73
	v_add_f32_e32 v11, v50, v11
	v_mul_f32_e32 v50, v2, v71
	v_fma_f32 v48, v2, v72, -v48
	v_mul_f32_e32 v2, v2, v73
	v_add_f32_e32 v0, v54, v0
	v_fmac_f32_e32 v50, v3, v70
	v_fmac_f32_e32 v2, v3, v72
	v_add_f32_e32 v46, v46, v50
	v_add_f32_e32 v50, v0, v2
	v_mul_f32_e32 v0, v65, v71
	v_add_f32_e32 v48, v1, v48
	v_fma_f32 v0, v64, v70, -v0
	v_mul_f32_e32 v1, v64, v71
	v_add_f32_e32 v9, v58, v9
	v_fmac_f32_e32 v1, v65, v70
	v_add_f32_e32 v8, v8, v0
	v_mul_f32_e32 v0, v65, v73
	v_add_f32_e32 v9, v9, v1
	v_fma_f32 v52, v64, v72, -v0
	ds_read2_b64 v[0:3], v59 offset0:192 offset1:208
	ds_read_b128 v[66:69], v53 offset:4272
	v_add_f32_e32 v52, v10, v52
	v_mul_f32_e32 v54, v64, v73
	v_fmac_f32_e32 v54, v65, v72
	s_waitcnt lgkmcnt(1)
	v_mul_f32_e32 v10, v5, v1
	v_fma_f32 v10, v4, v0, -v10
	v_add_f32_e32 v33, v33, v10
	v_mul_f32_e32 v10, v5, v3
	v_add_f32_e32 v54, v11, v54
	v_mul_f32_e32 v11, v4, v1
	v_fma_f32 v10, v4, v2, -v10
	v_mul_f32_e32 v4, v4, v3
	v_fmac_f32_e32 v11, v5, v0
	v_fmac_f32_e32 v4, v5, v2
	v_add_f32_e32 v5, v48, v10
	s_waitcnt lgkmcnt(0)
	v_mul_f32_e32 v10, v67, v1
	v_fma_f32 v10, v66, v0, -v10
	v_mul_f32_e32 v1, v66, v1
	v_fmac_f32_e32 v1, v67, v0
	v_add_f32_e32 v0, v8, v10
	v_mul_f32_e32 v8, v67, v3
	v_add_f32_e32 v46, v46, v11
	v_add_f32_e32 v1, v9, v1
	v_fma_f32 v48, v66, v2, -v8
	ds_read2_b64 v[8:11], v59 offset0:224 offset1:240
	v_mul_f32_e32 v3, v66, v3
	v_fmac_f32_e32 v3, v67, v2
	v_add_f32_e32 v4, v50, v4
	v_add_f32_e32 v50, v54, v3
	s_waitcnt lgkmcnt(0)
	v_mul_f32_e32 v2, v7, v9
	v_fma_f32 v2, v6, v8, -v2
	v_mul_f32_e32 v3, v6, v9
	v_fmac_f32_e32 v3, v7, v8
	v_add_f32_e32 v33, v33, v2
	v_mul_f32_e32 v2, v7, v11
	v_add_f32_e32 v46, v46, v3
	v_fma_f32 v2, v6, v10, -v2
	v_mul_f32_e32 v3, v6, v11
	v_add_f32_e32 v48, v52, v48
	v_fmac_f32_e32 v3, v7, v10
	v_add_f32_e32 v52, v5, v2
	v_mul_f32_e32 v2, v69, v9
	v_add_f32_e32 v54, v4, v3
	v_fma_f32 v2, v68, v8, -v2
	v_mul_f32_e32 v3, v68, v9
	v_fmac_f32_e32 v3, v69, v8
	v_add_f32_e32 v56, v0, v2
	v_mul_f32_e32 v0, v69, v11
	v_add_f32_e32 v58, v1, v3
	v_fma_f32 v8, v68, v10, -v0
	ds_read_b128 v[0:3], v53 offset:192
	ds_read2_b64 v[4:7], v61 offset1:16
	v_mul_f32_e32 v9, v68, v11
	v_fmac_f32_e32 v9, v69, v10
	v_add_f32_e32 v48, v48, v8
	v_add_f32_e32 v50, v50, v9
	s_waitcnt lgkmcnt(0)
	v_mul_f32_e32 v62, v0, v5
	v_fmac_f32_e32 v62, v1, v4
	ds_read_b128 v[8:11], v53 offset:208
	v_add_f32_e32 v46, v46, v62
	ds_read_b128 v[62:65], v53 offset:4288
	v_mul_f32_e32 v60, v1, v5
	v_fma_f32 v60, v0, v4, -v60
	v_add_f32_e32 v33, v33, v60
	v_mul_f32_e32 v60, v1, v7
	v_fma_f32 v60, v0, v6, -v60
	v_mul_f32_e32 v0, v0, v7
	ds_read2_b64 v[70:73], v61 offset0:32 offset1:48
	v_fmac_f32_e32 v0, v1, v6
	v_add_f32_e32 v1, v52, v60
	s_waitcnt lgkmcnt(1)
	v_mul_f32_e32 v52, v63, v5
	v_fma_f32 v52, v62, v4, -v52
	v_mul_f32_e32 v5, v62, v5
	v_fmac_f32_e32 v5, v63, v4
	v_add_f32_e32 v4, v56, v52
	v_mul_f32_e32 v52, v63, v7
	v_fma_f32 v52, v62, v6, -v52
	v_mul_f32_e32 v7, v62, v7
	v_fmac_f32_e32 v7, v63, v6
	v_add_f32_e32 v6, v48, v52
	s_waitcnt lgkmcnt(0)
	v_mul_f32_e32 v48, v3, v71
	v_fma_f32 v48, v2, v70, -v48
	v_add_f32_e32 v33, v33, v48
	v_mul_f32_e32 v48, v3, v73
	v_add_f32_e32 v7, v50, v7
	v_mul_f32_e32 v50, v2, v71
	v_fma_f32 v48, v2, v72, -v48
	v_mul_f32_e32 v2, v2, v73
	v_add_f32_e32 v0, v54, v0
	v_fmac_f32_e32 v50, v3, v70
	v_fmac_f32_e32 v2, v3, v72
	v_add_f32_e32 v46, v46, v50
	v_add_f32_e32 v50, v0, v2
	v_mul_f32_e32 v0, v65, v71
	v_add_f32_e32 v48, v1, v48
	v_fma_f32 v0, v64, v70, -v0
	v_mul_f32_e32 v1, v64, v71
	v_add_f32_e32 v5, v58, v5
	v_fmac_f32_e32 v1, v65, v70
	v_add_f32_e32 v4, v4, v0
	v_mul_f32_e32 v0, v65, v73
	v_add_f32_e32 v5, v5, v1
	v_fma_f32 v52, v64, v72, -v0
	ds_read2_b64 v[0:3], v61 offset0:64 offset1:80
	ds_read_b128 v[66:69], v53 offset:4304
	v_mul_f32_e32 v54, v64, v73
	v_add_f32_e32 v52, v6, v52
	v_fmac_f32_e32 v54, v65, v72
	s_waitcnt lgkmcnt(1)
	v_mul_f32_e32 v6, v9, v1
	v_fma_f32 v6, v8, v0, -v6
	v_add_f32_e32 v54, v7, v54
	v_mul_f32_e32 v7, v8, v1
	v_add_f32_e32 v33, v33, v6
	v_mul_f32_e32 v6, v9, v3
	v_fmac_f32_e32 v7, v9, v0
	v_fma_f32 v6, v8, v2, -v6
	v_add_f32_e32 v46, v46, v7
	v_mul_f32_e32 v7, v8, v3
	v_add_f32_e32 v8, v48, v6
	s_waitcnt lgkmcnt(0)
	v_mul_f32_e32 v6, v67, v1
	v_fma_f32 v6, v66, v0, -v6
	v_mul_f32_e32 v1, v66, v1
	v_fmac_f32_e32 v7, v9, v2
	v_fmac_f32_e32 v1, v67, v0
	v_add_f32_e32 v0, v4, v6
	v_mul_f32_e32 v4, v67, v3
	v_add_f32_e32 v9, v50, v7
	v_add_f32_e32 v1, v5, v1
	v_fma_f32 v48, v66, v2, -v4
	ds_read2_b64 v[4:7], v61 offset0:96 offset1:112
	v_mul_f32_e32 v3, v66, v3
	v_fmac_f32_e32 v3, v67, v2
	v_add_f32_e32 v50, v54, v3
	v_add_f32_e32 v48, v52, v48
	s_waitcnt lgkmcnt(0)
	v_mul_f32_e32 v2, v11, v5
	v_fma_f32 v2, v10, v4, -v2
	v_mul_f32_e32 v3, v10, v5
	v_fmac_f32_e32 v3, v11, v4
	v_add_f32_e32 v33, v33, v2
	v_mul_f32_e32 v2, v11, v7
	v_add_f32_e32 v46, v46, v3
	v_fma_f32 v2, v10, v6, -v2
	v_mul_f32_e32 v3, v10, v7
	v_fmac_f32_e32 v3, v11, v6
	v_add_f32_e32 v52, v8, v2
	v_mul_f32_e32 v2, v69, v5
	v_add_f32_e32 v54, v9, v3
	v_fma_f32 v2, v68, v4, -v2
	v_mul_f32_e32 v3, v68, v5
	v_fmac_f32_e32 v3, v69, v4
	v_add_f32_e32 v56, v0, v2
	v_mul_f32_e32 v0, v69, v7
	v_add_f32_e32 v58, v1, v3
	v_fma_f32 v4, v68, v6, -v0
	ds_read_b128 v[0:3], v53 offset:224
	ds_read2_b64 v[8:11], v61 offset0:128 offset1:144
	v_mul_f32_e32 v5, v68, v7
	v_fmac_f32_e32 v5, v69, v6
	v_add_f32_e32 v48, v48, v4
	v_add_f32_e32 v50, v50, v5
	s_waitcnt lgkmcnt(0)
	v_mul_f32_e32 v62, v0, v9
	v_fmac_f32_e32 v62, v1, v8
	ds_read_b128 v[4:7], v53 offset:240
	v_add_f32_e32 v46, v46, v62
	ds_read_b128 v[62:65], v53 offset:4320
	v_mul_f32_e32 v60, v1, v9
	v_fma_f32 v60, v0, v8, -v60
	v_add_f32_e32 v33, v33, v60
	v_mul_f32_e32 v60, v1, v11
	v_fma_f32 v60, v0, v10, -v60
	v_mul_f32_e32 v0, v0, v11
	ds_read2_b64 v[70:73], v61 offset0:160 offset1:176
	v_fmac_f32_e32 v0, v1, v10
	v_add_f32_e32 v1, v52, v60
	s_waitcnt lgkmcnt(1)
	v_mul_f32_e32 v52, v63, v9
	v_fma_f32 v52, v62, v8, -v52
	v_mul_f32_e32 v9, v62, v9
	v_fmac_f32_e32 v9, v63, v8
	v_add_f32_e32 v8, v56, v52
	v_mul_f32_e32 v52, v63, v11
	v_fma_f32 v52, v62, v10, -v52
	v_mul_f32_e32 v11, v62, v11
	v_fmac_f32_e32 v11, v63, v10
	v_add_f32_e32 v10, v48, v52
	s_waitcnt lgkmcnt(0)
	v_mul_f32_e32 v48, v3, v71
	v_fma_f32 v48, v2, v70, -v48
	v_add_f32_e32 v33, v33, v48
	v_mul_f32_e32 v48, v3, v73
	v_add_f32_e32 v11, v50, v11
	v_mul_f32_e32 v50, v2, v71
	v_fma_f32 v48, v2, v72, -v48
	v_mul_f32_e32 v2, v2, v73
	v_add_f32_e32 v0, v54, v0
	v_fmac_f32_e32 v50, v3, v70
	v_fmac_f32_e32 v2, v3, v72
	v_add_f32_e32 v46, v46, v50
	v_add_f32_e32 v50, v0, v2
	v_mul_f32_e32 v0, v65, v71
	v_add_f32_e32 v48, v1, v48
	v_fma_f32 v0, v64, v70, -v0
	v_mul_f32_e32 v1, v64, v71
	v_add_f32_e32 v9, v58, v9
	v_fmac_f32_e32 v1, v65, v70
	v_add_f32_e32 v8, v8, v0
	v_mul_f32_e32 v0, v65, v73
	v_add_f32_e32 v9, v9, v1
	v_fma_f32 v52, v64, v72, -v0
	ds_read2_b64 v[0:3], v61 offset0:192 offset1:208
	ds_read_b128 v[66:69], v53 offset:4336
	v_add_f32_e32 v52, v10, v52
	v_mul_f32_e32 v54, v64, v73
	v_fmac_f32_e32 v54, v65, v72
	s_waitcnt lgkmcnt(1)
	v_mul_f32_e32 v10, v5, v1
	v_fma_f32 v10, v4, v0, -v10
	v_add_f32_e32 v33, v33, v10
	v_mul_f32_e32 v10, v5, v3
	v_add_f32_e32 v54, v11, v54
	v_mul_f32_e32 v11, v4, v1
	v_fma_f32 v10, v4, v2, -v10
	v_mul_f32_e32 v4, v4, v3
	v_fmac_f32_e32 v11, v5, v0
	v_fmac_f32_e32 v4, v5, v2
	v_add_f32_e32 v5, v48, v10
	s_waitcnt lgkmcnt(0)
	v_mul_f32_e32 v10, v67, v1
	v_fma_f32 v10, v66, v0, -v10
	v_mul_f32_e32 v1, v66, v1
	v_fmac_f32_e32 v1, v67, v0
	v_add_f32_e32 v0, v8, v10
	v_mul_f32_e32 v8, v67, v3
	v_add_f32_e32 v46, v46, v11
	v_add_f32_e32 v1, v9, v1
	v_fma_f32 v48, v66, v2, -v8
	ds_read2_b64 v[8:11], v61 offset0:224 offset1:240
	v_mul_f32_e32 v3, v66, v3
	v_fmac_f32_e32 v3, v67, v2
	v_add_f32_e32 v2, v52, v48
	v_add_f32_e32 v4, v50, v4
	s_waitcnt lgkmcnt(0)
	v_mul_f32_e32 v48, v7, v9
	v_fma_f32 v48, v6, v8, -v48
	v_add_f32_e32 v58, v33, v48
	v_mul_f32_e32 v33, v7, v11
	v_mul_f32_e32 v50, v6, v9
	v_fma_f32 v33, v6, v10, -v33
	v_mul_f32_e32 v6, v6, v11
	v_fmac_f32_e32 v6, v7, v10
	v_add_f32_e32 v3, v54, v3
	v_add_f32_e32 v54, v5, v33
	;; [unrolled: 1-line block ×3, first 2 shown]
	v_mul_f32_e32 v4, v69, v9
	v_mul_f32_e32 v5, v68, v9
	s_add_u32 s42, s42, 32
	v_fmac_f32_e32 v50, v7, v8
	v_fma_f32 v4, v68, v8, -v4
	v_fmac_f32_e32 v5, v69, v8
	s_addc_u32 s43, s43, 0
	v_add_f32_e32 v60, v46, v50
	v_add_f32_e32 v50, v0, v4
	;; [unrolled: 1-line block ×3, first 2 shown]
	v_mul_f32_e32 v0, v69, v11
	v_mul_f32_e32 v1, v68, v11
	s_add_u32 s40, s40, 0x100
	v_fma_f32 v0, v68, v10, -v0
	v_fmac_f32_e32 v1, v69, v10
	s_addc_u32 s41, s41, 0
	v_add_f32_e32 v48, v2, v0
	v_add_f32_e32 v46, v3, v1
	s_cmp_ge_i32 s42, s2
	s_barrier
	s_cbranch_scc1 .LBB81_52
.LBB81_7:                               ;   Parent Loop BB81_4 Depth=1
                                        ; =>  This Inner Loop Header: Depth=2
	v_lshl_add_u64 v[4:5], v[12:13], 0, s[42:43]
	v_cmp_le_i64_e64 s[14:15], s[34:35], v[4:5]
	v_cmp_eq_u64_e64 s[4:5], s[42:43], v[22:23]
	v_cmp_lt_i64_e64 s[12:13], v[4:5], v[14:15]
	s_and_b64 s[46:47], s[30:31], s[4:5]
	s_or_b64 s[4:5], s[14:15], s[12:13]
	s_or_b64 s[4:5], s[4:5], s[46:47]
	v_lshl_add_u64 v[0:1], v[16:17], 0, s[40:41]
	s_nor_b64 s[4:5], s[0:1], s[4:5]
	s_and_saveexec_b64 s[44:45], s[4:5]
	s_xor_b64 s[4:5], exec, s[44:45]
	s_cbranch_execz .LBB81_9
; %bb.8:                                ;   in Loop: Header=BB81_7 Depth=2
	global_load_dwordx2 v[2:3], v[0:1], off
	s_waitcnt vmcnt(0)
	v_xor_b32_e32 v3, 0x80000000, v3
	ds_write_b64 v51, v[2:3]
.LBB81_9:                               ;   in Loop: Header=BB81_7 Depth=2
	s_or_saveexec_b64 s[4:5], s[4:5]
	s_xor_b64 s[44:45], s[46:47], -1
	s_xor_b64 exec, exec, s[4:5]
	s_cbranch_execz .LBB81_15
; %bb.10:                               ;   in Loop: Header=BB81_7 Depth=2
	s_and_saveexec_b64 s[50:51], s[44:45]
	s_xor_b64 s[50:51], exec, s[50:51]
; %bb.11:                               ;   in Loop: Header=BB81_7 Depth=2
	ds_write_b64 v51, v[36:37]
; %bb.12:                               ;   in Loop: Header=BB81_7 Depth=2
	s_andn2_saveexec_b64 s[50:51], s[50:51]
; %bb.13:                               ;   in Loop: Header=BB81_7 Depth=2
	ds_write_b64 v51, v[38:39]
; %bb.14:                               ;   in Loop: Header=BB81_7 Depth=2
	s_or_b64 exec, exec, s[50:51]
.LBB81_15:                              ;   in Loop: Header=BB81_7 Depth=2
	s_or_b64 exec, exec, s[4:5]
	v_cmp_eq_u64_e64 s[4:5], s[42:43], v[24:25]
	s_and_b64 s[50:51], s[30:31], s[4:5]
	v_cmp_gt_i64_e64 s[4:5], v[18:19], v[4:5]
	s_or_b64 s[4:5], s[14:15], s[4:5]
	s_or_b64 s[4:5], s[4:5], s[50:51]
	s_nor_b64 s[4:5], s[16:17], s[4:5]
	v_lshl_add_u64 v[2:3], v[28:29], 0, s[40:41]
	s_and_saveexec_b64 s[14:15], s[4:5]
	s_xor_b64 s[4:5], exec, s[14:15]
	s_cbranch_execz .LBB81_17
; %bb.16:                               ;   in Loop: Header=BB81_7 Depth=2
	global_load_dwordx2 v[6:7], v[2:3], off
	s_waitcnt vmcnt(0)
	v_xor_b32_e32 v7, 0x80000000, v7
	ds_write_b64 v51, v[6:7] offset:128
.LBB81_17:                              ;   in Loop: Header=BB81_7 Depth=2
	s_andn2_saveexec_b64 s[4:5], s[4:5]
	s_cbranch_execz .LBB81_23
; %bb.18:                               ;   in Loop: Header=BB81_7 Depth=2
	s_xor_b64 s[14:15], s[50:51], -1
	s_and_saveexec_b64 s[50:51], s[14:15]
	s_xor_b64 s[14:15], exec, s[50:51]
; %bb.19:                               ;   in Loop: Header=BB81_7 Depth=2
	ds_write_b64 v51, v[36:37] offset:128
; %bb.20:                               ;   in Loop: Header=BB81_7 Depth=2
	s_andn2_saveexec_b64 s[14:15], s[14:15]
; %bb.21:                               ;   in Loop: Header=BB81_7 Depth=2
	ds_write_b64 v51, v[38:39] offset:128
; %bb.22:                               ;   in Loop: Header=BB81_7 Depth=2
	s_or_b64 exec, exec, s[14:15]
.LBB81_23:                              ;   in Loop: Header=BB81_7 Depth=2
	s_or_b64 exec, exec, s[4:5]
	v_lshl_add_u64 v[4:5], v[4:5], 0, 16
	v_cmp_eq_u64_e64 s[4:5], s[42:43], v[26:27]
	v_cmp_le_i64_e64 s[14:15], s[34:35], v[4:5]
	s_and_b64 s[50:51], s[30:31], s[4:5]
	v_cmp_lt_i64_e64 s[4:5], v[4:5], v[14:15]
	s_or_b64 s[4:5], s[14:15], s[4:5]
	s_or_b64 s[4:5], s[4:5], s[50:51]
	s_nor_b64 s[4:5], s[0:1], s[4:5]
	s_and_saveexec_b64 s[56:57], s[4:5]
	s_xor_b64 s[4:5], exec, s[56:57]
	s_cbranch_execz .LBB81_25
; %bb.24:                               ;   in Loop: Header=BB81_7 Depth=2
	global_load_dwordx2 v[0:1], v[0:1], off offset:128
	s_waitcnt vmcnt(0)
	v_xor_b32_e32 v1, 0x80000000, v1
	ds_write_b64 v51, v[0:1] offset:4096
.LBB81_25:                              ;   in Loop: Header=BB81_7 Depth=2
	s_andn2_saveexec_b64 s[4:5], s[4:5]
	s_cbranch_execz .LBB81_31
; %bb.26:                               ;   in Loop: Header=BB81_7 Depth=2
	s_xor_b64 s[50:51], s[50:51], -1
	s_and_saveexec_b64 s[56:57], s[50:51]
	s_xor_b64 s[50:51], exec, s[56:57]
; %bb.27:                               ;   in Loop: Header=BB81_7 Depth=2
	ds_write_b64 v51, v[36:37] offset:4096
; %bb.28:                               ;   in Loop: Header=BB81_7 Depth=2
	s_andn2_saveexec_b64 s[50:51], s[50:51]
; %bb.29:                               ;   in Loop: Header=BB81_7 Depth=2
	ds_write_b64 v51, v[38:39] offset:4096
; %bb.30:                               ;   in Loop: Header=BB81_7 Depth=2
	s_or_b64 exec, exec, s[50:51]
.LBB81_31:                              ;   in Loop: Header=BB81_7 Depth=2
	s_or_b64 exec, exec, s[4:5]
	s_or_b64 s[4:5], s[14:15], s[12:13]
	s_or_b64 s[4:5], s[4:5], s[46:47]
	s_nor_b64 s[4:5], s[16:17], s[4:5]
	s_and_saveexec_b64 s[12:13], s[4:5]
	s_xor_b64 s[4:5], exec, s[12:13]
	s_cbranch_execz .LBB81_33
; %bb.32:                               ;   in Loop: Header=BB81_7 Depth=2
	global_load_dwordx2 v[0:1], v[2:3], off offset:128
	s_waitcnt vmcnt(0)
	v_xor_b32_e32 v1, 0x80000000, v1
	ds_write_b64 v51, v[0:1] offset:4224
.LBB81_33:                              ;   in Loop: Header=BB81_7 Depth=2
	s_andn2_saveexec_b64 s[4:5], s[4:5]
	s_cbranch_execz .LBB81_39
; %bb.34:                               ;   in Loop: Header=BB81_7 Depth=2
	s_and_saveexec_b64 s[12:13], s[44:45]
	s_xor_b64 s[12:13], exec, s[12:13]
; %bb.35:                               ;   in Loop: Header=BB81_7 Depth=2
	ds_write_b64 v51, v[36:37] offset:4224
; %bb.36:                               ;   in Loop: Header=BB81_7 Depth=2
	s_andn2_saveexec_b64 s[12:13], s[12:13]
; %bb.37:                               ;   in Loop: Header=BB81_7 Depth=2
	ds_write_b64 v51, v[38:39] offset:4224
; %bb.38:                               ;   in Loop: Header=BB81_7 Depth=2
	s_or_b64 exec, exec, s[12:13]
.LBB81_39:                              ;   in Loop: Header=BB81_7 Depth=2
	s_or_b64 exec, exec, s[4:5]
	v_lshl_add_u64 v[2:3], v[14:15], 0, s[42:43]
	v_cmp_gt_i64_e64 s[12:13], s[34:35], v[2:3]
	v_lshl_add_u64 v[0:1], v[42:43], 0, s[40:41]
	s_and_b64 s[14:15], vcc, s[12:13]
	v_mov_b32_e32 v4, 0
	v_mov_b32_e32 v5, 0
	s_and_saveexec_b64 s[4:5], s[14:15]
	s_cbranch_execz .LBB81_41
; %bb.40:                               ;   in Loop: Header=BB81_7 Depth=2
	global_load_dwordx2 v[4:5], v[0:1], off
.LBB81_41:                              ;   in Loop: Header=BB81_7 Depth=2
	s_or_b64 exec, exec, s[4:5]
	v_cmp_gt_i64_e64 s[14:15], s[38:39], v[2:3]
	s_and_b64 s[4:5], vcc, s[14:15]
	s_xor_b64 s[4:5], s[4:5], -1
	s_waitcnt vmcnt(0)
	ds_write_b64 v55, v[4:5]
	s_and_saveexec_b64 s[44:45], s[4:5]
	s_xor_b64 s[4:5], exec, s[44:45]
; %bb.42:                               ;   in Loop: Header=BB81_7 Depth=2
	ds_write_b64 v55, v[36:37] offset:128
                                        ; implicit-def: $vgpr0_vgpr1
; %bb.43:                               ;   in Loop: Header=BB81_7 Depth=2
	s_andn2_saveexec_b64 s[4:5], s[4:5]
	s_cbranch_execz .LBB81_45
; %bb.44:                               ;   in Loop: Header=BB81_7 Depth=2
	global_load_dwordx2 v[0:1], v[0:1], off offset:128
	s_waitcnt vmcnt(0)
	ds_write_b64 v55, v[0:1] offset:128
.LBB81_45:                              ;   in Loop: Header=BB81_7 Depth=2
	s_or_b64 exec, exec, s[4:5]
	v_lshl_add_u64 v[0:1], v[44:45], 0, s[40:41]
	s_and_b64 s[12:13], s[10:11], s[12:13]
	v_mov_b32_e32 v2, 0
	v_mov_b32_e32 v3, 0
	s_and_saveexec_b64 s[4:5], s[12:13]
	s_cbranch_execz .LBB81_47
; %bb.46:                               ;   in Loop: Header=BB81_7 Depth=2
	global_load_dwordx2 v[2:3], v[0:1], off
.LBB81_47:                              ;   in Loop: Header=BB81_7 Depth=2
	s_or_b64 exec, exec, s[4:5]
	s_and_b64 s[4:5], s[10:11], s[14:15]
	s_xor_b64 s[4:5], s[4:5], -1
	s_waitcnt vmcnt(0)
	ds_write_b64 v55, v[2:3] offset:4096
	s_and_saveexec_b64 s[12:13], s[4:5]
	s_xor_b64 s[4:5], exec, s[12:13]
; %bb.48:                               ;   in Loop: Header=BB81_7 Depth=2
	ds_write_b64 v55, v[36:37] offset:4224
                                        ; implicit-def: $vgpr0_vgpr1
; %bb.49:                               ;   in Loop: Header=BB81_7 Depth=2
	s_andn2_saveexec_b64 s[4:5], s[4:5]
	s_cbranch_execz .LBB81_6
; %bb.50:                               ;   in Loop: Header=BB81_7 Depth=2
	global_load_dwordx2 v[0:1], v[0:1], off offset:128
	s_waitcnt vmcnt(0)
	ds_write_b64 v55, v[0:1] offset:4224
	s_branch .LBB81_6
.LBB81_51:                              ;   in Loop: Header=BB81_4 Depth=1
	v_mov_b32_e32 v58, 0
	v_mov_b32_e32 v60, 0
	v_mov_b32_e32 v54, 0
	v_mov_b32_e32 v56, 0
	v_mov_b32_e32 v50, 0
	v_mov_b32_e32 v52, 0
	v_mov_b32_e32 v48, 0
	v_mov_b32_e32 v46, 0
.LBB81_52:                              ;   in Loop: Header=BB81_4 Depth=1
	v_mul_lo_u32 v2, s21, v40
	v_mul_lo_u32 v3, s20, v41
	v_mad_u64_u32 v[0:1], s[4:5], s20, v40, 0
	v_cmp_gt_i32_e32 vcc, s26, v40
	v_add3_u32 v1, v1, v3, v2
	v_lshl_add_u64 v[0:1], v[0:1], 3, s[22:23]
	s_and_b64 s[10:11], s[18:19], vcc
	s_and_saveexec_b64 s[4:5], s[10:11]
	s_cbranch_execz .LBB81_54
; %bb.53:                               ;   in Loop: Header=BB81_4 Depth=1
	v_lshl_add_u64 v[2:3], v[14:15], 3, v[0:1]
	global_load_dwordx2 v[4:5], v[2:3], off
	v_pk_mul_f32 v[6:7], v[60:61], s[24:25] op_sel_hi:[0,1]
	v_pk_fma_f32 v[8:9], v[58:59], s[28:29], v[6:7] neg_lo:[0,0,1] neg_hi:[0,0,1]
	v_pk_fma_f32 v[6:7], v[58:59], s[28:29], v[6:7] op_sel_hi:[0,1,1]
	v_mov_b32_e32 v9, v7
	s_waitcnt vmcnt(0)
	v_pk_add_f32 v[4:5], v[4:5], v[8:9]
	global_store_dwordx2 v[2:3], v[4:5], off
.LBB81_54:                              ;   in Loop: Header=BB81_4 Depth=1
	s_or_b64 exec, exec, s[4:5]
	s_and_b64 s[10:11], s[6:7], vcc
	s_and_saveexec_b64 s[4:5], s[10:11]
	s_cbranch_execz .LBB81_56
; %bb.55:                               ;   in Loop: Header=BB81_4 Depth=1
	v_lshl_add_u64 v[0:1], v[20:21], 3, v[0:1]
	global_load_dwordx2 v[2:3], v[0:1], off
	v_pk_mul_f32 v[4:5], v[56:57], s[24:25] op_sel_hi:[0,1]
	v_pk_fma_f32 v[6:7], v[54:55], s[28:29], v[4:5] neg_lo:[0,0,1] neg_hi:[0,0,1]
	v_pk_fma_f32 v[4:5], v[54:55], s[28:29], v[4:5] op_sel_hi:[0,1,1]
	v_mov_b32_e32 v7, v5
	s_waitcnt vmcnt(0)
	v_pk_add_f32 v[2:3], v[2:3], v[6:7]
	global_store_dwordx2 v[0:1], v[2:3], off
.LBB81_56:                              ;   in Loop: Header=BB81_4 Depth=1
	s_or_b64 exec, exec, s[4:5]
	v_add_u32_e32 v0, 16, v40
	v_ashrrev_i32_e32 v1, 31, v0
	v_cmp_gt_i32_e32 vcc, s26, v0
	v_mul_lo_u32 v2, s20, v1
	v_mul_lo_u32 v3, s21, v0
	v_mad_u64_u32 v[0:1], s[4:5], s20, v0, 0
	v_add3_u32 v1, v1, v2, v3
	v_lshl_add_u64 v[0:1], v[0:1], 3, s[22:23]
	s_and_b64 s[10:11], s[18:19], vcc
	s_and_saveexec_b64 s[4:5], s[10:11]
	s_cbranch_execz .LBB81_58
; %bb.57:                               ;   in Loop: Header=BB81_4 Depth=1
	v_lshl_add_u64 v[2:3], v[14:15], 3, v[0:1]
	global_load_dwordx2 v[4:5], v[2:3], off
	v_pk_mul_f32 v[6:7], v[52:53], s[24:25] op_sel_hi:[0,1]
	v_pk_fma_f32 v[8:9], v[50:51], s[28:29], v[6:7] neg_lo:[0,0,1] neg_hi:[0,0,1]
	v_pk_fma_f32 v[6:7], v[50:51], s[28:29], v[6:7] op_sel_hi:[0,1,1]
	v_mov_b32_e32 v9, v7
	s_waitcnt vmcnt(0)
	v_pk_add_f32 v[4:5], v[4:5], v[8:9]
	global_store_dwordx2 v[2:3], v[4:5], off
.LBB81_58:                              ;   in Loop: Header=BB81_4 Depth=1
	s_or_b64 exec, exec, s[4:5]
	s_and_b64 s[10:11], s[6:7], vcc
	s_and_saveexec_b64 s[4:5], s[10:11]
	s_cbranch_execz .LBB81_3
; %bb.59:                               ;   in Loop: Header=BB81_4 Depth=1
	v_lshl_add_u64 v[0:1], v[20:21], 3, v[0:1]
	global_load_dwordx2 v[2:3], v[0:1], off
	v_pk_mul_f32 v[4:5], v[46:47], s[24:25] op_sel_hi:[0,1]
	v_pk_fma_f32 v[6:7], v[48:49], s[28:29], v[4:5] neg_lo:[0,0,1] neg_hi:[0,0,1]
	v_pk_fma_f32 v[4:5], v[48:49], s[28:29], v[4:5] op_sel_hi:[0,1,1]
	v_mov_b32_e32 v7, v5
	s_waitcnt vmcnt(0)
	v_pk_add_f32 v[2:3], v[2:3], v[6:7]
	global_store_dwordx2 v[0:1], v[2:3], off
	s_branch .LBB81_3
.LBB81_60:
	s_endpgm
	.section	.rodata,"a",@progbits
	.p2align	6, 0x0
	.amdhsa_kernel _ZL30rocblas_trmm_outofplace_kernelI19rocblas_complex_numIfELi32ELi2ELb1ELb0ELb1ELb1ES1_KS1_S1_Ev17rocblas_diagonal_iiT6_lPT7_lllS6_lllPT8_llli
		.amdhsa_group_segment_fixed_size 16384
		.amdhsa_private_segment_fixed_size 0
		.amdhsa_kernarg_size 392
		.amdhsa_user_sgpr_count 2
		.amdhsa_user_sgpr_dispatch_ptr 0
		.amdhsa_user_sgpr_queue_ptr 0
		.amdhsa_user_sgpr_kernarg_segment_ptr 1
		.amdhsa_user_sgpr_dispatch_id 0
		.amdhsa_user_sgpr_kernarg_preload_length 0
		.amdhsa_user_sgpr_kernarg_preload_offset 0
		.amdhsa_user_sgpr_private_segment_size 0
		.amdhsa_uses_dynamic_stack 0
		.amdhsa_enable_private_segment 0
		.amdhsa_system_sgpr_workgroup_id_x 1
		.amdhsa_system_sgpr_workgroup_id_y 1
		.amdhsa_system_sgpr_workgroup_id_z 1
		.amdhsa_system_sgpr_workgroup_info 0
		.amdhsa_system_vgpr_workitem_id 1
		.amdhsa_next_free_vgpr 82
		.amdhsa_next_free_sgpr 58
		.amdhsa_accum_offset 84
		.amdhsa_reserve_vcc 1
		.amdhsa_float_round_mode_32 0
		.amdhsa_float_round_mode_16_64 0
		.amdhsa_float_denorm_mode_32 3
		.amdhsa_float_denorm_mode_16_64 3
		.amdhsa_dx10_clamp 1
		.amdhsa_ieee_mode 1
		.amdhsa_fp16_overflow 0
		.amdhsa_tg_split 0
		.amdhsa_exception_fp_ieee_invalid_op 0
		.amdhsa_exception_fp_denorm_src 0
		.amdhsa_exception_fp_ieee_div_zero 0
		.amdhsa_exception_fp_ieee_overflow 0
		.amdhsa_exception_fp_ieee_underflow 0
		.amdhsa_exception_fp_ieee_inexact 0
		.amdhsa_exception_int_div_zero 0
	.end_amdhsa_kernel
	.section	.text._ZL30rocblas_trmm_outofplace_kernelI19rocblas_complex_numIfELi32ELi2ELb1ELb0ELb1ELb1ES1_KS1_S1_Ev17rocblas_diagonal_iiT6_lPT7_lllS6_lllPT8_llli,"axG",@progbits,_ZL30rocblas_trmm_outofplace_kernelI19rocblas_complex_numIfELi32ELi2ELb1ELb0ELb1ELb1ES1_KS1_S1_Ev17rocblas_diagonal_iiT6_lPT7_lllS6_lllPT8_llli,comdat
.Lfunc_end81:
	.size	_ZL30rocblas_trmm_outofplace_kernelI19rocblas_complex_numIfELi32ELi2ELb1ELb0ELb1ELb1ES1_KS1_S1_Ev17rocblas_diagonal_iiT6_lPT7_lllS6_lllPT8_llli, .Lfunc_end81-_ZL30rocblas_trmm_outofplace_kernelI19rocblas_complex_numIfELi32ELi2ELb1ELb0ELb1ELb1ES1_KS1_S1_Ev17rocblas_diagonal_iiT6_lPT7_lllS6_lllPT8_llli
                                        ; -- End function
	.set _ZL30rocblas_trmm_outofplace_kernelI19rocblas_complex_numIfELi32ELi2ELb1ELb0ELb1ELb1ES1_KS1_S1_Ev17rocblas_diagonal_iiT6_lPT7_lllS6_lllPT8_llli.num_vgpr, 82
	.set _ZL30rocblas_trmm_outofplace_kernelI19rocblas_complex_numIfELi32ELi2ELb1ELb0ELb1ELb1ES1_KS1_S1_Ev17rocblas_diagonal_iiT6_lPT7_lllS6_lllPT8_llli.num_agpr, 0
	.set _ZL30rocblas_trmm_outofplace_kernelI19rocblas_complex_numIfELi32ELi2ELb1ELb0ELb1ELb1ES1_KS1_S1_Ev17rocblas_diagonal_iiT6_lPT7_lllS6_lllPT8_llli.numbered_sgpr, 58
	.set _ZL30rocblas_trmm_outofplace_kernelI19rocblas_complex_numIfELi32ELi2ELb1ELb0ELb1ELb1ES1_KS1_S1_Ev17rocblas_diagonal_iiT6_lPT7_lllS6_lllPT8_llli.num_named_barrier, 0
	.set _ZL30rocblas_trmm_outofplace_kernelI19rocblas_complex_numIfELi32ELi2ELb1ELb0ELb1ELb1ES1_KS1_S1_Ev17rocblas_diagonal_iiT6_lPT7_lllS6_lllPT8_llli.private_seg_size, 0
	.set _ZL30rocblas_trmm_outofplace_kernelI19rocblas_complex_numIfELi32ELi2ELb1ELb0ELb1ELb1ES1_KS1_S1_Ev17rocblas_diagonal_iiT6_lPT7_lllS6_lllPT8_llli.uses_vcc, 1
	.set _ZL30rocblas_trmm_outofplace_kernelI19rocblas_complex_numIfELi32ELi2ELb1ELb0ELb1ELb1ES1_KS1_S1_Ev17rocblas_diagonal_iiT6_lPT7_lllS6_lllPT8_llli.uses_flat_scratch, 0
	.set _ZL30rocblas_trmm_outofplace_kernelI19rocblas_complex_numIfELi32ELi2ELb1ELb0ELb1ELb1ES1_KS1_S1_Ev17rocblas_diagonal_iiT6_lPT7_lllS6_lllPT8_llli.has_dyn_sized_stack, 0
	.set _ZL30rocblas_trmm_outofplace_kernelI19rocblas_complex_numIfELi32ELi2ELb1ELb0ELb1ELb1ES1_KS1_S1_Ev17rocblas_diagonal_iiT6_lPT7_lllS6_lllPT8_llli.has_recursion, 0
	.set _ZL30rocblas_trmm_outofplace_kernelI19rocblas_complex_numIfELi32ELi2ELb1ELb0ELb1ELb1ES1_KS1_S1_Ev17rocblas_diagonal_iiT6_lPT7_lllS6_lllPT8_llli.has_indirect_call, 0
	.section	.AMDGPU.csdata,"",@progbits
; Kernel info:
; codeLenInByte = 6344
; TotalNumSgprs: 64
; NumVgprs: 82
; NumAgprs: 0
; TotalNumVgprs: 82
; ScratchSize: 0
; MemoryBound: 0
; FloatMode: 240
; IeeeMode: 1
; LDSByteSize: 16384 bytes/workgroup (compile time only)
; SGPRBlocks: 7
; VGPRBlocks: 10
; NumSGPRsForWavesPerEU: 64
; NumVGPRsForWavesPerEU: 82
; AccumOffset: 84
; Occupancy: 5
; WaveLimiterHint : 0
; COMPUTE_PGM_RSRC2:SCRATCH_EN: 0
; COMPUTE_PGM_RSRC2:USER_SGPR: 2
; COMPUTE_PGM_RSRC2:TRAP_HANDLER: 0
; COMPUTE_PGM_RSRC2:TGID_X_EN: 1
; COMPUTE_PGM_RSRC2:TGID_Y_EN: 1
; COMPUTE_PGM_RSRC2:TGID_Z_EN: 1
; COMPUTE_PGM_RSRC2:TIDIG_COMP_CNT: 1
; COMPUTE_PGM_RSRC3_GFX90A:ACCUM_OFFSET: 20
; COMPUTE_PGM_RSRC3_GFX90A:TG_SPLIT: 0
	.section	.text._ZL30rocblas_trmm_outofplace_kernelI19rocblas_complex_numIfELi32ELi2ELb1ELb1ELb1ELb1EPKS1_S2_S1_Ev17rocblas_diagonal_iiT6_lPT7_lllS7_lllPT8_llli,"axG",@progbits,_ZL30rocblas_trmm_outofplace_kernelI19rocblas_complex_numIfELi32ELi2ELb1ELb1ELb1ELb1EPKS1_S2_S1_Ev17rocblas_diagonal_iiT6_lPT7_lllS7_lllPT8_llli,comdat
	.globl	_ZL30rocblas_trmm_outofplace_kernelI19rocblas_complex_numIfELi32ELi2ELb1ELb1ELb1ELb1EPKS1_S2_S1_Ev17rocblas_diagonal_iiT6_lPT7_lllS7_lllPT8_llli ; -- Begin function _ZL30rocblas_trmm_outofplace_kernelI19rocblas_complex_numIfELi32ELi2ELb1ELb1ELb1ELb1EPKS1_S2_S1_Ev17rocblas_diagonal_iiT6_lPT7_lllS7_lllPT8_llli
	.p2align	8
	.type	_ZL30rocblas_trmm_outofplace_kernelI19rocblas_complex_numIfELi32ELi2ELb1ELb1ELb1ELb1EPKS1_S2_S1_Ev17rocblas_diagonal_iiT6_lPT7_lllS7_lllPT8_llli,@function
_ZL30rocblas_trmm_outofplace_kernelI19rocblas_complex_numIfELi32ELi2ELb1ELb1ELb1ELb1EPKS1_S2_S1_Ev17rocblas_diagonal_iiT6_lPT7_lllS7_lllPT8_llli: ; @_ZL30rocblas_trmm_outofplace_kernelI19rocblas_complex_numIfELi32ELi2ELb1ELb1ELb1ELb1EPKS1_S2_S1_Ev17rocblas_diagonal_iiT6_lPT7_lllS7_lllPT8_llli
; %bb.0:
	s_load_dwordx16 s[16:31], s[0:1], 0x10
	s_waitcnt lgkmcnt(0)
	s_mul_i32 s5, s19, s4
	s_mul_hi_u32 s6, s18, s4
	s_add_i32 s7, s6, s5
	s_mul_i32 s6, s18, s4
	s_lshl_b64 s[6:7], s[6:7], 3
	s_add_u32 s6, s16, s6
	s_addc_u32 s7, s17, s7
	s_load_dwordx2 s[18:19], s[6:7], 0x0
	s_waitcnt lgkmcnt(0)
	s_or_b32 s5, s18, s19
	s_bitset0_b32 s5, 31
	s_cmp_eq_u32 s5, 0
	s_cbranch_scc1 .LBB82_59
; %bb.1:
	s_load_dwordx4 s[44:47], s[0:1], 0x0
	s_waitcnt lgkmcnt(0)
	s_add_i32 s5, s46, -1
	s_ashr_i32 s6, s5, 31
	s_lshr_b32 s6, s6, 27
	s_add_i32 s5, s5, s6
	s_ashr_i32 s33, s5, 5
	s_cmp_gt_i32 s3, s33
	s_cbranch_scc1 .LBB82_59
; %bb.2:
	s_load_dwordx8 s[36:43], s[0:1], 0x50
	s_load_dwordx4 s[48:51], s[0:1], 0x70
	s_mul_i32 s5, s27, s4
	s_mul_hi_u32 s6, s26, s4
	s_add_i32 s7, s6, s5
	s_mul_i32 s6, s26, s4
	s_lshl_b64 s[8:9], s[6:7], 3
	s_add_u32 s5, s20, s8
	s_addc_u32 s7, s21, s9
	s_lshl_b64 s[10:11], s[22:23], 3
	s_add_u32 s6, s5, s10
	s_load_dword s47, s[0:1], 0x8c
	s_waitcnt lgkmcnt(0)
	s_mul_i32 s0, s51, s4
	s_mul_hi_u32 s1, s50, s4
	s_addc_u32 s7, s7, s11
	s_add_i32 s1, s1, s0
	s_mul_i32 s0, s50, s4
	s_lshl_b64 s[0:1], s[0:1], 3
	s_add_u32 s5, s40, s0
	s_addc_u32 s12, s41, s1
	s_lshl_b64 s[0:1], s[42:43], 3
	s_add_u32 s22, s5, s0
	s_addc_u32 s23, s12, s1
	s_lshl_b32 s52, s2, 5
	v_and_b32_e32 v18, 0x3ff, v0
	s_cmp_gt_i32 s2, -1
	v_add_u32_e32 v20, s52, v18
	s_cselect_b64 s[26:27], -1, 0
	s_cmpk_eq_i32 s44, 0x84
	v_ashrrev_i32_e32 v21, 31, v20
	s_cselect_b64 s[34:35], -1, 0
	s_ashr_i32 s41, s45, 31
	s_ashr_i32 s2, s46, 31
	v_bfe_u32 v16, v0, 10, 10
	v_mul_lo_u32 v2, s24, v21
	v_mul_lo_u32 v3, s25, v20
	v_mad_u64_u32 v[0:1], s[0:1], s24, v20, 0
	s_add_u32 s42, s45, -16
	v_mov_b32_e32 v17, 0
	v_add3_u32 v1, v1, v2, v3
	s_addc_u32 s43, s41, -1
	v_lshl_add_u64 v[0:1], v[0:1], 3, s[6:7]
	v_lshlrev_b32_e32 v2, 3, v16
	v_mov_b32_e32 v3, v17
	s_add_u32 s8, s10, s8
	v_lshl_add_u64 v[22:23], v[0:1], 0, v[2:3]
	v_lshlrev_b32_e32 v0, 8, v16
	v_lshlrev_b32_e32 v24, 3, v18
	v_mov_b64_e32 v[36:37], 0x80
	s_addc_u32 s9, s11, s9
	v_add_u32_e32 v47, v24, v0
	v_add_u32_e32 v53, 0x2000, v0
	v_lshl_add_u64 v[0:1], v[20:21], 3, v[36:37]
	v_mov_b64_e32 v[4:5], s[8:9]
	v_mul_lo_u32 v6, s24, v1
	v_mul_lo_u32 v7, s25, v0
	v_mad_u64_u32 v[0:1], s[8:9], s24, v0, v[4:5]
	s_mul_i32 s5, s39, s4
	s_mul_hi_u32 s8, s38, s4
	s_add_i32 s5, s8, s5
	s_mul_i32 s4, s38, s4
	s_lshl_b64 s[4:5], s[4:5], 3
	s_lshl_b64 s[8:9], s[30:31], 3
	s_add_u32 s4, s4, s8
	s_addc_u32 s5, s5, s9
	v_sub_co_u32_e32 v30, vcc, v20, v16
	v_add3_u32 v1, v7, v1, v6
	s_add_u32 s4, s28, s4
	s_mov_b32 s40, s45
	v_lshl_add_u64 v[26:27], v[20:21], 0, 16
	v_add_u32_e32 v28, 16, v20
	v_subbrev_co_u32_e32 v31, vcc, 0, v21, vcc
	v_lshl_add_u64 v[0:1], v[0:1], 0, v[2:3]
	v_mov_b32_e32 v25, v17
	s_addc_u32 s5, s29, s5
	v_mov_b32_e32 v19, v17
	v_add_u32_e32 v55, v53, v24
	v_cmp_le_i32_e64 s[0:1], s45, v20
	v_cmp_le_i64_e64 s[14:15], s[40:41], v[26:27]
	v_cmp_gt_i32_e64 s[16:17], s45, v20
	v_cmp_gt_i32_e64 s[6:7], s45, v28
	v_ashrrev_i32_e32 v29, 31, v28
	s_mov_b32 s44, s19
	s_mov_b32 s45, s18
	v_lshl_add_u64 v[32:33], v[30:31], 0, 16
	v_lshl_add_u64 v[34:35], v[30:31], 0, -16
	v_lshl_add_u64 v[38:39], s[20:21], 0, v[0:1]
	v_lshl_add_u64 v[40:41], s[4:5], 0, v[24:25]
	s_lshl_b64 s[20:21], s[36:37], 3
	v_lshl_add_u32 v42, s3, 5, v16
	s_lshl_b32 s53, s47, 5
	v_mov_b32_e32 v64, v17
	v_mov_b32_e32 v65, v17
	v_mov_b32_e32 v44, 1.0
	v_mov_b32_e32 v45, v17
	v_add_u32_e32 v57, 0x800, v24
	v_add_u32_e32 v59, 0x1000, v24
	;; [unrolled: 1-line block ×3, first 2 shown]
	s_branch .LBB82_4
.LBB82_3:                               ;   in Loop: Header=BB82_4 Depth=1
	s_or_b64 exec, exec, s[4:5]
	s_add_i32 s3, s47, s3
	s_cmp_le_i32 s3, s33
	v_add_u32_e32 v42, s53, v42
	s_cbranch_scc0 .LBB82_59
.LBB82_4:                               ; =>This Loop Header: Depth=1
                                        ;     Child Loop BB82_7 Depth 2
	v_lshl_add_u32 v46, s3, 5, v16
	v_ashrrev_i32_e32 v25, 31, v46
	s_andn2_b64 vcc, exec, s[26:27]
	v_mov_b32_e32 v60, 0
	v_mov_b32_e32 v62, 0
	;; [unrolled: 1-line block ×8, first 2 shown]
	s_cbranch_vccnz .LBB82_51
; %bb.5:                                ;   in Loop: Header=BB82_4 Depth=1
	v_ashrrev_i32_e32 v43, 31, v42
	v_mad_u64_u32 v[48:49], s[4:5], s20, v42, v[40:41]
	v_mul_lo_u32 v0, s21, v42
	v_mul_lo_u32 v1, s20, v43
	v_add3_u32 v49, v0, v49, v1
	v_lshl_add_u64 v[0:1], v[42:43], 3, v[36:37]
	v_mul_lo_u32 v1, s36, v1
	v_mul_lo_u32 v2, s37, v0
	v_mad_u64_u32 v[50:51], s[4:5], s36, v0, v[40:41]
	v_add3_u32 v51, v2, v51, v1
	v_mov_b32_e32 v1, s2
	v_sub_co_u32_e32 v0, vcc, s46, v46
	s_mov_b64 s[24:25], 0
	s_nop 0
	v_subb_co_u32_e32 v1, vcc, v1, v25, vcc
	v_cmp_lt_i64_e32 vcc, 0, v[0:1]
	v_cmp_lt_i64_e64 s[8:9], 16, v[0:1]
	v_mov_b32_e32 v12, 0
	s_mov_b64 s[28:29], 0
	v_mov_b32_e32 v14, 0
	v_mov_b32_e32 v54, 0
	;; [unrolled: 1-line block ×7, first 2 shown]
	s_branch .LBB82_7
.LBB82_6:                               ;   in Loop: Header=BB82_7 Depth=2
	s_or_b64 exec, exec, s[4:5]
	s_waitcnt lgkmcnt(0)
	s_barrier
	ds_read_b128 v[66:69], v53
	ds_read_b128 v[8:11], v53 offset:16
	ds_read_b128 v[4:7], v53 offset:32
	;; [unrolled: 1-line block ×3, first 2 shown]
	ds_read2_b64 v[70:73], v24 offset1:16
	ds_read_b128 v[74:77], v53 offset:4096
	s_add_u32 s28, s28, 32
	s_addc_u32 s29, s29, 0
	s_add_u32 s24, s24, 0x100
	s_waitcnt lgkmcnt(1)
	v_mul_f32_e32 v13, v67, v71
	v_mul_f32_e32 v15, v66, v71
	v_fma_f32 v13, v66, v70, -v13
	v_fmac_f32_e32 v15, v67, v70
	v_add_f32_e32 v43, v60, v13
	v_add_f32_e32 v60, v62, v15
	v_mul_f32_e32 v13, v67, v73
	v_mul_f32_e32 v15, v66, v73
	v_fma_f32 v13, v66, v72, -v13
	v_fmac_f32_e32 v15, v67, v72
	v_add_f32_e32 v56, v56, v13
	v_add_f32_e32 v58, v58, v15
	s_waitcnt lgkmcnt(0)
	v_mul_f32_e32 v13, v75, v71
	v_mul_f32_e32 v15, v74, v71
	v_fma_f32 v13, v74, v70, -v13
	v_fmac_f32_e32 v15, v75, v70
	v_add_f32_e32 v52, v52, v13
	v_add_f32_e32 v54, v54, v15
	v_mul_f32_e32 v13, v75, v73
	v_mul_f32_e32 v15, v74, v73
	v_fma_f32 v13, v74, v72, -v13
	v_fmac_f32_e32 v15, v75, v72
	v_add_f32_e32 v62, v14, v13
	v_add_f32_e32 v63, v12, v15
	ds_read2_b64 v[12:15], v24 offset0:32 offset1:48
	s_addc_u32 s25, s25, 0
	s_sub_i32 s4, s28, 32
	s_cmp_ge_i32 s4, s52
	s_waitcnt lgkmcnt(0)
	v_mul_f32_e32 v66, v69, v13
	v_fma_f32 v66, v68, v12, -v66
	v_add_f32_e32 v43, v43, v66
	v_mul_f32_e32 v66, v69, v15
	v_fma_f32 v66, v68, v14, -v66
	v_mul_f32_e32 v67, v68, v13
	v_add_f32_e32 v56, v56, v66
	v_mul_f32_e32 v66, v77, v13
	v_mul_f32_e32 v13, v76, v13
	v_fmac_f32_e32 v13, v77, v12
	v_fmac_f32_e32 v67, v69, v12
	v_fma_f32 v66, v76, v12, -v66
	v_add_f32_e32 v54, v54, v13
	v_mul_f32_e32 v12, v77, v15
	v_mul_f32_e32 v13, v76, v15
	v_add_f32_e32 v60, v60, v67
	v_mul_f32_e32 v67, v68, v15
	v_fma_f32 v12, v76, v14, -v12
	v_fmac_f32_e32 v13, v77, v14
	v_fmac_f32_e32 v67, v69, v14
	v_add_f32_e32 v62, v62, v12
	v_add_f32_e32 v63, v63, v13
	ds_read2_b64 v[12:15], v24 offset0:64 offset1:80
	v_add_f32_e32 v52, v52, v66
	v_add_f32_e32 v58, v58, v67
	s_waitcnt lgkmcnt(0)
	v_mul_f32_e32 v66, v9, v13
	v_fma_f32 v66, v8, v12, -v66
	v_mul_f32_e32 v67, v8, v13
	v_add_f32_e32 v43, v43, v66
	v_mul_f32_e32 v66, v9, v15
	v_fmac_f32_e32 v67, v9, v12
	v_fma_f32 v66, v8, v14, -v66
	v_mul_f32_e32 v8, v8, v15
	v_add_f32_e32 v60, v60, v67
	v_fmac_f32_e32 v8, v9, v14
	v_add_f32_e32 v9, v56, v66
	ds_read_b128 v[66:69], v53 offset:4112
	v_add_f32_e32 v8, v58, v8
	s_waitcnt lgkmcnt(0)
	v_mul_f32_e32 v56, v67, v13
	v_mul_f32_e32 v13, v66, v13
	v_fmac_f32_e32 v13, v67, v12
	v_fma_f32 v56, v66, v12, -v56
	v_add_f32_e32 v54, v54, v13
	v_mul_f32_e32 v12, v67, v15
	v_mul_f32_e32 v13, v66, v15
	v_fma_f32 v12, v66, v14, -v12
	v_fmac_f32_e32 v13, v67, v14
	v_add_f32_e32 v52, v52, v56
	v_add_f32_e32 v56, v62, v12
	;; [unrolled: 1-line block ×3, first 2 shown]
	ds_read2_b64 v[12:15], v24 offset0:96 offset1:112
	s_waitcnt lgkmcnt(0)
	v_mul_f32_e32 v62, v11, v13
	v_fma_f32 v62, v10, v12, -v62
	v_add_f32_e32 v43, v43, v62
	v_mul_f32_e32 v62, v11, v15
	v_mul_f32_e32 v63, v10, v13
	v_fma_f32 v62, v10, v14, -v62
	v_mul_f32_e32 v10, v10, v15
	v_fmac_f32_e32 v63, v11, v12
	v_fmac_f32_e32 v10, v11, v14
	v_add_f32_e32 v60, v60, v63
	v_add_f32_e32 v62, v9, v62
	;; [unrolled: 1-line block ×3, first 2 shown]
	v_mul_f32_e32 v8, v69, v13
	v_mul_f32_e32 v9, v68, v13
	v_fma_f32 v8, v68, v12, -v8
	v_fmac_f32_e32 v9, v69, v12
	v_add_f32_e32 v52, v52, v8
	v_add_f32_e32 v54, v54, v9
	v_mul_f32_e32 v8, v69, v15
	v_mul_f32_e32 v9, v68, v15
	v_fma_f32 v8, v68, v14, -v8
	v_fmac_f32_e32 v9, v69, v14
	v_add_f32_e32 v56, v56, v8
	v_add_f32_e32 v58, v58, v9
	ds_read2_b64 v[8:11], v24 offset0:128 offset1:144
	s_waitcnt lgkmcnt(0)
	v_mul_f32_e32 v12, v5, v9
	v_fma_f32 v12, v4, v8, -v12
	v_mul_f32_e32 v13, v4, v9
	v_add_f32_e32 v43, v43, v12
	v_mul_f32_e32 v12, v5, v11
	v_fmac_f32_e32 v13, v5, v8
	v_fma_f32 v12, v4, v10, -v12
	v_mul_f32_e32 v4, v4, v11
	v_add_f32_e32 v60, v60, v13
	v_fmac_f32_e32 v4, v5, v10
	v_add_f32_e32 v5, v62, v12
	ds_read_b128 v[12:15], v53 offset:4128
	v_add_f32_e32 v4, v63, v4
	s_waitcnt lgkmcnt(0)
	v_mul_f32_e32 v62, v13, v9
	v_mul_f32_e32 v9, v12, v9
	v_fmac_f32_e32 v9, v13, v8
	v_fma_f32 v62, v12, v8, -v62
	v_add_f32_e32 v54, v54, v9
	v_mul_f32_e32 v8, v13, v11
	v_mul_f32_e32 v9, v12, v11
	v_fma_f32 v8, v12, v10, -v8
	v_fmac_f32_e32 v9, v13, v10
	v_add_f32_e32 v12, v56, v8
	v_add_f32_e32 v13, v58, v9
	ds_read2_b64 v[8:11], v24 offset0:160 offset1:176
	v_add_f32_e32 v52, v52, v62
	s_waitcnt lgkmcnt(0)
	v_mul_f32_e32 v56, v7, v9
	v_mul_f32_e32 v58, v6, v9
	v_fma_f32 v56, v6, v8, -v56
	v_fmac_f32_e32 v58, v7, v8
	v_add_f32_e32 v43, v43, v56
	v_add_f32_e32 v56, v60, v58
	v_mul_f32_e32 v58, v7, v11
	v_fma_f32 v58, v6, v10, -v58
	v_mul_f32_e32 v6, v6, v11
	v_fmac_f32_e32 v6, v7, v10
	v_add_f32_e32 v58, v5, v58
	v_add_f32_e32 v60, v4, v6
	v_mul_f32_e32 v4, v15, v9
	v_mul_f32_e32 v5, v14, v9
	v_fma_f32 v4, v14, v8, -v4
	v_fmac_f32_e32 v5, v15, v8
	v_add_f32_e32 v52, v52, v4
	v_add_f32_e32 v54, v54, v5
	v_mul_f32_e32 v4, v15, v11
	v_mul_f32_e32 v5, v14, v11
	v_fma_f32 v4, v14, v10, -v4
	v_fmac_f32_e32 v5, v15, v10
	v_add_f32_e32 v12, v12, v4
	v_add_f32_e32 v13, v13, v5
	ds_read2_b64 v[4:7], v24 offset0:192 offset1:208
	s_waitcnt lgkmcnt(0)
	v_mul_f32_e32 v8, v1, v5
	v_fma_f32 v8, v0, v4, -v8
	v_mul_f32_e32 v9, v0, v5
	v_add_f32_e32 v14, v43, v8
	v_mul_f32_e32 v8, v1, v7
	v_fmac_f32_e32 v9, v1, v4
	v_fma_f32 v8, v0, v6, -v8
	v_mul_f32_e32 v0, v0, v7
	v_add_f32_e32 v15, v56, v9
	v_fmac_f32_e32 v0, v1, v6
	v_add_f32_e32 v1, v58, v8
	ds_read_b128 v[8:11], v53 offset:4144
	v_add_f32_e32 v0, v60, v0
	s_waitcnt lgkmcnt(0)
	v_mul_f32_e32 v43, v9, v5
	v_mul_f32_e32 v5, v8, v5
	v_fma_f32 v43, v8, v4, -v43
	v_fmac_f32_e32 v5, v9, v4
	v_add_f32_e32 v43, v52, v43
	v_add_f32_e32 v52, v54, v5
	v_mul_f32_e32 v4, v9, v7
	v_mul_f32_e32 v5, v8, v7
	v_fma_f32 v4, v8, v6, -v4
	v_fmac_f32_e32 v5, v9, v6
	v_add_f32_e32 v8, v12, v4
	v_add_f32_e32 v9, v13, v5
	ds_read2_b64 v[4:7], v24 offset0:224 offset1:240
	s_waitcnt lgkmcnt(0)
	v_mul_f32_e32 v12, v3, v5
	v_fma_f32 v12, v2, v4, -v12
	v_add_f32_e32 v12, v14, v12
	v_mul_f32_e32 v14, v3, v7
	v_mul_f32_e32 v13, v2, v5
	v_fma_f32 v14, v2, v6, -v14
	v_mul_f32_e32 v2, v2, v7
	v_fmac_f32_e32 v13, v3, v4
	v_fmac_f32_e32 v2, v3, v6
	v_add_f32_e32 v13, v15, v13
	v_add_f32_e32 v14, v1, v14
	;; [unrolled: 1-line block ×3, first 2 shown]
	v_mul_f32_e32 v0, v11, v5
	v_mul_f32_e32 v1, v10, v5
	v_fma_f32 v0, v10, v4, -v0
	v_fmac_f32_e32 v1, v11, v4
	v_add_f32_e32 v43, v43, v0
	v_add_f32_e32 v52, v52, v1
	v_mul_f32_e32 v0, v11, v7
	v_mul_f32_e32 v1, v10, v7
	v_fma_f32 v0, v10, v6, -v0
	v_fmac_f32_e32 v1, v11, v6
	v_add_f32_e32 v54, v8, v0
	v_add_f32_e32 v56, v9, v1
	ds_read_b128 v[0:3], v53 offset:64
	ds_read2_b64 v[4:7], v57 offset1:16
	s_waitcnt lgkmcnt(0)
	v_mul_f32_e32 v8, v1, v5
	v_fma_f32 v8, v0, v4, -v8
	v_mul_f32_e32 v9, v0, v5
	v_add_f32_e32 v12, v12, v8
	v_mul_f32_e32 v8, v1, v7
	v_fmac_f32_e32 v9, v1, v4
	v_fma_f32 v8, v0, v6, -v8
	v_mul_f32_e32 v0, v0, v7
	v_add_f32_e32 v13, v13, v9
	v_fmac_f32_e32 v0, v1, v6
	v_add_f32_e32 v1, v14, v8
	ds_read_b128 v[8:11], v53 offset:4160
	v_add_f32_e32 v0, v15, v0
	s_waitcnt lgkmcnt(0)
	v_mul_f32_e32 v14, v9, v5
	v_mul_f32_e32 v5, v8, v5
	v_fmac_f32_e32 v5, v9, v4
	v_fma_f32 v14, v8, v4, -v14
	v_add_f32_e32 v15, v52, v5
	v_mul_f32_e32 v4, v9, v7
	v_mul_f32_e32 v5, v8, v7
	v_fma_f32 v4, v8, v6, -v4
	v_fmac_f32_e32 v5, v9, v6
	v_add_f32_e32 v8, v54, v4
	v_add_f32_e32 v9, v56, v5
	ds_read2_b64 v[4:7], v57 offset0:32 offset1:48
	v_add_f32_e32 v14, v43, v14
	s_waitcnt lgkmcnt(0)
	v_mul_f32_e32 v43, v3, v5
	v_fma_f32 v43, v2, v4, -v43
	v_add_f32_e32 v12, v12, v43
	v_mul_f32_e32 v43, v3, v7
	v_mul_f32_e32 v52, v2, v5
	v_fma_f32 v43, v2, v6, -v43
	v_mul_f32_e32 v2, v2, v7
	v_fmac_f32_e32 v52, v3, v4
	v_fmac_f32_e32 v2, v3, v6
	v_add_f32_e32 v13, v13, v52
	v_add_f32_e32 v43, v1, v43
	v_add_f32_e32 v52, v0, v2
	v_mul_f32_e32 v0, v11, v5
	v_mul_f32_e32 v1, v10, v5
	v_fma_f32 v0, v10, v4, -v0
	v_fmac_f32_e32 v1, v11, v4
	v_add_f32_e32 v14, v14, v0
	v_add_f32_e32 v15, v15, v1
	v_mul_f32_e32 v0, v11, v7
	v_mul_f32_e32 v1, v10, v7
	v_fma_f32 v0, v10, v6, -v0
	v_fmac_f32_e32 v1, v11, v6
	v_add_f32_e32 v54, v8, v0
	v_add_f32_e32 v56, v9, v1
	ds_read_b128 v[0:3], v53 offset:80
	ds_read2_b64 v[4:7], v57 offset0:64 offset1:80
	s_waitcnt lgkmcnt(0)
	v_mul_f32_e32 v8, v1, v5
	v_fma_f32 v8, v0, v4, -v8
	v_mul_f32_e32 v9, v0, v5
	v_add_f32_e32 v12, v12, v8
	v_mul_f32_e32 v8, v1, v7
	v_fmac_f32_e32 v9, v1, v4
	v_fma_f32 v8, v0, v6, -v8
	v_mul_f32_e32 v0, v0, v7
	v_add_f32_e32 v13, v13, v9
	v_fmac_f32_e32 v0, v1, v6
	v_add_f32_e32 v1, v43, v8
	ds_read_b128 v[8:11], v53 offset:4176
	v_add_f32_e32 v0, v52, v0
	s_waitcnt lgkmcnt(0)
	v_mul_f32_e32 v43, v9, v5
	v_mul_f32_e32 v5, v8, v5
	v_fmac_f32_e32 v5, v9, v4
	v_fma_f32 v43, v8, v4, -v43
	v_add_f32_e32 v15, v15, v5
	v_mul_f32_e32 v4, v9, v7
	v_mul_f32_e32 v5, v8, v7
	v_fma_f32 v4, v8, v6, -v4
	v_fmac_f32_e32 v5, v9, v6
	v_add_f32_e32 v8, v54, v4
	v_add_f32_e32 v9, v56, v5
	ds_read2_b64 v[4:7], v57 offset0:96 offset1:112
	v_add_f32_e32 v14, v14, v43
	s_waitcnt lgkmcnt(0)
	v_mul_f32_e32 v43, v3, v5
	v_fma_f32 v43, v2, v4, -v43
	v_add_f32_e32 v12, v12, v43
	v_mul_f32_e32 v43, v3, v7
	v_mul_f32_e32 v52, v2, v5
	v_fma_f32 v43, v2, v6, -v43
	v_mul_f32_e32 v2, v2, v7
	v_fmac_f32_e32 v52, v3, v4
	v_fmac_f32_e32 v2, v3, v6
	v_add_f32_e32 v13, v13, v52
	v_add_f32_e32 v43, v1, v43
	v_add_f32_e32 v52, v0, v2
	v_mul_f32_e32 v0, v11, v5
	v_mul_f32_e32 v1, v10, v5
	v_fma_f32 v0, v10, v4, -v0
	v_fmac_f32_e32 v1, v11, v4
	v_add_f32_e32 v14, v14, v0
	v_add_f32_e32 v15, v15, v1
	v_mul_f32_e32 v0, v11, v7
	v_mul_f32_e32 v1, v10, v7
	v_fma_f32 v0, v10, v6, -v0
	v_fmac_f32_e32 v1, v11, v6
	v_add_f32_e32 v54, v8, v0
	v_add_f32_e32 v56, v9, v1
	ds_read_b128 v[0:3], v53 offset:96
	ds_read2_b64 v[4:7], v57 offset0:128 offset1:144
	;; [unrolled: 55-line block ×3, first 2 shown]
	s_waitcnt lgkmcnt(0)
	v_mul_f32_e32 v8, v1, v5
	v_fma_f32 v8, v0, v4, -v8
	v_mul_f32_e32 v9, v0, v5
	v_add_f32_e32 v12, v12, v8
	v_mul_f32_e32 v8, v1, v7
	v_fmac_f32_e32 v9, v1, v4
	v_fma_f32 v8, v0, v6, -v8
	v_mul_f32_e32 v0, v0, v7
	v_add_f32_e32 v13, v13, v9
	v_fmac_f32_e32 v0, v1, v6
	v_add_f32_e32 v1, v43, v8
	ds_read_b128 v[8:11], v53 offset:4208
	v_add_f32_e32 v0, v52, v0
	s_waitcnt lgkmcnt(0)
	v_mul_f32_e32 v43, v9, v5
	v_mul_f32_e32 v5, v8, v5
	v_fmac_f32_e32 v5, v9, v4
	v_fma_f32 v43, v8, v4, -v43
	v_add_f32_e32 v15, v15, v5
	v_mul_f32_e32 v4, v9, v7
	v_mul_f32_e32 v5, v8, v7
	v_fma_f32 v4, v8, v6, -v4
	v_fmac_f32_e32 v5, v9, v6
	v_add_f32_e32 v8, v54, v4
	v_add_f32_e32 v9, v56, v5
	ds_read2_b64 v[4:7], v57 offset0:224 offset1:240
	v_add_f32_e32 v14, v14, v43
	s_waitcnt lgkmcnt(0)
	v_mul_f32_e32 v43, v3, v5
	v_fma_f32 v43, v2, v4, -v43
	v_add_f32_e32 v12, v12, v43
	v_mul_f32_e32 v43, v3, v7
	v_mul_f32_e32 v52, v2, v5
	v_fma_f32 v43, v2, v6, -v43
	v_mul_f32_e32 v2, v2, v7
	v_fmac_f32_e32 v52, v3, v4
	v_fmac_f32_e32 v2, v3, v6
	v_add_f32_e32 v13, v13, v52
	v_add_f32_e32 v43, v1, v43
	;; [unrolled: 1-line block ×3, first 2 shown]
	v_mul_f32_e32 v0, v11, v5
	v_mul_f32_e32 v1, v10, v5
	v_fma_f32 v0, v10, v4, -v0
	v_fmac_f32_e32 v1, v11, v4
	v_add_f32_e32 v14, v14, v0
	v_add_f32_e32 v15, v15, v1
	v_mul_f32_e32 v0, v11, v7
	v_mul_f32_e32 v1, v10, v7
	v_fma_f32 v0, v10, v6, -v0
	v_fmac_f32_e32 v1, v11, v6
	v_add_f32_e32 v54, v8, v0
	v_add_f32_e32 v56, v9, v1
	ds_read_b128 v[0:3], v53 offset:128
	ds_read2_b64 v[4:7], v59 offset1:16
	s_waitcnt lgkmcnt(0)
	v_mul_f32_e32 v8, v1, v5
	v_fma_f32 v8, v0, v4, -v8
	v_mul_f32_e32 v9, v0, v5
	v_add_f32_e32 v12, v12, v8
	v_mul_f32_e32 v8, v1, v7
	v_fmac_f32_e32 v9, v1, v4
	v_fma_f32 v8, v0, v6, -v8
	v_mul_f32_e32 v0, v0, v7
	v_add_f32_e32 v13, v13, v9
	v_fmac_f32_e32 v0, v1, v6
	v_add_f32_e32 v1, v43, v8
	ds_read_b128 v[8:11], v53 offset:4224
	v_add_f32_e32 v0, v52, v0
	s_waitcnt lgkmcnt(0)
	v_mul_f32_e32 v43, v9, v5
	v_mul_f32_e32 v5, v8, v5
	v_fmac_f32_e32 v5, v9, v4
	v_fma_f32 v43, v8, v4, -v43
	v_add_f32_e32 v15, v15, v5
	v_mul_f32_e32 v4, v9, v7
	v_mul_f32_e32 v5, v8, v7
	v_fma_f32 v4, v8, v6, -v4
	v_fmac_f32_e32 v5, v9, v6
	v_add_f32_e32 v8, v54, v4
	v_add_f32_e32 v9, v56, v5
	ds_read2_b64 v[4:7], v59 offset0:32 offset1:48
	v_add_f32_e32 v14, v14, v43
	s_waitcnt lgkmcnt(0)
	v_mul_f32_e32 v43, v3, v5
	v_fma_f32 v43, v2, v4, -v43
	v_add_f32_e32 v12, v12, v43
	v_mul_f32_e32 v43, v3, v7
	v_mul_f32_e32 v52, v2, v5
	v_fma_f32 v43, v2, v6, -v43
	v_mul_f32_e32 v2, v2, v7
	v_fmac_f32_e32 v52, v3, v4
	v_fmac_f32_e32 v2, v3, v6
	v_add_f32_e32 v13, v13, v52
	v_add_f32_e32 v43, v1, v43
	v_add_f32_e32 v52, v0, v2
	v_mul_f32_e32 v0, v11, v5
	v_mul_f32_e32 v1, v10, v5
	v_fma_f32 v0, v10, v4, -v0
	v_fmac_f32_e32 v1, v11, v4
	v_add_f32_e32 v14, v14, v0
	v_add_f32_e32 v15, v15, v1
	v_mul_f32_e32 v0, v11, v7
	v_mul_f32_e32 v1, v10, v7
	v_fma_f32 v0, v10, v6, -v0
	v_fmac_f32_e32 v1, v11, v6
	v_add_f32_e32 v54, v8, v0
	v_add_f32_e32 v56, v9, v1
	ds_read_b128 v[0:3], v53 offset:144
	ds_read2_b64 v[4:7], v59 offset0:64 offset1:80
	s_waitcnt lgkmcnt(0)
	v_mul_f32_e32 v8, v1, v5
	v_fma_f32 v8, v0, v4, -v8
	v_mul_f32_e32 v9, v0, v5
	v_add_f32_e32 v12, v12, v8
	v_mul_f32_e32 v8, v1, v7
	v_fmac_f32_e32 v9, v1, v4
	v_fma_f32 v8, v0, v6, -v8
	v_mul_f32_e32 v0, v0, v7
	v_add_f32_e32 v13, v13, v9
	v_fmac_f32_e32 v0, v1, v6
	v_add_f32_e32 v1, v43, v8
	ds_read_b128 v[8:11], v53 offset:4240
	v_add_f32_e32 v0, v52, v0
	s_waitcnt lgkmcnt(0)
	v_mul_f32_e32 v43, v9, v5
	v_mul_f32_e32 v5, v8, v5
	v_fmac_f32_e32 v5, v9, v4
	v_fma_f32 v43, v8, v4, -v43
	v_add_f32_e32 v15, v15, v5
	v_mul_f32_e32 v4, v9, v7
	v_mul_f32_e32 v5, v8, v7
	v_fma_f32 v4, v8, v6, -v4
	v_fmac_f32_e32 v5, v9, v6
	v_add_f32_e32 v8, v54, v4
	v_add_f32_e32 v9, v56, v5
	ds_read2_b64 v[4:7], v59 offset0:96 offset1:112
	v_add_f32_e32 v14, v14, v43
	s_waitcnt lgkmcnt(0)
	v_mul_f32_e32 v43, v3, v5
	v_fma_f32 v43, v2, v4, -v43
	v_add_f32_e32 v12, v12, v43
	v_mul_f32_e32 v43, v3, v7
	v_mul_f32_e32 v52, v2, v5
	v_fma_f32 v43, v2, v6, -v43
	v_mul_f32_e32 v2, v2, v7
	v_fmac_f32_e32 v52, v3, v4
	v_fmac_f32_e32 v2, v3, v6
	v_add_f32_e32 v13, v13, v52
	v_add_f32_e32 v43, v1, v43
	v_add_f32_e32 v52, v0, v2
	v_mul_f32_e32 v0, v11, v5
	v_mul_f32_e32 v1, v10, v5
	v_fma_f32 v0, v10, v4, -v0
	v_fmac_f32_e32 v1, v11, v4
	v_add_f32_e32 v14, v14, v0
	v_add_f32_e32 v15, v15, v1
	v_mul_f32_e32 v0, v11, v7
	v_mul_f32_e32 v1, v10, v7
	v_fma_f32 v0, v10, v6, -v0
	v_fmac_f32_e32 v1, v11, v6
	v_add_f32_e32 v54, v8, v0
	v_add_f32_e32 v56, v9, v1
	ds_read_b128 v[0:3], v53 offset:160
	ds_read2_b64 v[4:7], v59 offset0:128 offset1:144
	s_waitcnt lgkmcnt(0)
	v_mul_f32_e32 v8, v1, v5
	v_fma_f32 v8, v0, v4, -v8
	v_mul_f32_e32 v9, v0, v5
	v_add_f32_e32 v12, v12, v8
	v_mul_f32_e32 v8, v1, v7
	v_fmac_f32_e32 v9, v1, v4
	v_fma_f32 v8, v0, v6, -v8
	v_mul_f32_e32 v0, v0, v7
	v_add_f32_e32 v13, v13, v9
	v_fmac_f32_e32 v0, v1, v6
	v_add_f32_e32 v1, v43, v8
	ds_read_b128 v[8:11], v53 offset:4256
	v_add_f32_e32 v0, v52, v0
	s_waitcnt lgkmcnt(0)
	v_mul_f32_e32 v43, v9, v5
	v_mul_f32_e32 v5, v8, v5
	v_fmac_f32_e32 v5, v9, v4
	v_fma_f32 v43, v8, v4, -v43
	v_add_f32_e32 v15, v15, v5
	v_mul_f32_e32 v4, v9, v7
	v_mul_f32_e32 v5, v8, v7
	v_fma_f32 v4, v8, v6, -v4
	v_fmac_f32_e32 v5, v9, v6
	v_add_f32_e32 v8, v54, v4
	v_add_f32_e32 v9, v56, v5
	ds_read2_b64 v[4:7], v59 offset0:160 offset1:176
	v_add_f32_e32 v14, v14, v43
	s_waitcnt lgkmcnt(0)
	v_mul_f32_e32 v43, v3, v5
	v_fma_f32 v43, v2, v4, -v43
	v_add_f32_e32 v12, v12, v43
	v_mul_f32_e32 v43, v3, v7
	v_mul_f32_e32 v52, v2, v5
	v_fma_f32 v43, v2, v6, -v43
	v_mul_f32_e32 v2, v2, v7
	v_fmac_f32_e32 v52, v3, v4
	v_fmac_f32_e32 v2, v3, v6
	v_add_f32_e32 v13, v13, v52
	v_add_f32_e32 v43, v1, v43
	v_add_f32_e32 v52, v0, v2
	v_mul_f32_e32 v0, v11, v5
	v_mul_f32_e32 v1, v10, v5
	v_fma_f32 v0, v10, v4, -v0
	v_fmac_f32_e32 v1, v11, v4
	v_add_f32_e32 v14, v14, v0
	v_add_f32_e32 v15, v15, v1
	v_mul_f32_e32 v0, v11, v7
	v_mul_f32_e32 v1, v10, v7
	v_fma_f32 v0, v10, v6, -v0
	v_fmac_f32_e32 v1, v11, v6
	v_add_f32_e32 v54, v8, v0
	v_add_f32_e32 v56, v9, v1
	ds_read_b128 v[0:3], v53 offset:176
	ds_read2_b64 v[4:7], v59 offset0:192 offset1:208
	s_waitcnt lgkmcnt(0)
	v_mul_f32_e32 v8, v1, v5
	v_fma_f32 v8, v0, v4, -v8
	v_mul_f32_e32 v9, v0, v5
	v_add_f32_e32 v12, v12, v8
	v_mul_f32_e32 v8, v1, v7
	v_fmac_f32_e32 v9, v1, v4
	v_fma_f32 v8, v0, v6, -v8
	v_mul_f32_e32 v0, v0, v7
	v_add_f32_e32 v13, v13, v9
	v_fmac_f32_e32 v0, v1, v6
	v_add_f32_e32 v1, v43, v8
	ds_read_b128 v[8:11], v53 offset:4272
	v_add_f32_e32 v0, v52, v0
	s_waitcnt lgkmcnt(0)
	v_mul_f32_e32 v43, v9, v5
	v_mul_f32_e32 v5, v8, v5
	v_fmac_f32_e32 v5, v9, v4
	v_fma_f32 v43, v8, v4, -v43
	v_add_f32_e32 v15, v15, v5
	v_mul_f32_e32 v4, v9, v7
	v_mul_f32_e32 v5, v8, v7
	v_fma_f32 v4, v8, v6, -v4
	v_fmac_f32_e32 v5, v9, v6
	v_add_f32_e32 v8, v54, v4
	v_add_f32_e32 v9, v56, v5
	ds_read2_b64 v[4:7], v59 offset0:224 offset1:240
	v_add_f32_e32 v14, v14, v43
	s_waitcnt lgkmcnt(0)
	v_mul_f32_e32 v43, v3, v5
	v_fma_f32 v43, v2, v4, -v43
	v_add_f32_e32 v12, v12, v43
	v_mul_f32_e32 v43, v3, v7
	v_mul_f32_e32 v52, v2, v5
	v_fma_f32 v43, v2, v6, -v43
	v_mul_f32_e32 v2, v2, v7
	v_fmac_f32_e32 v52, v3, v4
	v_fmac_f32_e32 v2, v3, v6
	v_add_f32_e32 v13, v13, v52
	v_add_f32_e32 v43, v1, v43
	v_add_f32_e32 v52, v0, v2
	v_mul_f32_e32 v0, v11, v5
	v_mul_f32_e32 v1, v10, v5
	v_fma_f32 v0, v10, v4, -v0
	v_fmac_f32_e32 v1, v11, v4
	v_add_f32_e32 v14, v14, v0
	v_add_f32_e32 v15, v15, v1
	v_mul_f32_e32 v0, v11, v7
	v_mul_f32_e32 v1, v10, v7
	v_fma_f32 v0, v10, v6, -v0
	v_fmac_f32_e32 v1, v11, v6
	v_add_f32_e32 v54, v8, v0
	v_add_f32_e32 v56, v9, v1
	ds_read_b128 v[0:3], v53 offset:192
	ds_read2_b64 v[4:7], v61 offset1:16
	s_waitcnt lgkmcnt(0)
	v_mul_f32_e32 v8, v1, v5
	v_fma_f32 v8, v0, v4, -v8
	v_mul_f32_e32 v9, v0, v5
	v_add_f32_e32 v12, v12, v8
	v_mul_f32_e32 v8, v1, v7
	v_fmac_f32_e32 v9, v1, v4
	v_fma_f32 v8, v0, v6, -v8
	v_mul_f32_e32 v0, v0, v7
	v_add_f32_e32 v13, v13, v9
	v_fmac_f32_e32 v0, v1, v6
	v_add_f32_e32 v1, v43, v8
	ds_read_b128 v[8:11], v53 offset:4288
	v_add_f32_e32 v0, v52, v0
	s_waitcnt lgkmcnt(0)
	v_mul_f32_e32 v43, v9, v5
	v_mul_f32_e32 v5, v8, v5
	v_fmac_f32_e32 v5, v9, v4
	v_fma_f32 v43, v8, v4, -v43
	v_add_f32_e32 v15, v15, v5
	v_mul_f32_e32 v4, v9, v7
	v_mul_f32_e32 v5, v8, v7
	v_fma_f32 v4, v8, v6, -v4
	v_fmac_f32_e32 v5, v9, v6
	v_add_f32_e32 v8, v54, v4
	v_add_f32_e32 v9, v56, v5
	ds_read2_b64 v[4:7], v61 offset0:32 offset1:48
	v_add_f32_e32 v14, v14, v43
	s_waitcnt lgkmcnt(0)
	v_mul_f32_e32 v43, v3, v5
	v_fma_f32 v43, v2, v4, -v43
	v_add_f32_e32 v12, v12, v43
	v_mul_f32_e32 v43, v3, v7
	v_mul_f32_e32 v52, v2, v5
	v_fma_f32 v43, v2, v6, -v43
	v_mul_f32_e32 v2, v2, v7
	v_fmac_f32_e32 v52, v3, v4
	v_fmac_f32_e32 v2, v3, v6
	v_add_f32_e32 v13, v13, v52
	v_add_f32_e32 v43, v1, v43
	v_add_f32_e32 v52, v0, v2
	v_mul_f32_e32 v0, v11, v5
	v_mul_f32_e32 v1, v10, v5
	v_fma_f32 v0, v10, v4, -v0
	v_fmac_f32_e32 v1, v11, v4
	v_add_f32_e32 v14, v14, v0
	v_add_f32_e32 v15, v15, v1
	v_mul_f32_e32 v0, v11, v7
	v_mul_f32_e32 v1, v10, v7
	v_fma_f32 v0, v10, v6, -v0
	v_fmac_f32_e32 v1, v11, v6
	v_add_f32_e32 v54, v8, v0
	v_add_f32_e32 v56, v9, v1
	ds_read_b128 v[0:3], v53 offset:208
	ds_read2_b64 v[4:7], v61 offset0:64 offset1:80
	s_waitcnt lgkmcnt(0)
	v_mul_f32_e32 v8, v1, v5
	v_fma_f32 v8, v0, v4, -v8
	v_mul_f32_e32 v9, v0, v5
	v_add_f32_e32 v12, v12, v8
	v_mul_f32_e32 v8, v1, v7
	v_fmac_f32_e32 v9, v1, v4
	v_fma_f32 v8, v0, v6, -v8
	v_mul_f32_e32 v0, v0, v7
	v_add_f32_e32 v13, v13, v9
	v_fmac_f32_e32 v0, v1, v6
	v_add_f32_e32 v1, v43, v8
	ds_read_b128 v[8:11], v53 offset:4304
	v_add_f32_e32 v0, v52, v0
	s_waitcnt lgkmcnt(0)
	v_mul_f32_e32 v43, v9, v5
	v_mul_f32_e32 v5, v8, v5
	v_fmac_f32_e32 v5, v9, v4
	v_fma_f32 v43, v8, v4, -v43
	v_add_f32_e32 v15, v15, v5
	v_mul_f32_e32 v4, v9, v7
	v_mul_f32_e32 v5, v8, v7
	v_fma_f32 v4, v8, v6, -v4
	v_fmac_f32_e32 v5, v9, v6
	v_add_f32_e32 v8, v54, v4
	v_add_f32_e32 v9, v56, v5
	ds_read2_b64 v[4:7], v61 offset0:96 offset1:112
	v_add_f32_e32 v14, v14, v43
	s_waitcnt lgkmcnt(0)
	v_mul_f32_e32 v43, v3, v5
	v_fma_f32 v43, v2, v4, -v43
	v_add_f32_e32 v12, v12, v43
	v_mul_f32_e32 v43, v3, v7
	v_mul_f32_e32 v52, v2, v5
	v_fma_f32 v43, v2, v6, -v43
	v_mul_f32_e32 v2, v2, v7
	v_fmac_f32_e32 v52, v3, v4
	v_fmac_f32_e32 v2, v3, v6
	v_add_f32_e32 v13, v13, v52
	v_add_f32_e32 v43, v1, v43
	v_add_f32_e32 v52, v0, v2
	v_mul_f32_e32 v0, v11, v5
	v_mul_f32_e32 v1, v10, v5
	v_fma_f32 v0, v10, v4, -v0
	v_fmac_f32_e32 v1, v11, v4
	v_add_f32_e32 v14, v14, v0
	v_add_f32_e32 v15, v15, v1
	v_mul_f32_e32 v0, v11, v7
	v_mul_f32_e32 v1, v10, v7
	v_fma_f32 v0, v10, v6, -v0
	v_fmac_f32_e32 v1, v11, v6
	v_add_f32_e32 v54, v8, v0
	v_add_f32_e32 v56, v9, v1
	ds_read_b128 v[0:3], v53 offset:224
	ds_read2_b64 v[4:7], v61 offset0:128 offset1:144
	;; [unrolled: 55-line block ×3, first 2 shown]
	s_waitcnt lgkmcnt(0)
	v_mul_f32_e32 v8, v1, v5
	v_fma_f32 v8, v0, v4, -v8
	v_mul_f32_e32 v9, v0, v5
	v_add_f32_e32 v12, v12, v8
	v_mul_f32_e32 v8, v1, v7
	v_fmac_f32_e32 v9, v1, v4
	v_fma_f32 v8, v0, v6, -v8
	v_mul_f32_e32 v0, v0, v7
	v_add_f32_e32 v13, v13, v9
	v_fmac_f32_e32 v0, v1, v6
	v_add_f32_e32 v1, v43, v8
	ds_read_b128 v[8:11], v53 offset:4336
	v_add_f32_e32 v0, v52, v0
	s_waitcnt lgkmcnt(0)
	v_mul_f32_e32 v43, v9, v5
	v_mul_f32_e32 v5, v8, v5
	v_fmac_f32_e32 v5, v9, v4
	v_fma_f32 v43, v8, v4, -v43
	v_add_f32_e32 v15, v15, v5
	v_mul_f32_e32 v4, v9, v7
	v_mul_f32_e32 v5, v8, v7
	v_fma_f32 v4, v8, v6, -v4
	v_fmac_f32_e32 v5, v9, v6
	v_add_f32_e32 v8, v54, v4
	v_add_f32_e32 v9, v56, v5
	ds_read2_b64 v[4:7], v61 offset0:224 offset1:240
	v_add_f32_e32 v14, v14, v43
	s_waitcnt lgkmcnt(0)
	s_barrier
	v_mul_f32_e32 v43, v3, v5
	v_fma_f32 v43, v2, v4, -v43
	v_add_f32_e32 v60, v12, v43
	v_mul_f32_e32 v12, v3, v7
	v_mul_f32_e32 v52, v2, v5
	v_fma_f32 v12, v2, v6, -v12
	v_mul_f32_e32 v2, v2, v7
	v_fmac_f32_e32 v2, v3, v6
	v_add_f32_e32 v56, v1, v12
	v_add_f32_e32 v58, v0, v2
	v_mul_f32_e32 v0, v11, v5
	v_mul_f32_e32 v1, v10, v5
	v_fmac_f32_e32 v52, v3, v4
	v_fma_f32 v0, v10, v4, -v0
	v_fmac_f32_e32 v1, v11, v4
	v_add_f32_e32 v62, v13, v52
	v_add_f32_e32 v52, v14, v0
	;; [unrolled: 1-line block ×3, first 2 shown]
	v_mul_f32_e32 v0, v11, v7
	v_mul_f32_e32 v1, v10, v7
	v_fma_f32 v0, v10, v6, -v0
	v_fmac_f32_e32 v1, v11, v6
	v_add_f32_e32 v14, v8, v0
	v_add_f32_e32 v12, v9, v1
	s_cbranch_scc1 .LBB82_51
.LBB82_7:                               ;   Parent Loop BB82_4 Depth=1
                                        ; =>  This Inner Loop Header: Depth=2
	v_lshl_add_u64 v[4:5], v[16:17], 0, s[28:29]
	v_cmp_le_i64_e64 s[12:13], s[40:41], v[4:5]
	v_cmp_eq_u64_e64 s[4:5], s[28:29], v[30:31]
	v_cmp_gt_i64_e64 s[10:11], v[4:5], v[20:21]
	s_and_b64 s[38:39], s[34:35], s[4:5]
	s_or_b64 s[4:5], s[12:13], s[10:11]
	s_or_b64 s[4:5], s[4:5], s[38:39]
	v_lshl_add_u64 v[0:1], v[22:23], 0, s[24:25]
	s_nor_b64 s[4:5], s[0:1], s[4:5]
	s_and_saveexec_b64 s[30:31], s[4:5]
	s_xor_b64 s[4:5], exec, s[30:31]
	s_cbranch_execz .LBB82_9
; %bb.8:                                ;   in Loop: Header=BB82_7 Depth=2
	global_load_dwordx2 v[2:3], v[0:1], off
	s_waitcnt vmcnt(0)
	v_xor_b32_e32 v3, 0x80000000, v3
	ds_write_b64 v47, v[2:3]
.LBB82_9:                               ;   in Loop: Header=BB82_7 Depth=2
	s_or_saveexec_b64 s[4:5], s[4:5]
	s_xor_b64 s[30:31], s[38:39], -1
	s_xor_b64 exec, exec, s[4:5]
	s_cbranch_execz .LBB82_15
; %bb.10:                               ;   in Loop: Header=BB82_7 Depth=2
	s_and_saveexec_b64 s[50:51], s[30:31]
	s_xor_b64 s[50:51], exec, s[50:51]
; %bb.11:                               ;   in Loop: Header=BB82_7 Depth=2
	ds_write_b64 v47, v[64:65]
; %bb.12:                               ;   in Loop: Header=BB82_7 Depth=2
	s_andn2_saveexec_b64 s[50:51], s[50:51]
; %bb.13:                               ;   in Loop: Header=BB82_7 Depth=2
	ds_write_b64 v47, v[44:45]
; %bb.14:                               ;   in Loop: Header=BB82_7 Depth=2
	s_or_b64 exec, exec, s[50:51]
.LBB82_15:                              ;   in Loop: Header=BB82_7 Depth=2
	s_or_b64 exec, exec, s[4:5]
	v_cmp_eq_u64_e64 s[4:5], s[28:29], v[32:33]
	s_and_b64 s[50:51], s[34:35], s[4:5]
	v_cmp_lt_i64_e64 s[4:5], v[26:27], v[4:5]
	s_or_b64 s[4:5], s[12:13], s[4:5]
	s_or_b64 s[4:5], s[4:5], s[50:51]
	s_nor_b64 s[4:5], s[14:15], s[4:5]
	v_lshl_add_u64 v[2:3], v[38:39], 0, s[24:25]
	s_and_saveexec_b64 s[12:13], s[4:5]
	s_xor_b64 s[4:5], exec, s[12:13]
	s_cbranch_execz .LBB82_17
; %bb.16:                               ;   in Loop: Header=BB82_7 Depth=2
	global_load_dwordx2 v[6:7], v[2:3], off
	s_waitcnt vmcnt(0)
	v_xor_b32_e32 v7, 0x80000000, v7
	ds_write_b64 v47, v[6:7] offset:128
.LBB82_17:                              ;   in Loop: Header=BB82_7 Depth=2
	s_andn2_saveexec_b64 s[4:5], s[4:5]
	s_cbranch_execz .LBB82_23
; %bb.18:                               ;   in Loop: Header=BB82_7 Depth=2
	s_xor_b64 s[12:13], s[50:51], -1
	s_and_saveexec_b64 s[50:51], s[12:13]
	s_xor_b64 s[12:13], exec, s[50:51]
; %bb.19:                               ;   in Loop: Header=BB82_7 Depth=2
	ds_write_b64 v47, v[64:65] offset:128
; %bb.20:                               ;   in Loop: Header=BB82_7 Depth=2
	s_andn2_saveexec_b64 s[12:13], s[12:13]
; %bb.21:                               ;   in Loop: Header=BB82_7 Depth=2
	ds_write_b64 v47, v[44:45] offset:128
; %bb.22:                               ;   in Loop: Header=BB82_7 Depth=2
	s_or_b64 exec, exec, s[12:13]
.LBB82_23:                              ;   in Loop: Header=BB82_7 Depth=2
	s_or_b64 exec, exec, s[4:5]
	v_lshl_add_u64 v[4:5], v[4:5], 0, 16
	v_cmp_eq_u64_e64 s[4:5], s[28:29], v[34:35]
	v_cmp_le_i64_e64 s[12:13], s[40:41], v[4:5]
	s_and_b64 s[50:51], s[34:35], s[4:5]
	v_cmp_gt_i64_e64 s[4:5], v[4:5], v[20:21]
	s_or_b64 s[4:5], s[12:13], s[4:5]
	s_or_b64 s[4:5], s[4:5], s[50:51]
	s_nor_b64 s[4:5], s[0:1], s[4:5]
	s_and_saveexec_b64 s[54:55], s[4:5]
	s_xor_b64 s[4:5], exec, s[54:55]
	s_cbranch_execz .LBB82_25
; %bb.24:                               ;   in Loop: Header=BB82_7 Depth=2
	global_load_dwordx2 v[0:1], v[0:1], off offset:128
	s_waitcnt vmcnt(0)
	v_xor_b32_e32 v1, 0x80000000, v1
	ds_write_b64 v47, v[0:1] offset:4096
.LBB82_25:                              ;   in Loop: Header=BB82_7 Depth=2
	s_andn2_saveexec_b64 s[4:5], s[4:5]
	s_cbranch_execz .LBB82_31
; %bb.26:                               ;   in Loop: Header=BB82_7 Depth=2
	s_xor_b64 s[50:51], s[50:51], -1
	s_and_saveexec_b64 s[54:55], s[50:51]
	s_xor_b64 s[50:51], exec, s[54:55]
; %bb.27:                               ;   in Loop: Header=BB82_7 Depth=2
	ds_write_b64 v47, v[64:65] offset:4096
; %bb.28:                               ;   in Loop: Header=BB82_7 Depth=2
	s_andn2_saveexec_b64 s[50:51], s[50:51]
; %bb.29:                               ;   in Loop: Header=BB82_7 Depth=2
	ds_write_b64 v47, v[44:45] offset:4096
; %bb.30:                               ;   in Loop: Header=BB82_7 Depth=2
	s_or_b64 exec, exec, s[50:51]
.LBB82_31:                              ;   in Loop: Header=BB82_7 Depth=2
	s_or_b64 exec, exec, s[4:5]
	s_or_b64 s[4:5], s[12:13], s[10:11]
	s_or_b64 s[4:5], s[4:5], s[38:39]
	s_nor_b64 s[4:5], s[14:15], s[4:5]
	s_and_saveexec_b64 s[10:11], s[4:5]
	s_xor_b64 s[4:5], exec, s[10:11]
	s_cbranch_execz .LBB82_33
; %bb.32:                               ;   in Loop: Header=BB82_7 Depth=2
	global_load_dwordx2 v[0:1], v[2:3], off offset:128
	s_waitcnt vmcnt(0)
	v_xor_b32_e32 v1, 0x80000000, v1
	ds_write_b64 v47, v[0:1] offset:4224
.LBB82_33:                              ;   in Loop: Header=BB82_7 Depth=2
	s_andn2_saveexec_b64 s[4:5], s[4:5]
	s_cbranch_execz .LBB82_39
; %bb.34:                               ;   in Loop: Header=BB82_7 Depth=2
	s_and_saveexec_b64 s[10:11], s[30:31]
	s_xor_b64 s[10:11], exec, s[10:11]
; %bb.35:                               ;   in Loop: Header=BB82_7 Depth=2
	ds_write_b64 v47, v[64:65] offset:4224
; %bb.36:                               ;   in Loop: Header=BB82_7 Depth=2
	s_andn2_saveexec_b64 s[10:11], s[10:11]
; %bb.37:                               ;   in Loop: Header=BB82_7 Depth=2
	ds_write_b64 v47, v[44:45] offset:4224
; %bb.38:                               ;   in Loop: Header=BB82_7 Depth=2
	s_or_b64 exec, exec, s[10:11]
.LBB82_39:                              ;   in Loop: Header=BB82_7 Depth=2
	s_or_b64 exec, exec, s[4:5]
	v_lshl_add_u64 v[2:3], v[18:19], 0, s[28:29]
	v_cmp_gt_i64_e64 s[10:11], s[40:41], v[2:3]
	v_lshl_add_u64 v[0:1], v[48:49], 0, s[24:25]
	s_and_b64 s[12:13], vcc, s[10:11]
	v_mov_b32_e32 v4, 0
	v_mov_b32_e32 v5, 0
	s_and_saveexec_b64 s[4:5], s[12:13]
	s_cbranch_execz .LBB82_41
; %bb.40:                               ;   in Loop: Header=BB82_7 Depth=2
	global_load_dwordx2 v[4:5], v[0:1], off
.LBB82_41:                              ;   in Loop: Header=BB82_7 Depth=2
	s_or_b64 exec, exec, s[4:5]
	v_cmp_gt_i64_e64 s[12:13], s[42:43], v[2:3]
	s_and_b64 s[4:5], vcc, s[12:13]
	s_xor_b64 s[4:5], s[4:5], -1
	s_waitcnt vmcnt(0)
	ds_write_b64 v55, v[4:5]
	s_and_saveexec_b64 s[30:31], s[4:5]
	s_xor_b64 s[4:5], exec, s[30:31]
; %bb.42:                               ;   in Loop: Header=BB82_7 Depth=2
	ds_write_b64 v55, v[64:65] offset:128
                                        ; implicit-def: $vgpr0_vgpr1
; %bb.43:                               ;   in Loop: Header=BB82_7 Depth=2
	s_andn2_saveexec_b64 s[4:5], s[4:5]
	s_cbranch_execz .LBB82_45
; %bb.44:                               ;   in Loop: Header=BB82_7 Depth=2
	global_load_dwordx2 v[0:1], v[0:1], off offset:128
	s_waitcnt vmcnt(0)
	ds_write_b64 v55, v[0:1] offset:128
.LBB82_45:                              ;   in Loop: Header=BB82_7 Depth=2
	s_or_b64 exec, exec, s[4:5]
	v_lshl_add_u64 v[0:1], v[50:51], 0, s[24:25]
	s_and_b64 s[10:11], s[8:9], s[10:11]
	v_mov_b32_e32 v2, 0
	v_mov_b32_e32 v3, 0
	s_and_saveexec_b64 s[4:5], s[10:11]
	s_cbranch_execz .LBB82_47
; %bb.46:                               ;   in Loop: Header=BB82_7 Depth=2
	global_load_dwordx2 v[2:3], v[0:1], off
.LBB82_47:                              ;   in Loop: Header=BB82_7 Depth=2
	s_or_b64 exec, exec, s[4:5]
	s_and_b64 s[4:5], s[8:9], s[12:13]
	s_xor_b64 s[4:5], s[4:5], -1
	s_waitcnt vmcnt(0)
	ds_write_b64 v55, v[2:3] offset:4096
	s_and_saveexec_b64 s[10:11], s[4:5]
	s_xor_b64 s[4:5], exec, s[10:11]
; %bb.48:                               ;   in Loop: Header=BB82_7 Depth=2
	ds_write_b64 v55, v[64:65] offset:4224
                                        ; implicit-def: $vgpr0_vgpr1
; %bb.49:                               ;   in Loop: Header=BB82_7 Depth=2
	s_andn2_saveexec_b64 s[4:5], s[4:5]
	s_cbranch_execz .LBB82_6
; %bb.50:                               ;   in Loop: Header=BB82_7 Depth=2
	global_load_dwordx2 v[0:1], v[0:1], off offset:128
	s_waitcnt vmcnt(0)
	ds_write_b64 v55, v[0:1] offset:4224
	s_branch .LBB82_6
.LBB82_51:                              ;   in Loop: Header=BB82_4 Depth=1
	v_mul_lo_u32 v2, s49, v46
	v_mul_lo_u32 v3, s48, v25
	v_mad_u64_u32 v[0:1], s[4:5], s48, v46, 0
	v_cmp_gt_i32_e32 vcc, s46, v46
	v_add3_u32 v1, v1, v3, v2
	v_lshl_add_u64 v[0:1], v[0:1], 3, s[22:23]
	s_and_b64 s[8:9], s[16:17], vcc
	s_and_saveexec_b64 s[4:5], s[8:9]
	s_cbranch_execz .LBB82_53
; %bb.52:                               ;   in Loop: Header=BB82_4 Depth=1
	v_lshl_add_u64 v[2:3], v[20:21], 3, v[0:1]
	global_load_dwordx2 v[4:5], v[2:3], off
	v_pk_mul_f32 v[6:7], v[62:63], s[44:45] op_sel_hi:[0,1]
	v_pk_fma_f32 v[8:9], v[60:61], s[18:19], v[6:7] neg_lo:[0,0,1] neg_hi:[0,0,1]
	v_pk_fma_f32 v[6:7], v[60:61], s[18:19], v[6:7] op_sel_hi:[0,1,1]
	v_mov_b32_e32 v9, v7
	s_waitcnt vmcnt(0)
	v_pk_add_f32 v[4:5], v[4:5], v[8:9]
	global_store_dwordx2 v[2:3], v[4:5], off
.LBB82_53:                              ;   in Loop: Header=BB82_4 Depth=1
	s_or_b64 exec, exec, s[4:5]
	s_and_b64 s[8:9], s[6:7], vcc
	s_and_saveexec_b64 s[4:5], s[8:9]
	s_cbranch_execz .LBB82_55
; %bb.54:                               ;   in Loop: Header=BB82_4 Depth=1
	v_lshl_add_u64 v[0:1], v[28:29], 3, v[0:1]
	global_load_dwordx2 v[2:3], v[0:1], off
	v_pk_mul_f32 v[4:5], v[58:59], s[44:45] op_sel_hi:[0,1]
	v_pk_fma_f32 v[6:7], v[56:57], s[18:19], v[4:5] neg_lo:[0,0,1] neg_hi:[0,0,1]
	v_pk_fma_f32 v[4:5], v[56:57], s[18:19], v[4:5] op_sel_hi:[0,1,1]
	v_mov_b32_e32 v7, v5
	s_waitcnt vmcnt(0)
	v_pk_add_f32 v[2:3], v[2:3], v[6:7]
	global_store_dwordx2 v[0:1], v[2:3], off
.LBB82_55:                              ;   in Loop: Header=BB82_4 Depth=1
	s_or_b64 exec, exec, s[4:5]
	v_add_u32_e32 v0, 16, v46
	v_ashrrev_i32_e32 v1, 31, v0
	v_cmp_gt_i32_e32 vcc, s46, v0
	v_mul_lo_u32 v2, s48, v1
	v_mul_lo_u32 v3, s49, v0
	v_mad_u64_u32 v[0:1], s[4:5], s48, v0, 0
	v_add3_u32 v1, v1, v2, v3
	v_lshl_add_u64 v[0:1], v[0:1], 3, s[22:23]
	s_and_b64 s[8:9], s[16:17], vcc
	s_and_saveexec_b64 s[4:5], s[8:9]
	s_cbranch_execz .LBB82_57
; %bb.56:                               ;   in Loop: Header=BB82_4 Depth=1
	v_lshl_add_u64 v[2:3], v[20:21], 3, v[0:1]
	global_load_dwordx2 v[4:5], v[2:3], off
	v_pk_mul_f32 v[6:7], v[54:55], s[44:45] op_sel_hi:[0,1]
	v_pk_fma_f32 v[8:9], v[52:53], s[18:19], v[6:7] neg_lo:[0,0,1] neg_hi:[0,0,1]
	v_pk_fma_f32 v[6:7], v[52:53], s[18:19], v[6:7] op_sel_hi:[0,1,1]
	v_mov_b32_e32 v9, v7
	s_waitcnt vmcnt(0)
	v_pk_add_f32 v[4:5], v[4:5], v[8:9]
	global_store_dwordx2 v[2:3], v[4:5], off
.LBB82_57:                              ;   in Loop: Header=BB82_4 Depth=1
	s_or_b64 exec, exec, s[4:5]
	s_and_b64 s[8:9], s[6:7], vcc
	s_and_saveexec_b64 s[4:5], s[8:9]
	s_cbranch_execz .LBB82_3
; %bb.58:                               ;   in Loop: Header=BB82_4 Depth=1
	v_lshl_add_u64 v[0:1], v[28:29], 3, v[0:1]
	global_load_dwordx2 v[2:3], v[0:1], off
	v_pk_mul_f32 v[4:5], v[12:13], s[44:45] op_sel_hi:[0,1]
	v_pk_fma_f32 v[6:7], v[14:15], s[18:19], v[4:5] neg_lo:[0,0,1] neg_hi:[0,0,1]
	v_pk_fma_f32 v[4:5], v[14:15], s[18:19], v[4:5] op_sel_hi:[0,1,1]
	v_mov_b32_e32 v7, v5
	s_waitcnt vmcnt(0)
	v_pk_add_f32 v[2:3], v[2:3], v[6:7]
	global_store_dwordx2 v[0:1], v[2:3], off
	s_branch .LBB82_3
.LBB82_59:
	s_endpgm
	.section	.rodata,"a",@progbits
	.p2align	6, 0x0
	.amdhsa_kernel _ZL30rocblas_trmm_outofplace_kernelI19rocblas_complex_numIfELi32ELi2ELb1ELb1ELb1ELb1EPKS1_S2_S1_Ev17rocblas_diagonal_iiT6_lPT7_lllS7_lllPT8_llli
		.amdhsa_group_segment_fixed_size 16384
		.amdhsa_private_segment_fixed_size 0
		.amdhsa_kernarg_size 392
		.amdhsa_user_sgpr_count 2
		.amdhsa_user_sgpr_dispatch_ptr 0
		.amdhsa_user_sgpr_queue_ptr 0
		.amdhsa_user_sgpr_kernarg_segment_ptr 1
		.amdhsa_user_sgpr_dispatch_id 0
		.amdhsa_user_sgpr_kernarg_preload_length 0
		.amdhsa_user_sgpr_kernarg_preload_offset 0
		.amdhsa_user_sgpr_private_segment_size 0
		.amdhsa_uses_dynamic_stack 0
		.amdhsa_enable_private_segment 0
		.amdhsa_system_sgpr_workgroup_id_x 1
		.amdhsa_system_sgpr_workgroup_id_y 1
		.amdhsa_system_sgpr_workgroup_id_z 1
		.amdhsa_system_sgpr_workgroup_info 0
		.amdhsa_system_vgpr_workitem_id 1
		.amdhsa_next_free_vgpr 78
		.amdhsa_next_free_sgpr 56
		.amdhsa_accum_offset 80
		.amdhsa_reserve_vcc 1
		.amdhsa_float_round_mode_32 0
		.amdhsa_float_round_mode_16_64 0
		.amdhsa_float_denorm_mode_32 3
		.amdhsa_float_denorm_mode_16_64 3
		.amdhsa_dx10_clamp 1
		.amdhsa_ieee_mode 1
		.amdhsa_fp16_overflow 0
		.amdhsa_tg_split 0
		.amdhsa_exception_fp_ieee_invalid_op 0
		.amdhsa_exception_fp_denorm_src 0
		.amdhsa_exception_fp_ieee_div_zero 0
		.amdhsa_exception_fp_ieee_overflow 0
		.amdhsa_exception_fp_ieee_underflow 0
		.amdhsa_exception_fp_ieee_inexact 0
		.amdhsa_exception_int_div_zero 0
	.end_amdhsa_kernel
	.section	.text._ZL30rocblas_trmm_outofplace_kernelI19rocblas_complex_numIfELi32ELi2ELb1ELb1ELb1ELb1EPKS1_S2_S1_Ev17rocblas_diagonal_iiT6_lPT7_lllS7_lllPT8_llli,"axG",@progbits,_ZL30rocblas_trmm_outofplace_kernelI19rocblas_complex_numIfELi32ELi2ELb1ELb1ELb1ELb1EPKS1_S2_S1_Ev17rocblas_diagonal_iiT6_lPT7_lllS7_lllPT8_llli,comdat
.Lfunc_end82:
	.size	_ZL30rocblas_trmm_outofplace_kernelI19rocblas_complex_numIfELi32ELi2ELb1ELb1ELb1ELb1EPKS1_S2_S1_Ev17rocblas_diagonal_iiT6_lPT7_lllS7_lllPT8_llli, .Lfunc_end82-_ZL30rocblas_trmm_outofplace_kernelI19rocblas_complex_numIfELi32ELi2ELb1ELb1ELb1ELb1EPKS1_S2_S1_Ev17rocblas_diagonal_iiT6_lPT7_lllS7_lllPT8_llli
                                        ; -- End function
	.set _ZL30rocblas_trmm_outofplace_kernelI19rocblas_complex_numIfELi32ELi2ELb1ELb1ELb1ELb1EPKS1_S2_S1_Ev17rocblas_diagonal_iiT6_lPT7_lllS7_lllPT8_llli.num_vgpr, 78
	.set _ZL30rocblas_trmm_outofplace_kernelI19rocblas_complex_numIfELi32ELi2ELb1ELb1ELb1ELb1EPKS1_S2_S1_Ev17rocblas_diagonal_iiT6_lPT7_lllS7_lllPT8_llli.num_agpr, 0
	.set _ZL30rocblas_trmm_outofplace_kernelI19rocblas_complex_numIfELi32ELi2ELb1ELb1ELb1ELb1EPKS1_S2_S1_Ev17rocblas_diagonal_iiT6_lPT7_lllS7_lllPT8_llli.numbered_sgpr, 56
	.set _ZL30rocblas_trmm_outofplace_kernelI19rocblas_complex_numIfELi32ELi2ELb1ELb1ELb1ELb1EPKS1_S2_S1_Ev17rocblas_diagonal_iiT6_lPT7_lllS7_lllPT8_llli.num_named_barrier, 0
	.set _ZL30rocblas_trmm_outofplace_kernelI19rocblas_complex_numIfELi32ELi2ELb1ELb1ELb1ELb1EPKS1_S2_S1_Ev17rocblas_diagonal_iiT6_lPT7_lllS7_lllPT8_llli.private_seg_size, 0
	.set _ZL30rocblas_trmm_outofplace_kernelI19rocblas_complex_numIfELi32ELi2ELb1ELb1ELb1ELb1EPKS1_S2_S1_Ev17rocblas_diagonal_iiT6_lPT7_lllS7_lllPT8_llli.uses_vcc, 1
	.set _ZL30rocblas_trmm_outofplace_kernelI19rocblas_complex_numIfELi32ELi2ELb1ELb1ELb1ELb1EPKS1_S2_S1_Ev17rocblas_diagonal_iiT6_lPT7_lllS7_lllPT8_llli.uses_flat_scratch, 0
	.set _ZL30rocblas_trmm_outofplace_kernelI19rocblas_complex_numIfELi32ELi2ELb1ELb1ELb1ELb1EPKS1_S2_S1_Ev17rocblas_diagonal_iiT6_lPT7_lllS7_lllPT8_llli.has_dyn_sized_stack, 0
	.set _ZL30rocblas_trmm_outofplace_kernelI19rocblas_complex_numIfELi32ELi2ELb1ELb1ELb1ELb1EPKS1_S2_S1_Ev17rocblas_diagonal_iiT6_lPT7_lllS7_lllPT8_llli.has_recursion, 0
	.set _ZL30rocblas_trmm_outofplace_kernelI19rocblas_complex_numIfELi32ELi2ELb1ELb1ELb1ELb1EPKS1_S2_S1_Ev17rocblas_diagonal_iiT6_lPT7_lllS7_lllPT8_llli.has_indirect_call, 0
	.section	.AMDGPU.csdata,"",@progbits
; Kernel info:
; codeLenInByte = 6360
; TotalNumSgprs: 62
; NumVgprs: 78
; NumAgprs: 0
; TotalNumVgprs: 78
; ScratchSize: 0
; MemoryBound: 0
; FloatMode: 240
; IeeeMode: 1
; LDSByteSize: 16384 bytes/workgroup (compile time only)
; SGPRBlocks: 7
; VGPRBlocks: 9
; NumSGPRsForWavesPerEU: 62
; NumVGPRsForWavesPerEU: 78
; AccumOffset: 80
; Occupancy: 6
; WaveLimiterHint : 0
; COMPUTE_PGM_RSRC2:SCRATCH_EN: 0
; COMPUTE_PGM_RSRC2:USER_SGPR: 2
; COMPUTE_PGM_RSRC2:TRAP_HANDLER: 0
; COMPUTE_PGM_RSRC2:TGID_X_EN: 1
; COMPUTE_PGM_RSRC2:TGID_Y_EN: 1
; COMPUTE_PGM_RSRC2:TGID_Z_EN: 1
; COMPUTE_PGM_RSRC2:TIDIG_COMP_CNT: 1
; COMPUTE_PGM_RSRC3_GFX90A:ACCUM_OFFSET: 19
; COMPUTE_PGM_RSRC3_GFX90A:TG_SPLIT: 0
	.section	.text._ZL30rocblas_trmm_outofplace_kernelI19rocblas_complex_numIfELi32ELi2ELb1ELb1ELb1ELb1ES1_KS1_S1_Ev17rocblas_diagonal_iiT6_lPT7_lllS6_lllPT8_llli,"axG",@progbits,_ZL30rocblas_trmm_outofplace_kernelI19rocblas_complex_numIfELi32ELi2ELb1ELb1ELb1ELb1ES1_KS1_S1_Ev17rocblas_diagonal_iiT6_lPT7_lllS6_lllPT8_llli,comdat
	.globl	_ZL30rocblas_trmm_outofplace_kernelI19rocblas_complex_numIfELi32ELi2ELb1ELb1ELb1ELb1ES1_KS1_S1_Ev17rocblas_diagonal_iiT6_lPT7_lllS6_lllPT8_llli ; -- Begin function _ZL30rocblas_trmm_outofplace_kernelI19rocblas_complex_numIfELi32ELi2ELb1ELb1ELb1ELb1ES1_KS1_S1_Ev17rocblas_diagonal_iiT6_lPT7_lllS6_lllPT8_llli
	.p2align	8
	.type	_ZL30rocblas_trmm_outofplace_kernelI19rocblas_complex_numIfELi32ELi2ELb1ELb1ELb1ELb1ES1_KS1_S1_Ev17rocblas_diagonal_iiT6_lPT7_lllS6_lllPT8_llli,@function
_ZL30rocblas_trmm_outofplace_kernelI19rocblas_complex_numIfELi32ELi2ELb1ELb1ELb1ELb1ES1_KS1_S1_Ev17rocblas_diagonal_iiT6_lPT7_lllS6_lllPT8_llli: ; @_ZL30rocblas_trmm_outofplace_kernelI19rocblas_complex_numIfELi32ELi2ELb1ELb1ELb1ELb1ES1_KS1_S1_Ev17rocblas_diagonal_iiT6_lPT7_lllS6_lllPT8_llli
; %bb.0:
	s_load_dwordx4 s[24:27], s[0:1], 0x0
	s_load_dword s29, s[0:1], 0x10
	s_waitcnt lgkmcnt(0)
	s_or_b32 s5, s27, s29
	s_bitset0_b32 s5, 31
	s_cmp_eq_u32 s5, 0
	s_cbranch_scc1 .LBB83_59
; %bb.1:
	s_add_i32 s5, s26, -1
	s_ashr_i32 s6, s5, 31
	s_lshr_b32 s6, s6, 27
	s_add_i32 s5, s5, s6
	s_ashr_i32 s33, s5, 5
	s_cmp_gt_i32 s3, s33
	s_cbranch_scc1 .LBB83_59
; %bb.2:
	s_load_dwordx16 s[36:51], s[0:1], 0x20
	s_load_dwordx8 s[16:23], s[0:1], 0x60
	v_and_b32_e32 v14, 0x3ff, v0
	v_bfe_u32 v12, v0, 10, 10
	v_mov_b32_e32 v13, 0
	s_waitcnt lgkmcnt(0)
	s_mul_i32 s5, s43, s4
	s_mul_hi_u32 s6, s42, s4
	s_add_i32 s7, s6, s5
	s_mul_i32 s6, s42, s4
	s_lshl_b64 s[8:9], s[6:7], 3
	s_add_u32 s5, s36, s8
	s_addc_u32 s7, s37, s9
	s_lshl_b64 s[10:11], s[38:39], 3
	s_add_u32 s6, s5, s10
	s_mul_i32 s5, s23, s4
	s_mul_hi_u32 s12, s22, s4
	s_addc_u32 s7, s7, s11
	s_add_i32 s13, s12, s5
	s_mul_i32 s12, s22, s4
	s_lshl_b64 s[12:13], s[12:13], 3
	s_add_u32 s5, s16, s12
	s_addc_u32 s14, s17, s13
	s_lshl_b64 s[12:13], s[18:19], 3
	s_add_u32 s22, s5, s12
	s_addc_u32 s23, s14, s13
	s_lshl_b32 s52, s2, 5
	v_add_u32_e32 v16, s52, v14
	v_mad_u64_u32 v[0:1], s[12:13], s40, v16, 0
	s_cmp_gt_i32 s2, -1
	s_cselect_b64 s[12:13], -1, 0
	s_cmpk_eq_i32 s24, 0x84
	v_ashrrev_i32_e32 v17, 31, v16
	s_cselect_b64 s[30:31], -1, 0
	s_ashr_i32 s35, s25, 31
	s_ashr_i32 s2, s26, 31
	v_mul_lo_u32 v2, s40, v17
	v_mul_lo_u32 v3, s41, v16
	s_add_u32 s38, s25, -16
	v_add3_u32 v1, v1, v2, v3
	s_addc_u32 s39, s35, -1
	v_lshl_add_u64 v[0:1], v[0:1], 3, s[6:7]
	v_lshlrev_b32_e32 v2, 3, v12
	v_mov_b32_e32 v3, v13
	s_add_u32 s8, s10, s8
	v_lshl_add_u64 v[18:19], v[0:1], 0, v[2:3]
	v_lshlrev_b32_e32 v0, 8, v12
	v_lshlrev_b32_e32 v20, 3, v14
	v_mov_b64_e32 v[32:33], 0x80
	s_addc_u32 s9, s11, s9
	v_add_u32_e32 v43, v20, v0
	v_add_u32_e32 v49, 0x2000, v0
	v_lshl_add_u64 v[0:1], v[16:17], 3, v[32:33]
	v_mov_b64_e32 v[4:5], s[8:9]
	v_mul_lo_u32 v6, s40, v1
	v_mul_lo_u32 v7, s41, v0
	v_mad_u64_u32 v[0:1], s[8:9], s40, v0, v[4:5]
	s_mul_i32 s5, s51, s4
	s_mul_hi_u32 s8, s50, s4
	s_add_i32 s5, s8, s5
	s_mul_i32 s4, s50, s4
	s_load_dword s54, s[0:1], 0x8c
	s_lshl_b64 s[4:5], s[4:5], 3
	s_lshl_b64 s[8:9], s[46:47], 3
	s_add_u32 s4, s4, s8
	v_add3_u32 v1, v7, v1, v6
	s_addc_u32 s5, s5, s9
	v_sub_co_u32_e32 v26, vcc, v16, v12
	v_lshl_add_u64 v[0:1], v[0:1], 0, v[2:3]
	s_add_u32 s4, s44, s4
	s_mov_b32 s34, s25
	v_lshl_add_u64 v[22:23], v[16:17], 0, 16
	v_add_u32_e32 v24, 16, v16
	v_subbrev_co_u32_e32 v27, vcc, 0, v17, vcc
	v_lshl_add_u64 v[34:35], s[36:37], 0, v[0:1]
	v_mov_b32_e32 v21, v13
	s_addc_u32 s5, s45, s5
	v_cndmask_b32_e64 v0, 0, 1, s[12:13]
	s_mov_b32 s28, s27
	v_mov_b32_e32 v15, v13
	s_mov_b32 s53, s26
	v_add_u32_e32 v51, v49, v20
	v_cmp_le_i32_e64 s[0:1], s25, v16
	v_cmp_le_i64_e64 s[16:17], s[34:35], v[22:23]
	v_cmp_gt_i32_e64 s[18:19], s25, v16
	v_cmp_gt_i32_e64 s[6:7], s25, v24
	v_ashrrev_i32_e32 v25, 31, v24
	s_mov_b32 s24, s29
	s_mov_b32 s25, s27
	v_lshl_add_u64 v[28:29], v[26:27], 0, 16
	v_lshl_add_u64 v[30:31], v[26:27], 0, -16
	v_lshl_add_u64 v[36:37], s[4:5], 0, v[20:21]
	s_lshl_b64 s[36:37], s[48:49], 3
	v_lshl_add_u32 v38, s3, 5, v12
	s_waitcnt lgkmcnt(0)
	s_lshl_b32 s27, s54, 5
	v_cmp_ne_u32_e64 s[8:9], 1, v0
	v_mov_b32_e32 v64, v13
	v_mov_b32_e32 v65, v13
	v_mov_b32_e32 v40, 1.0
	v_mov_b32_e32 v41, v13
	v_add_u32_e32 v53, 0x800, v20
	v_add_u32_e32 v55, 0x1000, v20
	;; [unrolled: 1-line block ×3, first 2 shown]
	s_branch .LBB83_4
.LBB83_3:                               ;   in Loop: Header=BB83_4 Depth=1
	s_or_b64 exec, exec, s[4:5]
	s_add_i32 s3, s54, s3
	s_cmp_le_i32 s3, s33
	v_add_u32_e32 v38, s27, v38
	s_cbranch_scc0 .LBB83_59
.LBB83_4:                               ; =>This Loop Header: Depth=1
                                        ;     Child Loop BB83_7 Depth 2
	v_lshl_add_u32 v42, s3, 5, v12
	v_ashrrev_i32_e32 v21, 31, v42
	s_and_b64 vcc, exec, s[8:9]
	v_mov_b32_e32 v60, 0
	v_mov_b32_e32 v62, 0
	;; [unrolled: 1-line block ×8, first 2 shown]
	s_cbranch_vccnz .LBB83_51
; %bb.5:                                ;   in Loop: Header=BB83_4 Depth=1
	v_ashrrev_i32_e32 v39, 31, v38
	v_mad_u64_u32 v[44:45], s[4:5], s36, v38, v[36:37]
	v_mul_lo_u32 v0, s37, v38
	v_mul_lo_u32 v1, s36, v39
	v_add3_u32 v45, v0, v45, v1
	v_lshl_add_u64 v[0:1], v[38:39], 3, v[32:33]
	v_mul_lo_u32 v1, s48, v1
	v_mul_lo_u32 v2, s49, v0
	v_mad_u64_u32 v[46:47], s[4:5], s48, v0, v[36:37]
	v_add3_u32 v47, v2, v47, v1
	v_mov_b32_e32 v1, s2
	v_sub_co_u32_e32 v0, vcc, s53, v42
	s_mov_b64 s[40:41], 0
	s_nop 0
	v_subb_co_u32_e32 v1, vcc, v1, v21, vcc
	v_cmp_lt_i64_e32 vcc, 0, v[0:1]
	v_cmp_lt_i64_e64 s[10:11], 16, v[0:1]
	v_mov_b32_e32 v48, 0
	s_mov_b64 s[42:43], 0
	v_mov_b32_e32 v50, 0
	v_mov_b32_e32 v54, 0
	;; [unrolled: 1-line block ×7, first 2 shown]
	s_branch .LBB83_7
.LBB83_6:                               ;   in Loop: Header=BB83_7 Depth=2
	s_or_b64 exec, exec, s[4:5]
	s_waitcnt lgkmcnt(0)
	s_barrier
	ds_read2_b64 v[66:69], v20 offset1:16
	ds_read_b128 v[70:73], v49
	ds_read_b128 v[8:11], v49 offset:16
	ds_read_b128 v[4:7], v49 offset:32
	;; [unrolled: 1-line block ×3, first 2 shown]
	ds_read2_b64 v[78:81], v20 offset0:32 offset1:48
	s_waitcnt lgkmcnt(4)
	v_mul_f32_e32 v39, v71, v67
	v_fma_f32 v39, v70, v66, -v39
	v_mul_f32_e32 v59, v70, v67
	v_fmac_f32_e32 v59, v71, v66
	v_add_f32_e32 v39, v60, v39
	v_mul_f32_e32 v60, v71, v69
	v_add_f32_e32 v59, v62, v59
	v_fma_f32 v74, v70, v68, -v60
	ds_read_b128 v[60:63], v49 offset:4096
	v_mul_f32_e32 v70, v70, v69
	v_fmac_f32_e32 v70, v71, v68
	v_add_f32_e32 v56, v56, v74
	v_add_f32_e32 v58, v58, v70
	ds_read_b128 v[74:77], v49 offset:4112
	s_waitcnt lgkmcnt(1)
	v_mul_f32_e32 v70, v61, v67
	v_mul_f32_e32 v67, v60, v67
	v_fma_f32 v70, v60, v66, -v70
	v_fmac_f32_e32 v67, v61, v66
	v_mul_f32_e32 v66, v61, v69
	v_fma_f32 v66, v60, v68, -v66
	v_mul_f32_e32 v60, v60, v69
	v_fmac_f32_e32 v60, v61, v68
	v_add_f32_e32 v48, v48, v60
	v_mul_f32_e32 v60, v73, v79
	v_fma_f32 v60, v72, v78, -v60
	v_mul_f32_e32 v61, v72, v79
	v_fmac_f32_e32 v61, v73, v78
	v_add_f32_e32 v39, v39, v60
	v_mul_f32_e32 v60, v72, v81
	v_add_f32_e32 v50, v50, v66
	v_add_f32_e32 v66, v59, v61
	v_mul_f32_e32 v59, v73, v81
	v_fmac_f32_e32 v60, v73, v80
	v_add_f32_e32 v54, v54, v67
	v_fma_f32 v59, v72, v80, -v59
	v_add_f32_e32 v67, v58, v60
	v_mul_f32_e32 v58, v63, v79
	v_add_f32_e32 v52, v52, v70
	v_add_f32_e32 v56, v56, v59
	v_fma_f32 v58, v62, v78, -v58
	v_mul_f32_e32 v59, v62, v79
	v_fmac_f32_e32 v59, v63, v78
	v_add_f32_e32 v52, v52, v58
	v_mul_f32_e32 v58, v63, v81
	v_add_f32_e32 v54, v54, v59
	v_fma_f32 v68, v62, v80, -v58
	ds_read2_b64 v[58:61], v20 offset0:64 offset1:80
	v_mul_f32_e32 v62, v62, v81
	v_fmac_f32_e32 v62, v63, v80
	v_add_f32_e32 v48, v48, v62
	v_add_f32_e32 v50, v50, v68
	s_waitcnt lgkmcnt(0)
	v_mul_f32_e32 v62, v9, v59
	v_mul_f32_e32 v63, v8, v59
	v_fma_f32 v62, v8, v58, -v62
	v_fmac_f32_e32 v63, v9, v58
	v_add_f32_e32 v39, v39, v62
	v_add_f32_e32 v62, v66, v63
	v_mul_f32_e32 v63, v9, v61
	v_fma_f32 v63, v8, v60, -v63
	v_mul_f32_e32 v8, v8, v61
	v_fmac_f32_e32 v8, v9, v60
	v_add_f32_e32 v8, v67, v8
	ds_read2_b64 v[66:69], v20 offset0:96 offset1:112
	v_add_f32_e32 v9, v56, v63
	v_mul_f32_e32 v56, v75, v59
	v_fma_f32 v56, v74, v58, -v56
	v_mul_f32_e32 v59, v74, v59
	v_fmac_f32_e32 v59, v75, v58
	v_add_f32_e32 v52, v52, v56
	v_mul_f32_e32 v56, v75, v61
	v_mul_f32_e32 v58, v74, v61
	v_fma_f32 v56, v74, v60, -v56
	v_fmac_f32_e32 v58, v75, v60
	v_add_f32_e32 v50, v50, v56
	v_add_f32_e32 v48, v48, v58
	s_waitcnt lgkmcnt(0)
	v_mul_f32_e32 v56, v11, v67
	v_mul_f32_e32 v58, v10, v67
	v_fma_f32 v56, v10, v66, -v56
	v_fmac_f32_e32 v58, v11, v66
	v_add_f32_e32 v39, v39, v56
	v_add_f32_e32 v56, v62, v58
	v_mul_f32_e32 v58, v11, v69
	v_fma_f32 v58, v10, v68, -v58
	v_mul_f32_e32 v10, v10, v69
	v_fmac_f32_e32 v10, v11, v68
	v_add_f32_e32 v63, v8, v10
	v_mul_f32_e32 v8, v77, v67
	v_add_f32_e32 v62, v9, v58
	v_fma_f32 v8, v76, v66, -v8
	v_mul_f32_e32 v9, v76, v67
	v_add_f32_e32 v54, v54, v59
	v_fmac_f32_e32 v9, v77, v66
	v_add_f32_e32 v52, v52, v8
	v_mul_f32_e32 v8, v77, v69
	v_add_f32_e32 v54, v54, v9
	v_fma_f32 v58, v76, v68, -v8
	ds_read2_b64 v[8:11], v20 offset0:128 offset1:144
	v_mul_f32_e32 v59, v76, v69
	v_fmac_f32_e32 v59, v77, v68
	v_add_f32_e32 v50, v50, v58
	v_add_f32_e32 v48, v48, v59
	s_waitcnt lgkmcnt(0)
	v_mul_f32_e32 v58, v5, v9
	v_fma_f32 v58, v4, v8, -v58
	v_mul_f32_e32 v59, v4, v9
	v_fmac_f32_e32 v59, v5, v8
	v_add_f32_e32 v39, v39, v58
	v_mul_f32_e32 v58, v5, v11
	v_add_f32_e32 v56, v56, v59
	v_fma_f32 v66, v4, v10, -v58
	ds_read_b128 v[58:61], v49 offset:4128
	v_mul_f32_e32 v4, v4, v11
	ds_read2_b64 v[70:73], v20 offset0:160 offset1:176
	v_fmac_f32_e32 v4, v5, v10
	v_add_f32_e32 v5, v62, v66
	ds_read_b128 v[66:69], v49 offset:4144
	s_waitcnt lgkmcnt(2)
	v_mul_f32_e32 v62, v59, v9
	v_fma_f32 v62, v58, v8, -v62
	v_mul_f32_e32 v9, v58, v9
	v_fmac_f32_e32 v9, v59, v8
	v_add_f32_e32 v8, v52, v62
	v_mul_f32_e32 v52, v59, v11
	v_mul_f32_e32 v11, v58, v11
	v_fma_f32 v52, v58, v10, -v52
	v_fmac_f32_e32 v11, v59, v10
	v_add_f32_e32 v10, v50, v52
	v_add_f32_e32 v11, v48, v11
	s_waitcnt lgkmcnt(1)
	v_mul_f32_e32 v48, v7, v71
	v_mul_f32_e32 v50, v6, v71
	v_fma_f32 v48, v6, v70, -v48
	v_fmac_f32_e32 v50, v7, v70
	v_add_f32_e32 v39, v39, v48
	v_add_f32_e32 v48, v56, v50
	v_mul_f32_e32 v50, v7, v73
	v_fma_f32 v50, v6, v72, -v50
	v_mul_f32_e32 v6, v6, v73
	v_add_f32_e32 v4, v63, v4
	v_fmac_f32_e32 v6, v7, v72
	v_add_f32_e32 v52, v4, v6
	v_mul_f32_e32 v4, v61, v71
	v_add_f32_e32 v50, v5, v50
	v_fma_f32 v4, v60, v70, -v4
	v_mul_f32_e32 v5, v60, v71
	v_add_f32_e32 v9, v54, v9
	v_fmac_f32_e32 v5, v61, v70
	v_add_f32_e32 v8, v8, v4
	v_mul_f32_e32 v4, v61, v73
	v_add_f32_e32 v9, v9, v5
	v_fma_f32 v54, v60, v72, -v4
	ds_read2_b64 v[4:7], v20 offset0:192 offset1:208
	v_add_f32_e32 v54, v10, v54
	v_mul_f32_e32 v56, v60, v73
	v_fmac_f32_e32 v56, v61, v72
	v_add_f32_e32 v56, v11, v56
	s_waitcnt lgkmcnt(0)
	v_mul_f32_e32 v10, v1, v5
	v_fma_f32 v10, v0, v4, -v10
	v_add_f32_e32 v39, v39, v10
	v_mul_f32_e32 v10, v1, v7
	v_mul_f32_e32 v11, v0, v5
	v_fma_f32 v10, v0, v6, -v10
	v_mul_f32_e32 v0, v0, v7
	v_fmac_f32_e32 v11, v1, v4
	v_fmac_f32_e32 v0, v1, v6
	v_add_f32_e32 v1, v50, v10
	v_mul_f32_e32 v10, v67, v5
	v_fma_f32 v10, v66, v4, -v10
	v_mul_f32_e32 v5, v66, v5
	v_fmac_f32_e32 v5, v67, v4
	v_add_f32_e32 v4, v8, v10
	v_mul_f32_e32 v8, v67, v7
	v_add_f32_e32 v48, v48, v11
	v_add_f32_e32 v5, v9, v5
	v_fma_f32 v50, v66, v6, -v8
	ds_read2_b64 v[8:11], v20 offset0:224 offset1:240
	v_mul_f32_e32 v7, v66, v7
	v_fmac_f32_e32 v7, v67, v6
	v_add_f32_e32 v0, v52, v0
	v_add_f32_e32 v52, v56, v7
	s_waitcnt lgkmcnt(0)
	v_mul_f32_e32 v6, v3, v9
	v_fma_f32 v6, v2, v8, -v6
	v_add_f32_e32 v39, v39, v6
	v_mul_f32_e32 v6, v3, v11
	v_mul_f32_e32 v7, v2, v9
	v_fma_f32 v6, v2, v10, -v6
	v_mul_f32_e32 v2, v2, v11
	v_fmac_f32_e32 v2, v3, v10
	v_add_f32_e32 v56, v0, v2
	v_mul_f32_e32 v0, v69, v9
	v_add_f32_e32 v50, v54, v50
	v_add_f32_e32 v54, v1, v6
	v_fma_f32 v0, v68, v8, -v0
	v_mul_f32_e32 v1, v68, v9
	v_fmac_f32_e32 v7, v3, v8
	v_fmac_f32_e32 v1, v69, v8
	v_add_f32_e32 v62, v4, v0
	v_mul_f32_e32 v0, v69, v11
	v_add_f32_e32 v48, v48, v7
	v_add_f32_e32 v63, v5, v1
	v_fma_f32 v8, v68, v10, -v0
	ds_read_b128 v[0:3], v49 offset:64
	ds_read2_b64 v[4:7], v53 offset1:16
	v_mul_f32_e32 v9, v68, v11
	v_fmac_f32_e32 v9, v69, v10
	v_add_f32_e32 v50, v50, v8
	v_add_f32_e32 v52, v52, v9
	s_waitcnt lgkmcnt(0)
	v_mul_f32_e32 v58, v1, v5
	v_fma_f32 v58, v0, v4, -v58
	v_mul_f32_e32 v59, v0, v5
	v_fmac_f32_e32 v59, v1, v4
	v_add_f32_e32 v39, v39, v58
	v_mul_f32_e32 v58, v1, v7
	ds_read_b128 v[8:11], v49 offset:80
	v_add_f32_e32 v48, v48, v59
	v_fma_f32 v66, v0, v6, -v58
	ds_read_b128 v[58:61], v49 offset:4160
	v_mul_f32_e32 v0, v0, v7
	ds_read2_b64 v[70:73], v53 offset0:32 offset1:48
	v_fmac_f32_e32 v0, v1, v6
	v_add_f32_e32 v1, v54, v66
	s_waitcnt lgkmcnt(1)
	v_mul_f32_e32 v54, v59, v5
	v_fma_f32 v54, v58, v4, -v54
	v_mul_f32_e32 v5, v58, v5
	v_fmac_f32_e32 v5, v59, v4
	v_add_f32_e32 v4, v62, v54
	v_mul_f32_e32 v54, v59, v7
	v_fma_f32 v54, v58, v6, -v54
	v_mul_f32_e32 v7, v58, v7
	v_fmac_f32_e32 v7, v59, v6
	v_add_f32_e32 v6, v50, v54
	s_waitcnt lgkmcnt(0)
	v_mul_f32_e32 v50, v3, v71
	v_fma_f32 v50, v2, v70, -v50
	v_add_f32_e32 v39, v39, v50
	v_mul_f32_e32 v50, v3, v73
	v_add_f32_e32 v7, v52, v7
	v_mul_f32_e32 v52, v2, v71
	v_fma_f32 v50, v2, v72, -v50
	v_mul_f32_e32 v2, v2, v73
	v_add_f32_e32 v0, v56, v0
	v_fmac_f32_e32 v52, v3, v70
	v_fmac_f32_e32 v2, v3, v72
	v_add_f32_e32 v48, v48, v52
	v_add_f32_e32 v52, v0, v2
	v_mul_f32_e32 v0, v61, v71
	v_add_f32_e32 v50, v1, v50
	v_fma_f32 v0, v60, v70, -v0
	v_mul_f32_e32 v1, v60, v71
	v_add_f32_e32 v5, v63, v5
	v_fmac_f32_e32 v1, v61, v70
	v_add_f32_e32 v4, v4, v0
	v_mul_f32_e32 v0, v61, v73
	v_add_f32_e32 v5, v5, v1
	v_fma_f32 v54, v60, v72, -v0
	ds_read2_b64 v[0:3], v53 offset0:64 offset1:80
	ds_read_b128 v[66:69], v49 offset:4176
	v_mul_f32_e32 v56, v60, v73
	v_add_f32_e32 v54, v6, v54
	v_fmac_f32_e32 v56, v61, v72
	s_waitcnt lgkmcnt(1)
	v_mul_f32_e32 v6, v9, v1
	v_fma_f32 v6, v8, v0, -v6
	v_add_f32_e32 v56, v7, v56
	v_mul_f32_e32 v7, v8, v1
	v_add_f32_e32 v39, v39, v6
	v_mul_f32_e32 v6, v9, v3
	v_fmac_f32_e32 v7, v9, v0
	v_fma_f32 v6, v8, v2, -v6
	v_add_f32_e32 v48, v48, v7
	v_mul_f32_e32 v7, v8, v3
	v_add_f32_e32 v8, v50, v6
	s_waitcnt lgkmcnt(0)
	v_mul_f32_e32 v6, v67, v1
	v_fma_f32 v6, v66, v0, -v6
	v_mul_f32_e32 v1, v66, v1
	v_fmac_f32_e32 v7, v9, v2
	v_fmac_f32_e32 v1, v67, v0
	v_add_f32_e32 v0, v4, v6
	v_mul_f32_e32 v4, v67, v3
	v_add_f32_e32 v9, v52, v7
	v_add_f32_e32 v1, v5, v1
	v_fma_f32 v50, v66, v2, -v4
	ds_read2_b64 v[4:7], v53 offset0:96 offset1:112
	v_mul_f32_e32 v3, v66, v3
	v_fmac_f32_e32 v3, v67, v2
	v_add_f32_e32 v52, v56, v3
	v_add_f32_e32 v50, v54, v50
	s_waitcnt lgkmcnt(0)
	v_mul_f32_e32 v2, v11, v5
	v_fma_f32 v2, v10, v4, -v2
	v_mul_f32_e32 v3, v10, v5
	v_fmac_f32_e32 v3, v11, v4
	v_add_f32_e32 v39, v39, v2
	v_mul_f32_e32 v2, v11, v7
	v_add_f32_e32 v48, v48, v3
	v_fma_f32 v2, v10, v6, -v2
	v_mul_f32_e32 v3, v10, v7
	v_fmac_f32_e32 v3, v11, v6
	v_add_f32_e32 v54, v8, v2
	v_mul_f32_e32 v2, v69, v5
	v_add_f32_e32 v56, v9, v3
	;; [unrolled: 6-line block ×3, first 2 shown]
	v_fma_f32 v4, v68, v6, -v0
	ds_read_b128 v[0:3], v49 offset:96
	ds_read2_b64 v[8:11], v53 offset0:128 offset1:144
	v_mul_f32_e32 v5, v68, v7
	v_fmac_f32_e32 v5, v69, v6
	v_add_f32_e32 v50, v50, v4
	v_add_f32_e32 v52, v52, v5
	s_waitcnt lgkmcnt(0)
	v_mul_f32_e32 v58, v1, v9
	v_fma_f32 v58, v0, v8, -v58
	v_mul_f32_e32 v59, v0, v9
	v_fmac_f32_e32 v59, v1, v8
	v_add_f32_e32 v39, v39, v58
	v_mul_f32_e32 v58, v1, v11
	ds_read_b128 v[4:7], v49 offset:112
	v_add_f32_e32 v48, v48, v59
	v_fma_f32 v66, v0, v10, -v58
	ds_read_b128 v[58:61], v49 offset:4192
	v_mul_f32_e32 v0, v0, v11
	ds_read2_b64 v[70:73], v53 offset0:160 offset1:176
	v_fmac_f32_e32 v0, v1, v10
	v_add_f32_e32 v1, v54, v66
	s_waitcnt lgkmcnt(1)
	v_mul_f32_e32 v54, v59, v9
	v_fma_f32 v54, v58, v8, -v54
	v_mul_f32_e32 v9, v58, v9
	v_fmac_f32_e32 v9, v59, v8
	v_add_f32_e32 v8, v62, v54
	v_mul_f32_e32 v54, v59, v11
	v_fma_f32 v54, v58, v10, -v54
	v_mul_f32_e32 v11, v58, v11
	v_fmac_f32_e32 v11, v59, v10
	v_add_f32_e32 v10, v50, v54
	s_waitcnt lgkmcnt(0)
	v_mul_f32_e32 v50, v3, v71
	v_fma_f32 v50, v2, v70, -v50
	v_add_f32_e32 v39, v39, v50
	v_mul_f32_e32 v50, v3, v73
	v_add_f32_e32 v11, v52, v11
	v_mul_f32_e32 v52, v2, v71
	v_fma_f32 v50, v2, v72, -v50
	v_mul_f32_e32 v2, v2, v73
	v_add_f32_e32 v0, v56, v0
	v_fmac_f32_e32 v52, v3, v70
	v_fmac_f32_e32 v2, v3, v72
	v_add_f32_e32 v48, v48, v52
	v_add_f32_e32 v52, v0, v2
	v_mul_f32_e32 v0, v61, v71
	v_add_f32_e32 v50, v1, v50
	v_fma_f32 v0, v60, v70, -v0
	v_mul_f32_e32 v1, v60, v71
	v_add_f32_e32 v9, v63, v9
	v_fmac_f32_e32 v1, v61, v70
	v_add_f32_e32 v8, v8, v0
	v_mul_f32_e32 v0, v61, v73
	v_add_f32_e32 v9, v9, v1
	v_fma_f32 v54, v60, v72, -v0
	ds_read2_b64 v[0:3], v53 offset0:192 offset1:208
	ds_read_b128 v[66:69], v49 offset:4208
	v_add_f32_e32 v54, v10, v54
	v_mul_f32_e32 v56, v60, v73
	v_fmac_f32_e32 v56, v61, v72
	s_waitcnt lgkmcnt(1)
	v_mul_f32_e32 v10, v5, v1
	v_fma_f32 v10, v4, v0, -v10
	v_add_f32_e32 v39, v39, v10
	v_mul_f32_e32 v10, v5, v3
	v_add_f32_e32 v56, v11, v56
	v_mul_f32_e32 v11, v4, v1
	v_fma_f32 v10, v4, v2, -v10
	v_mul_f32_e32 v4, v4, v3
	v_fmac_f32_e32 v11, v5, v0
	v_fmac_f32_e32 v4, v5, v2
	v_add_f32_e32 v5, v50, v10
	s_waitcnt lgkmcnt(0)
	v_mul_f32_e32 v10, v67, v1
	v_fma_f32 v10, v66, v0, -v10
	v_mul_f32_e32 v1, v66, v1
	v_fmac_f32_e32 v1, v67, v0
	v_add_f32_e32 v0, v8, v10
	v_mul_f32_e32 v8, v67, v3
	v_add_f32_e32 v48, v48, v11
	v_add_f32_e32 v1, v9, v1
	v_fma_f32 v50, v66, v2, -v8
	ds_read2_b64 v[8:11], v53 offset0:224 offset1:240
	v_mul_f32_e32 v3, v66, v3
	v_fmac_f32_e32 v3, v67, v2
	v_add_f32_e32 v4, v52, v4
	v_add_f32_e32 v52, v56, v3
	s_waitcnt lgkmcnt(0)
	v_mul_f32_e32 v2, v7, v9
	v_fma_f32 v2, v6, v8, -v2
	v_mul_f32_e32 v3, v6, v9
	v_fmac_f32_e32 v3, v7, v8
	v_add_f32_e32 v39, v39, v2
	v_mul_f32_e32 v2, v7, v11
	v_add_f32_e32 v48, v48, v3
	v_fma_f32 v2, v6, v10, -v2
	v_mul_f32_e32 v3, v6, v11
	v_add_f32_e32 v50, v54, v50
	v_fmac_f32_e32 v3, v7, v10
	v_add_f32_e32 v54, v5, v2
	v_mul_f32_e32 v2, v69, v9
	v_add_f32_e32 v56, v4, v3
	v_fma_f32 v2, v68, v8, -v2
	v_mul_f32_e32 v3, v68, v9
	v_fmac_f32_e32 v3, v69, v8
	v_add_f32_e32 v62, v0, v2
	v_mul_f32_e32 v0, v69, v11
	v_add_f32_e32 v63, v1, v3
	v_fma_f32 v8, v68, v10, -v0
	ds_read_b128 v[0:3], v49 offset:128
	ds_read2_b64 v[4:7], v55 offset1:16
	v_mul_f32_e32 v9, v68, v11
	v_fmac_f32_e32 v9, v69, v10
	v_add_f32_e32 v50, v50, v8
	v_add_f32_e32 v52, v52, v9
	s_waitcnt lgkmcnt(0)
	v_mul_f32_e32 v58, v1, v5
	v_fma_f32 v58, v0, v4, -v58
	v_mul_f32_e32 v59, v0, v5
	v_fmac_f32_e32 v59, v1, v4
	v_add_f32_e32 v39, v39, v58
	v_mul_f32_e32 v58, v1, v7
	ds_read_b128 v[8:11], v49 offset:144
	v_add_f32_e32 v48, v48, v59
	v_fma_f32 v66, v0, v6, -v58
	ds_read_b128 v[58:61], v49 offset:4224
	v_mul_f32_e32 v0, v0, v7
	ds_read2_b64 v[70:73], v55 offset0:32 offset1:48
	v_fmac_f32_e32 v0, v1, v6
	v_add_f32_e32 v1, v54, v66
	s_waitcnt lgkmcnt(1)
	v_mul_f32_e32 v54, v59, v5
	v_fma_f32 v54, v58, v4, -v54
	v_mul_f32_e32 v5, v58, v5
	v_fmac_f32_e32 v5, v59, v4
	v_add_f32_e32 v4, v62, v54
	v_mul_f32_e32 v54, v59, v7
	v_fma_f32 v54, v58, v6, -v54
	v_mul_f32_e32 v7, v58, v7
	v_fmac_f32_e32 v7, v59, v6
	v_add_f32_e32 v6, v50, v54
	s_waitcnt lgkmcnt(0)
	v_mul_f32_e32 v50, v3, v71
	v_fma_f32 v50, v2, v70, -v50
	v_add_f32_e32 v39, v39, v50
	v_mul_f32_e32 v50, v3, v73
	v_add_f32_e32 v7, v52, v7
	v_mul_f32_e32 v52, v2, v71
	v_fma_f32 v50, v2, v72, -v50
	v_mul_f32_e32 v2, v2, v73
	v_add_f32_e32 v0, v56, v0
	v_fmac_f32_e32 v52, v3, v70
	v_fmac_f32_e32 v2, v3, v72
	v_add_f32_e32 v48, v48, v52
	v_add_f32_e32 v52, v0, v2
	v_mul_f32_e32 v0, v61, v71
	v_add_f32_e32 v50, v1, v50
	v_fma_f32 v0, v60, v70, -v0
	v_mul_f32_e32 v1, v60, v71
	v_add_f32_e32 v5, v63, v5
	v_fmac_f32_e32 v1, v61, v70
	v_add_f32_e32 v4, v4, v0
	v_mul_f32_e32 v0, v61, v73
	v_add_f32_e32 v5, v5, v1
	v_fma_f32 v54, v60, v72, -v0
	ds_read2_b64 v[0:3], v55 offset0:64 offset1:80
	ds_read_b128 v[66:69], v49 offset:4240
	v_mul_f32_e32 v56, v60, v73
	v_add_f32_e32 v54, v6, v54
	v_fmac_f32_e32 v56, v61, v72
	s_waitcnt lgkmcnt(1)
	v_mul_f32_e32 v6, v9, v1
	v_fma_f32 v6, v8, v0, -v6
	v_add_f32_e32 v56, v7, v56
	v_mul_f32_e32 v7, v8, v1
	v_add_f32_e32 v39, v39, v6
	v_mul_f32_e32 v6, v9, v3
	v_fmac_f32_e32 v7, v9, v0
	v_fma_f32 v6, v8, v2, -v6
	v_add_f32_e32 v48, v48, v7
	v_mul_f32_e32 v7, v8, v3
	v_add_f32_e32 v8, v50, v6
	s_waitcnt lgkmcnt(0)
	v_mul_f32_e32 v6, v67, v1
	v_fma_f32 v6, v66, v0, -v6
	v_mul_f32_e32 v1, v66, v1
	v_fmac_f32_e32 v7, v9, v2
	v_fmac_f32_e32 v1, v67, v0
	v_add_f32_e32 v0, v4, v6
	v_mul_f32_e32 v4, v67, v3
	v_add_f32_e32 v9, v52, v7
	v_add_f32_e32 v1, v5, v1
	v_fma_f32 v50, v66, v2, -v4
	ds_read2_b64 v[4:7], v55 offset0:96 offset1:112
	v_mul_f32_e32 v3, v66, v3
	v_fmac_f32_e32 v3, v67, v2
	v_add_f32_e32 v52, v56, v3
	v_add_f32_e32 v50, v54, v50
	s_waitcnt lgkmcnt(0)
	v_mul_f32_e32 v2, v11, v5
	v_fma_f32 v2, v10, v4, -v2
	v_mul_f32_e32 v3, v10, v5
	v_fmac_f32_e32 v3, v11, v4
	v_add_f32_e32 v39, v39, v2
	v_mul_f32_e32 v2, v11, v7
	v_add_f32_e32 v48, v48, v3
	v_fma_f32 v2, v10, v6, -v2
	v_mul_f32_e32 v3, v10, v7
	v_fmac_f32_e32 v3, v11, v6
	v_add_f32_e32 v54, v8, v2
	v_mul_f32_e32 v2, v69, v5
	v_add_f32_e32 v56, v9, v3
	;; [unrolled: 6-line block ×3, first 2 shown]
	v_fma_f32 v4, v68, v6, -v0
	ds_read_b128 v[0:3], v49 offset:160
	ds_read2_b64 v[8:11], v55 offset0:128 offset1:144
	v_mul_f32_e32 v5, v68, v7
	v_fmac_f32_e32 v5, v69, v6
	v_add_f32_e32 v50, v50, v4
	v_add_f32_e32 v52, v52, v5
	s_waitcnt lgkmcnt(0)
	v_mul_f32_e32 v58, v1, v9
	v_fma_f32 v58, v0, v8, -v58
	v_mul_f32_e32 v59, v0, v9
	v_fmac_f32_e32 v59, v1, v8
	v_add_f32_e32 v39, v39, v58
	v_mul_f32_e32 v58, v1, v11
	ds_read_b128 v[4:7], v49 offset:176
	v_add_f32_e32 v48, v48, v59
	v_fma_f32 v66, v0, v10, -v58
	ds_read_b128 v[58:61], v49 offset:4256
	v_mul_f32_e32 v0, v0, v11
	ds_read2_b64 v[70:73], v55 offset0:160 offset1:176
	v_fmac_f32_e32 v0, v1, v10
	v_add_f32_e32 v1, v54, v66
	s_waitcnt lgkmcnt(1)
	v_mul_f32_e32 v54, v59, v9
	v_fma_f32 v54, v58, v8, -v54
	v_mul_f32_e32 v9, v58, v9
	v_fmac_f32_e32 v9, v59, v8
	v_add_f32_e32 v8, v62, v54
	v_mul_f32_e32 v54, v59, v11
	v_fma_f32 v54, v58, v10, -v54
	v_mul_f32_e32 v11, v58, v11
	v_fmac_f32_e32 v11, v59, v10
	v_add_f32_e32 v10, v50, v54
	s_waitcnt lgkmcnt(0)
	v_mul_f32_e32 v50, v3, v71
	v_fma_f32 v50, v2, v70, -v50
	v_add_f32_e32 v39, v39, v50
	v_mul_f32_e32 v50, v3, v73
	v_add_f32_e32 v11, v52, v11
	v_mul_f32_e32 v52, v2, v71
	v_fma_f32 v50, v2, v72, -v50
	v_mul_f32_e32 v2, v2, v73
	v_add_f32_e32 v0, v56, v0
	v_fmac_f32_e32 v52, v3, v70
	v_fmac_f32_e32 v2, v3, v72
	v_add_f32_e32 v48, v48, v52
	v_add_f32_e32 v52, v0, v2
	v_mul_f32_e32 v0, v61, v71
	v_add_f32_e32 v50, v1, v50
	v_fma_f32 v0, v60, v70, -v0
	v_mul_f32_e32 v1, v60, v71
	v_add_f32_e32 v9, v63, v9
	v_fmac_f32_e32 v1, v61, v70
	v_add_f32_e32 v8, v8, v0
	v_mul_f32_e32 v0, v61, v73
	v_add_f32_e32 v9, v9, v1
	v_fma_f32 v54, v60, v72, -v0
	ds_read2_b64 v[0:3], v55 offset0:192 offset1:208
	ds_read_b128 v[66:69], v49 offset:4272
	v_add_f32_e32 v54, v10, v54
	v_mul_f32_e32 v56, v60, v73
	v_fmac_f32_e32 v56, v61, v72
	s_waitcnt lgkmcnt(1)
	v_mul_f32_e32 v10, v5, v1
	v_fma_f32 v10, v4, v0, -v10
	v_add_f32_e32 v39, v39, v10
	v_mul_f32_e32 v10, v5, v3
	v_add_f32_e32 v56, v11, v56
	v_mul_f32_e32 v11, v4, v1
	v_fma_f32 v10, v4, v2, -v10
	v_mul_f32_e32 v4, v4, v3
	v_fmac_f32_e32 v11, v5, v0
	v_fmac_f32_e32 v4, v5, v2
	v_add_f32_e32 v5, v50, v10
	s_waitcnt lgkmcnt(0)
	v_mul_f32_e32 v10, v67, v1
	v_fma_f32 v10, v66, v0, -v10
	v_mul_f32_e32 v1, v66, v1
	v_fmac_f32_e32 v1, v67, v0
	v_add_f32_e32 v0, v8, v10
	v_mul_f32_e32 v8, v67, v3
	v_add_f32_e32 v48, v48, v11
	v_add_f32_e32 v1, v9, v1
	v_fma_f32 v50, v66, v2, -v8
	ds_read2_b64 v[8:11], v55 offset0:224 offset1:240
	v_mul_f32_e32 v3, v66, v3
	v_fmac_f32_e32 v3, v67, v2
	v_add_f32_e32 v4, v52, v4
	v_add_f32_e32 v52, v56, v3
	s_waitcnt lgkmcnt(0)
	v_mul_f32_e32 v2, v7, v9
	v_fma_f32 v2, v6, v8, -v2
	v_mul_f32_e32 v3, v6, v9
	v_fmac_f32_e32 v3, v7, v8
	v_add_f32_e32 v39, v39, v2
	v_mul_f32_e32 v2, v7, v11
	v_add_f32_e32 v48, v48, v3
	v_fma_f32 v2, v6, v10, -v2
	v_mul_f32_e32 v3, v6, v11
	v_add_f32_e32 v50, v54, v50
	v_fmac_f32_e32 v3, v7, v10
	v_add_f32_e32 v54, v5, v2
	v_mul_f32_e32 v2, v69, v9
	v_add_f32_e32 v56, v4, v3
	v_fma_f32 v2, v68, v8, -v2
	v_mul_f32_e32 v3, v68, v9
	v_fmac_f32_e32 v3, v69, v8
	v_add_f32_e32 v62, v0, v2
	v_mul_f32_e32 v0, v69, v11
	v_add_f32_e32 v63, v1, v3
	v_fma_f32 v8, v68, v10, -v0
	ds_read_b128 v[0:3], v49 offset:192
	ds_read2_b64 v[4:7], v57 offset1:16
	v_mul_f32_e32 v9, v68, v11
	v_fmac_f32_e32 v9, v69, v10
	v_add_f32_e32 v50, v50, v8
	v_add_f32_e32 v52, v52, v9
	s_waitcnt lgkmcnt(0)
	v_mul_f32_e32 v58, v1, v5
	v_fma_f32 v58, v0, v4, -v58
	v_mul_f32_e32 v59, v0, v5
	v_fmac_f32_e32 v59, v1, v4
	v_add_f32_e32 v39, v39, v58
	v_mul_f32_e32 v58, v1, v7
	ds_read_b128 v[8:11], v49 offset:208
	v_add_f32_e32 v48, v48, v59
	v_fma_f32 v66, v0, v6, -v58
	ds_read_b128 v[58:61], v49 offset:4288
	v_mul_f32_e32 v0, v0, v7
	ds_read2_b64 v[70:73], v57 offset0:32 offset1:48
	v_fmac_f32_e32 v0, v1, v6
	v_add_f32_e32 v1, v54, v66
	s_waitcnt lgkmcnt(1)
	v_mul_f32_e32 v54, v59, v5
	v_fma_f32 v54, v58, v4, -v54
	v_mul_f32_e32 v5, v58, v5
	v_fmac_f32_e32 v5, v59, v4
	v_add_f32_e32 v4, v62, v54
	v_mul_f32_e32 v54, v59, v7
	v_fma_f32 v54, v58, v6, -v54
	v_mul_f32_e32 v7, v58, v7
	v_fmac_f32_e32 v7, v59, v6
	v_add_f32_e32 v6, v50, v54
	s_waitcnt lgkmcnt(0)
	v_mul_f32_e32 v50, v3, v71
	v_fma_f32 v50, v2, v70, -v50
	v_add_f32_e32 v39, v39, v50
	v_mul_f32_e32 v50, v3, v73
	v_add_f32_e32 v7, v52, v7
	v_mul_f32_e32 v52, v2, v71
	v_fma_f32 v50, v2, v72, -v50
	v_mul_f32_e32 v2, v2, v73
	v_add_f32_e32 v0, v56, v0
	v_fmac_f32_e32 v52, v3, v70
	v_fmac_f32_e32 v2, v3, v72
	v_add_f32_e32 v48, v48, v52
	v_add_f32_e32 v52, v0, v2
	v_mul_f32_e32 v0, v61, v71
	v_add_f32_e32 v50, v1, v50
	v_fma_f32 v0, v60, v70, -v0
	v_mul_f32_e32 v1, v60, v71
	v_add_f32_e32 v5, v63, v5
	v_fmac_f32_e32 v1, v61, v70
	v_add_f32_e32 v4, v4, v0
	v_mul_f32_e32 v0, v61, v73
	v_add_f32_e32 v5, v5, v1
	v_fma_f32 v54, v60, v72, -v0
	ds_read2_b64 v[0:3], v57 offset0:64 offset1:80
	ds_read_b128 v[66:69], v49 offset:4304
	v_mul_f32_e32 v56, v60, v73
	v_add_f32_e32 v54, v6, v54
	v_fmac_f32_e32 v56, v61, v72
	s_waitcnt lgkmcnt(1)
	v_mul_f32_e32 v6, v9, v1
	v_fma_f32 v6, v8, v0, -v6
	v_add_f32_e32 v56, v7, v56
	v_mul_f32_e32 v7, v8, v1
	v_add_f32_e32 v39, v39, v6
	v_mul_f32_e32 v6, v9, v3
	v_fmac_f32_e32 v7, v9, v0
	v_fma_f32 v6, v8, v2, -v6
	v_add_f32_e32 v48, v48, v7
	v_mul_f32_e32 v7, v8, v3
	v_add_f32_e32 v8, v50, v6
	s_waitcnt lgkmcnt(0)
	v_mul_f32_e32 v6, v67, v1
	v_fma_f32 v6, v66, v0, -v6
	v_mul_f32_e32 v1, v66, v1
	v_fmac_f32_e32 v7, v9, v2
	v_fmac_f32_e32 v1, v67, v0
	v_add_f32_e32 v0, v4, v6
	v_mul_f32_e32 v4, v67, v3
	v_add_f32_e32 v9, v52, v7
	v_add_f32_e32 v1, v5, v1
	v_fma_f32 v50, v66, v2, -v4
	ds_read2_b64 v[4:7], v57 offset0:96 offset1:112
	v_mul_f32_e32 v3, v66, v3
	v_fmac_f32_e32 v3, v67, v2
	v_add_f32_e32 v52, v56, v3
	v_add_f32_e32 v50, v54, v50
	s_waitcnt lgkmcnt(0)
	v_mul_f32_e32 v2, v11, v5
	v_fma_f32 v2, v10, v4, -v2
	v_mul_f32_e32 v3, v10, v5
	v_fmac_f32_e32 v3, v11, v4
	v_add_f32_e32 v39, v39, v2
	v_mul_f32_e32 v2, v11, v7
	v_add_f32_e32 v48, v48, v3
	v_fma_f32 v2, v10, v6, -v2
	v_mul_f32_e32 v3, v10, v7
	v_fmac_f32_e32 v3, v11, v6
	v_add_f32_e32 v54, v8, v2
	v_mul_f32_e32 v2, v69, v5
	v_add_f32_e32 v56, v9, v3
	;; [unrolled: 6-line block ×3, first 2 shown]
	v_fma_f32 v4, v68, v6, -v0
	ds_read_b128 v[0:3], v49 offset:224
	ds_read2_b64 v[8:11], v57 offset0:128 offset1:144
	v_mul_f32_e32 v5, v68, v7
	v_fmac_f32_e32 v5, v69, v6
	v_add_f32_e32 v50, v50, v4
	v_add_f32_e32 v52, v52, v5
	s_waitcnt lgkmcnt(0)
	v_mul_f32_e32 v58, v1, v9
	v_fma_f32 v58, v0, v8, -v58
	v_mul_f32_e32 v59, v0, v9
	v_fmac_f32_e32 v59, v1, v8
	v_add_f32_e32 v39, v39, v58
	v_mul_f32_e32 v58, v1, v11
	ds_read_b128 v[4:7], v49 offset:240
	v_add_f32_e32 v48, v48, v59
	v_fma_f32 v66, v0, v10, -v58
	ds_read_b128 v[58:61], v49 offset:4320
	v_mul_f32_e32 v0, v0, v11
	ds_read2_b64 v[70:73], v57 offset0:160 offset1:176
	v_fmac_f32_e32 v0, v1, v10
	v_add_f32_e32 v1, v54, v66
	s_waitcnt lgkmcnt(1)
	v_mul_f32_e32 v54, v59, v9
	v_fma_f32 v54, v58, v8, -v54
	v_mul_f32_e32 v9, v58, v9
	v_fmac_f32_e32 v9, v59, v8
	v_add_f32_e32 v8, v62, v54
	v_mul_f32_e32 v54, v59, v11
	v_fma_f32 v54, v58, v10, -v54
	v_mul_f32_e32 v11, v58, v11
	v_fmac_f32_e32 v11, v59, v10
	v_add_f32_e32 v10, v50, v54
	s_waitcnt lgkmcnt(0)
	v_mul_f32_e32 v50, v3, v71
	v_fma_f32 v50, v2, v70, -v50
	v_add_f32_e32 v39, v39, v50
	v_mul_f32_e32 v50, v3, v73
	v_add_f32_e32 v11, v52, v11
	v_mul_f32_e32 v52, v2, v71
	v_fma_f32 v50, v2, v72, -v50
	v_mul_f32_e32 v2, v2, v73
	v_add_f32_e32 v0, v56, v0
	v_fmac_f32_e32 v52, v3, v70
	v_fmac_f32_e32 v2, v3, v72
	v_add_f32_e32 v48, v48, v52
	v_add_f32_e32 v52, v0, v2
	v_mul_f32_e32 v0, v61, v71
	v_add_f32_e32 v50, v1, v50
	v_fma_f32 v0, v60, v70, -v0
	v_mul_f32_e32 v1, v60, v71
	v_add_f32_e32 v9, v63, v9
	v_fmac_f32_e32 v1, v61, v70
	v_add_f32_e32 v8, v8, v0
	v_mul_f32_e32 v0, v61, v73
	v_add_f32_e32 v9, v9, v1
	v_fma_f32 v54, v60, v72, -v0
	ds_read2_b64 v[0:3], v57 offset0:192 offset1:208
	ds_read_b128 v[66:69], v49 offset:4336
	v_add_f32_e32 v54, v10, v54
	v_mul_f32_e32 v56, v60, v73
	v_fmac_f32_e32 v56, v61, v72
	s_waitcnt lgkmcnt(1)
	v_mul_f32_e32 v10, v5, v1
	v_fma_f32 v10, v4, v0, -v10
	v_add_f32_e32 v39, v39, v10
	v_mul_f32_e32 v10, v5, v3
	v_add_f32_e32 v56, v11, v56
	v_mul_f32_e32 v11, v4, v1
	v_fma_f32 v10, v4, v2, -v10
	v_mul_f32_e32 v4, v4, v3
	v_fmac_f32_e32 v11, v5, v0
	v_fmac_f32_e32 v4, v5, v2
	v_add_f32_e32 v5, v50, v10
	s_waitcnt lgkmcnt(0)
	v_mul_f32_e32 v10, v67, v1
	v_fma_f32 v10, v66, v0, -v10
	v_mul_f32_e32 v1, v66, v1
	v_fmac_f32_e32 v1, v67, v0
	v_add_f32_e32 v0, v8, v10
	v_mul_f32_e32 v8, v67, v3
	v_add_f32_e32 v48, v48, v11
	v_add_f32_e32 v1, v9, v1
	v_fma_f32 v50, v66, v2, -v8
	ds_read2_b64 v[8:11], v57 offset0:224 offset1:240
	v_mul_f32_e32 v3, v66, v3
	v_fmac_f32_e32 v3, v67, v2
	v_add_f32_e32 v2, v54, v50
	v_add_f32_e32 v4, v52, v4
	s_waitcnt lgkmcnt(0)
	v_mul_f32_e32 v50, v7, v9
	v_fma_f32 v50, v6, v8, -v50
	v_add_f32_e32 v60, v39, v50
	v_mul_f32_e32 v39, v7, v11
	v_mul_f32_e32 v52, v6, v9
	v_fma_f32 v39, v6, v10, -v39
	v_mul_f32_e32 v6, v6, v11
	v_fmac_f32_e32 v6, v7, v10
	v_add_f32_e32 v3, v56, v3
	v_add_f32_e32 v56, v5, v39
	v_add_f32_e32 v58, v4, v6
	v_mul_f32_e32 v4, v69, v9
	v_mul_f32_e32 v5, v68, v9
	s_add_u32 s42, s42, 32
	v_fmac_f32_e32 v52, v7, v8
	v_fma_f32 v4, v68, v8, -v4
	v_fmac_f32_e32 v5, v69, v8
	s_addc_u32 s43, s43, 0
	v_add_f32_e32 v62, v48, v52
	v_add_f32_e32 v52, v0, v4
	;; [unrolled: 1-line block ×3, first 2 shown]
	v_mul_f32_e32 v0, v69, v11
	v_mul_f32_e32 v1, v68, v11
	s_add_u32 s40, s40, 0x100
	v_fma_f32 v0, v68, v10, -v0
	v_fmac_f32_e32 v1, v69, v10
	s_addc_u32 s41, s41, 0
	s_sub_i32 s4, s42, 32
	v_add_f32_e32 v50, v2, v0
	v_add_f32_e32 v48, v3, v1
	s_cmp_ge_i32 s4, s52
	s_barrier
	s_cbranch_scc1 .LBB83_51
.LBB83_7:                               ;   Parent Loop BB83_4 Depth=1
                                        ; =>  This Inner Loop Header: Depth=2
	v_lshl_add_u64 v[4:5], v[12:13], 0, s[42:43]
	v_cmp_le_i64_e64 s[14:15], s[34:35], v[4:5]
	v_cmp_eq_u64_e64 s[4:5], s[42:43], v[26:27]
	v_cmp_gt_i64_e64 s[12:13], v[4:5], v[16:17]
	s_and_b64 s[46:47], s[30:31], s[4:5]
	s_or_b64 s[4:5], s[14:15], s[12:13]
	s_or_b64 s[4:5], s[4:5], s[46:47]
	v_lshl_add_u64 v[0:1], v[18:19], 0, s[40:41]
	s_nor_b64 s[4:5], s[0:1], s[4:5]
	s_and_saveexec_b64 s[44:45], s[4:5]
	s_xor_b64 s[4:5], exec, s[44:45]
	s_cbranch_execz .LBB83_9
; %bb.8:                                ;   in Loop: Header=BB83_7 Depth=2
	global_load_dwordx2 v[2:3], v[0:1], off
	s_waitcnt vmcnt(0)
	v_xor_b32_e32 v3, 0x80000000, v3
	ds_write_b64 v43, v[2:3]
.LBB83_9:                               ;   in Loop: Header=BB83_7 Depth=2
	s_or_saveexec_b64 s[4:5], s[4:5]
	s_xor_b64 s[44:45], s[46:47], -1
	s_xor_b64 exec, exec, s[4:5]
	s_cbranch_execz .LBB83_15
; %bb.10:                               ;   in Loop: Header=BB83_7 Depth=2
	s_and_saveexec_b64 s[50:51], s[44:45]
	s_xor_b64 s[50:51], exec, s[50:51]
; %bb.11:                               ;   in Loop: Header=BB83_7 Depth=2
	ds_write_b64 v43, v[64:65]
; %bb.12:                               ;   in Loop: Header=BB83_7 Depth=2
	s_andn2_saveexec_b64 s[50:51], s[50:51]
; %bb.13:                               ;   in Loop: Header=BB83_7 Depth=2
	ds_write_b64 v43, v[40:41]
; %bb.14:                               ;   in Loop: Header=BB83_7 Depth=2
	s_or_b64 exec, exec, s[50:51]
.LBB83_15:                              ;   in Loop: Header=BB83_7 Depth=2
	s_or_b64 exec, exec, s[4:5]
	v_cmp_eq_u64_e64 s[4:5], s[42:43], v[28:29]
	s_and_b64 s[50:51], s[30:31], s[4:5]
	v_cmp_lt_i64_e64 s[4:5], v[22:23], v[4:5]
	s_or_b64 s[4:5], s[14:15], s[4:5]
	s_or_b64 s[4:5], s[4:5], s[50:51]
	s_nor_b64 s[4:5], s[16:17], s[4:5]
	v_lshl_add_u64 v[2:3], v[34:35], 0, s[40:41]
	s_and_saveexec_b64 s[14:15], s[4:5]
	s_xor_b64 s[4:5], exec, s[14:15]
	s_cbranch_execz .LBB83_17
; %bb.16:                               ;   in Loop: Header=BB83_7 Depth=2
	global_load_dwordx2 v[6:7], v[2:3], off
	s_waitcnt vmcnt(0)
	v_xor_b32_e32 v7, 0x80000000, v7
	ds_write_b64 v43, v[6:7] offset:128
.LBB83_17:                              ;   in Loop: Header=BB83_7 Depth=2
	s_andn2_saveexec_b64 s[4:5], s[4:5]
	s_cbranch_execz .LBB83_23
; %bb.18:                               ;   in Loop: Header=BB83_7 Depth=2
	s_xor_b64 s[14:15], s[50:51], -1
	s_and_saveexec_b64 s[50:51], s[14:15]
	s_xor_b64 s[14:15], exec, s[50:51]
; %bb.19:                               ;   in Loop: Header=BB83_7 Depth=2
	ds_write_b64 v43, v[64:65] offset:128
; %bb.20:                               ;   in Loop: Header=BB83_7 Depth=2
	s_andn2_saveexec_b64 s[14:15], s[14:15]
; %bb.21:                               ;   in Loop: Header=BB83_7 Depth=2
	ds_write_b64 v43, v[40:41] offset:128
; %bb.22:                               ;   in Loop: Header=BB83_7 Depth=2
	s_or_b64 exec, exec, s[14:15]
.LBB83_23:                              ;   in Loop: Header=BB83_7 Depth=2
	s_or_b64 exec, exec, s[4:5]
	v_lshl_add_u64 v[4:5], v[4:5], 0, 16
	v_cmp_eq_u64_e64 s[4:5], s[42:43], v[30:31]
	v_cmp_le_i64_e64 s[14:15], s[34:35], v[4:5]
	s_and_b64 s[50:51], s[30:31], s[4:5]
	v_cmp_gt_i64_e64 s[4:5], v[4:5], v[16:17]
	s_or_b64 s[4:5], s[14:15], s[4:5]
	s_or_b64 s[4:5], s[4:5], s[50:51]
	s_nor_b64 s[4:5], s[0:1], s[4:5]
	s_and_saveexec_b64 s[56:57], s[4:5]
	s_xor_b64 s[4:5], exec, s[56:57]
	s_cbranch_execz .LBB83_25
; %bb.24:                               ;   in Loop: Header=BB83_7 Depth=2
	global_load_dwordx2 v[0:1], v[0:1], off offset:128
	s_waitcnt vmcnt(0)
	v_xor_b32_e32 v1, 0x80000000, v1
	ds_write_b64 v43, v[0:1] offset:4096
.LBB83_25:                              ;   in Loop: Header=BB83_7 Depth=2
	s_andn2_saveexec_b64 s[4:5], s[4:5]
	s_cbranch_execz .LBB83_31
; %bb.26:                               ;   in Loop: Header=BB83_7 Depth=2
	s_xor_b64 s[50:51], s[50:51], -1
	s_and_saveexec_b64 s[56:57], s[50:51]
	s_xor_b64 s[50:51], exec, s[56:57]
; %bb.27:                               ;   in Loop: Header=BB83_7 Depth=2
	ds_write_b64 v43, v[64:65] offset:4096
; %bb.28:                               ;   in Loop: Header=BB83_7 Depth=2
	s_andn2_saveexec_b64 s[50:51], s[50:51]
; %bb.29:                               ;   in Loop: Header=BB83_7 Depth=2
	ds_write_b64 v43, v[40:41] offset:4096
; %bb.30:                               ;   in Loop: Header=BB83_7 Depth=2
	s_or_b64 exec, exec, s[50:51]
.LBB83_31:                              ;   in Loop: Header=BB83_7 Depth=2
	s_or_b64 exec, exec, s[4:5]
	s_or_b64 s[4:5], s[14:15], s[12:13]
	s_or_b64 s[4:5], s[4:5], s[46:47]
	s_nor_b64 s[4:5], s[16:17], s[4:5]
	s_and_saveexec_b64 s[12:13], s[4:5]
	s_xor_b64 s[4:5], exec, s[12:13]
	s_cbranch_execz .LBB83_33
; %bb.32:                               ;   in Loop: Header=BB83_7 Depth=2
	global_load_dwordx2 v[0:1], v[2:3], off offset:128
	s_waitcnt vmcnt(0)
	v_xor_b32_e32 v1, 0x80000000, v1
	ds_write_b64 v43, v[0:1] offset:4224
.LBB83_33:                              ;   in Loop: Header=BB83_7 Depth=2
	s_andn2_saveexec_b64 s[4:5], s[4:5]
	s_cbranch_execz .LBB83_39
; %bb.34:                               ;   in Loop: Header=BB83_7 Depth=2
	s_and_saveexec_b64 s[12:13], s[44:45]
	s_xor_b64 s[12:13], exec, s[12:13]
; %bb.35:                               ;   in Loop: Header=BB83_7 Depth=2
	ds_write_b64 v43, v[64:65] offset:4224
; %bb.36:                               ;   in Loop: Header=BB83_7 Depth=2
	s_andn2_saveexec_b64 s[12:13], s[12:13]
; %bb.37:                               ;   in Loop: Header=BB83_7 Depth=2
	ds_write_b64 v43, v[40:41] offset:4224
; %bb.38:                               ;   in Loop: Header=BB83_7 Depth=2
	s_or_b64 exec, exec, s[12:13]
.LBB83_39:                              ;   in Loop: Header=BB83_7 Depth=2
	s_or_b64 exec, exec, s[4:5]
	v_lshl_add_u64 v[2:3], v[14:15], 0, s[42:43]
	v_cmp_gt_i64_e64 s[12:13], s[34:35], v[2:3]
	v_lshl_add_u64 v[0:1], v[44:45], 0, s[40:41]
	s_and_b64 s[14:15], vcc, s[12:13]
	v_mov_b32_e32 v4, 0
	v_mov_b32_e32 v5, 0
	s_and_saveexec_b64 s[4:5], s[14:15]
	s_cbranch_execz .LBB83_41
; %bb.40:                               ;   in Loop: Header=BB83_7 Depth=2
	global_load_dwordx2 v[4:5], v[0:1], off
.LBB83_41:                              ;   in Loop: Header=BB83_7 Depth=2
	s_or_b64 exec, exec, s[4:5]
	v_cmp_gt_i64_e64 s[14:15], s[38:39], v[2:3]
	s_and_b64 s[4:5], vcc, s[14:15]
	s_xor_b64 s[4:5], s[4:5], -1
	s_waitcnt vmcnt(0)
	ds_write_b64 v51, v[4:5]
	s_and_saveexec_b64 s[44:45], s[4:5]
	s_xor_b64 s[4:5], exec, s[44:45]
; %bb.42:                               ;   in Loop: Header=BB83_7 Depth=2
	ds_write_b64 v51, v[64:65] offset:128
                                        ; implicit-def: $vgpr0_vgpr1
; %bb.43:                               ;   in Loop: Header=BB83_7 Depth=2
	s_andn2_saveexec_b64 s[4:5], s[4:5]
	s_cbranch_execz .LBB83_45
; %bb.44:                               ;   in Loop: Header=BB83_7 Depth=2
	global_load_dwordx2 v[0:1], v[0:1], off offset:128
	s_waitcnt vmcnt(0)
	ds_write_b64 v51, v[0:1] offset:128
.LBB83_45:                              ;   in Loop: Header=BB83_7 Depth=2
	s_or_b64 exec, exec, s[4:5]
	v_lshl_add_u64 v[0:1], v[46:47], 0, s[40:41]
	s_and_b64 s[12:13], s[10:11], s[12:13]
	v_mov_b32_e32 v2, 0
	v_mov_b32_e32 v3, 0
	s_and_saveexec_b64 s[4:5], s[12:13]
	s_cbranch_execz .LBB83_47
; %bb.46:                               ;   in Loop: Header=BB83_7 Depth=2
	global_load_dwordx2 v[2:3], v[0:1], off
.LBB83_47:                              ;   in Loop: Header=BB83_7 Depth=2
	s_or_b64 exec, exec, s[4:5]
	s_and_b64 s[4:5], s[10:11], s[14:15]
	s_xor_b64 s[4:5], s[4:5], -1
	s_waitcnt vmcnt(0)
	ds_write_b64 v51, v[2:3] offset:4096
	s_and_saveexec_b64 s[12:13], s[4:5]
	s_xor_b64 s[4:5], exec, s[12:13]
; %bb.48:                               ;   in Loop: Header=BB83_7 Depth=2
	ds_write_b64 v51, v[64:65] offset:4224
                                        ; implicit-def: $vgpr0_vgpr1
; %bb.49:                               ;   in Loop: Header=BB83_7 Depth=2
	s_andn2_saveexec_b64 s[4:5], s[4:5]
	s_cbranch_execz .LBB83_6
; %bb.50:                               ;   in Loop: Header=BB83_7 Depth=2
	global_load_dwordx2 v[0:1], v[0:1], off offset:128
	s_waitcnt vmcnt(0)
	ds_write_b64 v51, v[0:1] offset:4224
	s_branch .LBB83_6
.LBB83_51:                              ;   in Loop: Header=BB83_4 Depth=1
	v_mul_lo_u32 v2, s21, v42
	v_mul_lo_u32 v3, s20, v21
	v_mad_u64_u32 v[0:1], s[4:5], s20, v42, 0
	v_cmp_gt_i32_e32 vcc, s26, v42
	v_add3_u32 v1, v1, v3, v2
	v_lshl_add_u64 v[0:1], v[0:1], 3, s[22:23]
	s_and_b64 s[10:11], s[18:19], vcc
	s_and_saveexec_b64 s[4:5], s[10:11]
	s_cbranch_execz .LBB83_53
; %bb.52:                               ;   in Loop: Header=BB83_4 Depth=1
	v_lshl_add_u64 v[2:3], v[16:17], 3, v[0:1]
	global_load_dwordx2 v[4:5], v[2:3], off
	v_pk_mul_f32 v[6:7], v[62:63], s[24:25] op_sel_hi:[0,1]
	v_pk_fma_f32 v[8:9], v[60:61], s[28:29], v[6:7] neg_lo:[0,0,1] neg_hi:[0,0,1]
	v_pk_fma_f32 v[6:7], v[60:61], s[28:29], v[6:7] op_sel_hi:[0,1,1]
	v_mov_b32_e32 v9, v7
	s_waitcnt vmcnt(0)
	v_pk_add_f32 v[4:5], v[4:5], v[8:9]
	global_store_dwordx2 v[2:3], v[4:5], off
.LBB83_53:                              ;   in Loop: Header=BB83_4 Depth=1
	s_or_b64 exec, exec, s[4:5]
	s_and_b64 s[10:11], s[6:7], vcc
	s_and_saveexec_b64 s[4:5], s[10:11]
	s_cbranch_execz .LBB83_55
; %bb.54:                               ;   in Loop: Header=BB83_4 Depth=1
	v_lshl_add_u64 v[0:1], v[24:25], 3, v[0:1]
	global_load_dwordx2 v[2:3], v[0:1], off
	v_pk_mul_f32 v[4:5], v[58:59], s[24:25] op_sel_hi:[0,1]
	v_pk_fma_f32 v[6:7], v[56:57], s[28:29], v[4:5] neg_lo:[0,0,1] neg_hi:[0,0,1]
	v_pk_fma_f32 v[4:5], v[56:57], s[28:29], v[4:5] op_sel_hi:[0,1,1]
	v_mov_b32_e32 v7, v5
	s_waitcnt vmcnt(0)
	v_pk_add_f32 v[2:3], v[2:3], v[6:7]
	global_store_dwordx2 v[0:1], v[2:3], off
.LBB83_55:                              ;   in Loop: Header=BB83_4 Depth=1
	s_or_b64 exec, exec, s[4:5]
	v_add_u32_e32 v0, 16, v42
	v_ashrrev_i32_e32 v1, 31, v0
	v_cmp_gt_i32_e32 vcc, s26, v0
	v_mul_lo_u32 v2, s20, v1
	v_mul_lo_u32 v3, s21, v0
	v_mad_u64_u32 v[0:1], s[4:5], s20, v0, 0
	v_add3_u32 v1, v1, v2, v3
	v_lshl_add_u64 v[0:1], v[0:1], 3, s[22:23]
	s_and_b64 s[10:11], s[18:19], vcc
	s_and_saveexec_b64 s[4:5], s[10:11]
	s_cbranch_execz .LBB83_57
; %bb.56:                               ;   in Loop: Header=BB83_4 Depth=1
	v_lshl_add_u64 v[2:3], v[16:17], 3, v[0:1]
	global_load_dwordx2 v[4:5], v[2:3], off
	v_pk_mul_f32 v[6:7], v[54:55], s[24:25] op_sel_hi:[0,1]
	v_pk_fma_f32 v[8:9], v[52:53], s[28:29], v[6:7] neg_lo:[0,0,1] neg_hi:[0,0,1]
	v_pk_fma_f32 v[6:7], v[52:53], s[28:29], v[6:7] op_sel_hi:[0,1,1]
	v_mov_b32_e32 v9, v7
	s_waitcnt vmcnt(0)
	v_pk_add_f32 v[4:5], v[4:5], v[8:9]
	global_store_dwordx2 v[2:3], v[4:5], off
.LBB83_57:                              ;   in Loop: Header=BB83_4 Depth=1
	s_or_b64 exec, exec, s[4:5]
	s_and_b64 s[10:11], s[6:7], vcc
	s_and_saveexec_b64 s[4:5], s[10:11]
	s_cbranch_execz .LBB83_3
; %bb.58:                               ;   in Loop: Header=BB83_4 Depth=1
	v_lshl_add_u64 v[0:1], v[24:25], 3, v[0:1]
	global_load_dwordx2 v[2:3], v[0:1], off
	v_pk_mul_f32 v[4:5], v[48:49], s[24:25] op_sel_hi:[0,1]
	v_pk_fma_f32 v[6:7], v[50:51], s[28:29], v[4:5] neg_lo:[0,0,1] neg_hi:[0,0,1]
	v_pk_fma_f32 v[4:5], v[50:51], s[28:29], v[4:5] op_sel_hi:[0,1,1]
	v_mov_b32_e32 v7, v5
	s_waitcnt vmcnt(0)
	v_pk_add_f32 v[2:3], v[2:3], v[6:7]
	global_store_dwordx2 v[0:1], v[2:3], off
	s_branch .LBB83_3
.LBB83_59:
	s_endpgm
	.section	.rodata,"a",@progbits
	.p2align	6, 0x0
	.amdhsa_kernel _ZL30rocblas_trmm_outofplace_kernelI19rocblas_complex_numIfELi32ELi2ELb1ELb1ELb1ELb1ES1_KS1_S1_Ev17rocblas_diagonal_iiT6_lPT7_lllS6_lllPT8_llli
		.amdhsa_group_segment_fixed_size 16384
		.amdhsa_private_segment_fixed_size 0
		.amdhsa_kernarg_size 392
		.amdhsa_user_sgpr_count 2
		.amdhsa_user_sgpr_dispatch_ptr 0
		.amdhsa_user_sgpr_queue_ptr 0
		.amdhsa_user_sgpr_kernarg_segment_ptr 1
		.amdhsa_user_sgpr_dispatch_id 0
		.amdhsa_user_sgpr_kernarg_preload_length 0
		.amdhsa_user_sgpr_kernarg_preload_offset 0
		.amdhsa_user_sgpr_private_segment_size 0
		.amdhsa_uses_dynamic_stack 0
		.amdhsa_enable_private_segment 0
		.amdhsa_system_sgpr_workgroup_id_x 1
		.amdhsa_system_sgpr_workgroup_id_y 1
		.amdhsa_system_sgpr_workgroup_id_z 1
		.amdhsa_system_sgpr_workgroup_info 0
		.amdhsa_system_vgpr_workitem_id 1
		.amdhsa_next_free_vgpr 82
		.amdhsa_next_free_sgpr 58
		.amdhsa_accum_offset 84
		.amdhsa_reserve_vcc 1
		.amdhsa_float_round_mode_32 0
		.amdhsa_float_round_mode_16_64 0
		.amdhsa_float_denorm_mode_32 3
		.amdhsa_float_denorm_mode_16_64 3
		.amdhsa_dx10_clamp 1
		.amdhsa_ieee_mode 1
		.amdhsa_fp16_overflow 0
		.amdhsa_tg_split 0
		.amdhsa_exception_fp_ieee_invalid_op 0
		.amdhsa_exception_fp_denorm_src 0
		.amdhsa_exception_fp_ieee_div_zero 0
		.amdhsa_exception_fp_ieee_overflow 0
		.amdhsa_exception_fp_ieee_underflow 0
		.amdhsa_exception_fp_ieee_inexact 0
		.amdhsa_exception_int_div_zero 0
	.end_amdhsa_kernel
	.section	.text._ZL30rocblas_trmm_outofplace_kernelI19rocblas_complex_numIfELi32ELi2ELb1ELb1ELb1ELb1ES1_KS1_S1_Ev17rocblas_diagonal_iiT6_lPT7_lllS6_lllPT8_llli,"axG",@progbits,_ZL30rocblas_trmm_outofplace_kernelI19rocblas_complex_numIfELi32ELi2ELb1ELb1ELb1ELb1ES1_KS1_S1_Ev17rocblas_diagonal_iiT6_lPT7_lllS6_lllPT8_llli,comdat
.Lfunc_end83:
	.size	_ZL30rocblas_trmm_outofplace_kernelI19rocblas_complex_numIfELi32ELi2ELb1ELb1ELb1ELb1ES1_KS1_S1_Ev17rocblas_diagonal_iiT6_lPT7_lllS6_lllPT8_llli, .Lfunc_end83-_ZL30rocblas_trmm_outofplace_kernelI19rocblas_complex_numIfELi32ELi2ELb1ELb1ELb1ELb1ES1_KS1_S1_Ev17rocblas_diagonal_iiT6_lPT7_lllS6_lllPT8_llli
                                        ; -- End function
	.set _ZL30rocblas_trmm_outofplace_kernelI19rocblas_complex_numIfELi32ELi2ELb1ELb1ELb1ELb1ES1_KS1_S1_Ev17rocblas_diagonal_iiT6_lPT7_lllS6_lllPT8_llli.num_vgpr, 82
	.set _ZL30rocblas_trmm_outofplace_kernelI19rocblas_complex_numIfELi32ELi2ELb1ELb1ELb1ELb1ES1_KS1_S1_Ev17rocblas_diagonal_iiT6_lPT7_lllS6_lllPT8_llli.num_agpr, 0
	.set _ZL30rocblas_trmm_outofplace_kernelI19rocblas_complex_numIfELi32ELi2ELb1ELb1ELb1ELb1ES1_KS1_S1_Ev17rocblas_diagonal_iiT6_lPT7_lllS6_lllPT8_llli.numbered_sgpr, 58
	.set _ZL30rocblas_trmm_outofplace_kernelI19rocblas_complex_numIfELi32ELi2ELb1ELb1ELb1ELb1ES1_KS1_S1_Ev17rocblas_diagonal_iiT6_lPT7_lllS6_lllPT8_llli.num_named_barrier, 0
	.set _ZL30rocblas_trmm_outofplace_kernelI19rocblas_complex_numIfELi32ELi2ELb1ELb1ELb1ELb1ES1_KS1_S1_Ev17rocblas_diagonal_iiT6_lPT7_lllS6_lllPT8_llli.private_seg_size, 0
	.set _ZL30rocblas_trmm_outofplace_kernelI19rocblas_complex_numIfELi32ELi2ELb1ELb1ELb1ELb1ES1_KS1_S1_Ev17rocblas_diagonal_iiT6_lPT7_lllS6_lllPT8_llli.uses_vcc, 1
	.set _ZL30rocblas_trmm_outofplace_kernelI19rocblas_complex_numIfELi32ELi2ELb1ELb1ELb1ELb1ES1_KS1_S1_Ev17rocblas_diagonal_iiT6_lPT7_lllS6_lllPT8_llli.uses_flat_scratch, 0
	.set _ZL30rocblas_trmm_outofplace_kernelI19rocblas_complex_numIfELi32ELi2ELb1ELb1ELb1ELb1ES1_KS1_S1_Ev17rocblas_diagonal_iiT6_lPT7_lllS6_lllPT8_llli.has_dyn_sized_stack, 0
	.set _ZL30rocblas_trmm_outofplace_kernelI19rocblas_complex_numIfELi32ELi2ELb1ELb1ELb1ELb1ES1_KS1_S1_Ev17rocblas_diagonal_iiT6_lPT7_lllS6_lllPT8_llli.has_recursion, 0
	.set _ZL30rocblas_trmm_outofplace_kernelI19rocblas_complex_numIfELi32ELi2ELb1ELb1ELb1ELb1ES1_KS1_S1_Ev17rocblas_diagonal_iiT6_lPT7_lllS6_lllPT8_llli.has_indirect_call, 0
	.section	.AMDGPU.csdata,"",@progbits
; Kernel info:
; codeLenInByte = 6332
; TotalNumSgprs: 64
; NumVgprs: 82
; NumAgprs: 0
; TotalNumVgprs: 82
; ScratchSize: 0
; MemoryBound: 0
; FloatMode: 240
; IeeeMode: 1
; LDSByteSize: 16384 bytes/workgroup (compile time only)
; SGPRBlocks: 7
; VGPRBlocks: 10
; NumSGPRsForWavesPerEU: 64
; NumVGPRsForWavesPerEU: 82
; AccumOffset: 84
; Occupancy: 5
; WaveLimiterHint : 0
; COMPUTE_PGM_RSRC2:SCRATCH_EN: 0
; COMPUTE_PGM_RSRC2:USER_SGPR: 2
; COMPUTE_PGM_RSRC2:TRAP_HANDLER: 0
; COMPUTE_PGM_RSRC2:TGID_X_EN: 1
; COMPUTE_PGM_RSRC2:TGID_Y_EN: 1
; COMPUTE_PGM_RSRC2:TGID_Z_EN: 1
; COMPUTE_PGM_RSRC2:TIDIG_COMP_CNT: 1
; COMPUTE_PGM_RSRC3_GFX90A:ACCUM_OFFSET: 20
; COMPUTE_PGM_RSRC3_GFX90A:TG_SPLIT: 0
	.section	.text._ZL30rocblas_trmm_outofplace_kernelI19rocblas_complex_numIfELi32ELi2ELb0ELb0ELb0ELb0EPKS1_S2_S1_Ev17rocblas_diagonal_iiT6_lPT7_lllS7_lllPT8_llli,"axG",@progbits,_ZL30rocblas_trmm_outofplace_kernelI19rocblas_complex_numIfELi32ELi2ELb0ELb0ELb0ELb0EPKS1_S2_S1_Ev17rocblas_diagonal_iiT6_lPT7_lllS7_lllPT8_llli,comdat
	.globl	_ZL30rocblas_trmm_outofplace_kernelI19rocblas_complex_numIfELi32ELi2ELb0ELb0ELb0ELb0EPKS1_S2_S1_Ev17rocblas_diagonal_iiT6_lPT7_lllS7_lllPT8_llli ; -- Begin function _ZL30rocblas_trmm_outofplace_kernelI19rocblas_complex_numIfELi32ELi2ELb0ELb0ELb0ELb0EPKS1_S2_S1_Ev17rocblas_diagonal_iiT6_lPT7_lllS7_lllPT8_llli
	.p2align	8
	.type	_ZL30rocblas_trmm_outofplace_kernelI19rocblas_complex_numIfELi32ELi2ELb0ELb0ELb0ELb0EPKS1_S2_S1_Ev17rocblas_diagonal_iiT6_lPT7_lllS7_lllPT8_llli,@function
_ZL30rocblas_trmm_outofplace_kernelI19rocblas_complex_numIfELi32ELi2ELb0ELb0ELb0ELb0EPKS1_S2_S1_Ev17rocblas_diagonal_iiT6_lPT7_lllS7_lllPT8_llli: ; @_ZL30rocblas_trmm_outofplace_kernelI19rocblas_complex_numIfELi32ELi2ELb0ELb0ELb0ELb0EPKS1_S2_S1_Ev17rocblas_diagonal_iiT6_lPT7_lllS7_lllPT8_llli
; %bb.0:
	s_load_dwordx16 s[16:31], s[0:1], 0x10
	s_waitcnt lgkmcnt(0)
	s_mul_i32 s5, s19, s4
	s_mul_hi_u32 s6, s18, s4
	s_add_i32 s7, s6, s5
	s_mul_i32 s6, s18, s4
	s_lshl_b64 s[6:7], s[6:7], 3
	s_add_u32 s6, s16, s6
	s_addc_u32 s7, s17, s7
	s_load_dwordx2 s[34:35], s[6:7], 0x0
	s_waitcnt lgkmcnt(0)
	s_or_b32 s5, s34, s35
	s_bitset0_b32 s5, 31
	s_cmp_eq_u32 s5, 0
	s_cbranch_scc1 .LBB84_60
; %bb.1:
	s_load_dwordx4 s[44:47], s[0:1], 0x0
	s_waitcnt lgkmcnt(0)
	s_add_i32 s5, s46, -1
	s_ashr_i32 s6, s5, 31
	s_lshr_b32 s6, s6, 27
	s_add_i32 s5, s5, s6
	s_ashr_i32 s33, s5, 5
	s_cmp_gt_i32 s3, s33
	s_cbranch_scc1 .LBB84_60
; %bb.2:
	s_load_dwordx4 s[48:51], s[0:1], 0x70
	s_load_dwordx8 s[36:43], s[0:1], 0x50
	s_load_dword s62, s[0:1], 0x8c
	v_bfe_u32 v51, v0, 10, 10
	v_and_b32_e32 v2, 0x3ff, v0
	v_lshl_add_u32 v12, s2, 5, v2
	s_waitcnt lgkmcnt(0)
	s_mul_i32 s0, s51, s4
	s_mul_hi_u32 s1, s50, s4
	s_add_i32 s1, s1, s0
	s_mul_i32 s0, s50, s4
	s_lshl_b64 s[0:1], s[0:1], 3
	s_add_u32 s5, s40, s0
	s_addc_u32 s6, s41, s1
	s_lshl_b64 s[0:1], s[42:43], 3
	s_add_u32 s40, s5, s0
	s_addc_u32 s41, s6, s1
	s_cmpk_eq_i32 s44, 0x84
	s_cselect_b64 s[42:43], -1, 0
	s_ashr_i32 s47, s46, 31
	s_ashr_i32 s0, s45, 31
	s_lshl_b64 s[50:51], s[36:37], 8
	s_add_u32 s52, s46, -16
	s_addc_u32 s53, s47, -1
	s_lshl_b32 s5, s3, 5
	v_add_u32_e32 v16, s5, v2
	v_add_u32_e32 v18, s5, v51
	s_mul_i32 s5, s27, s4
	s_mul_hi_u32 s6, s26, s4
	s_add_i32 s7, s6, s5
	s_mul_i32 s6, s26, s4
	s_lshl_b32 s2, s62, 5
	s_lshl_b64 s[6:7], s[6:7], 3
	s_lshl_b64 s[8:9], s[22:23], 3
	s_add_u32 s5, s6, s8
	s_addc_u32 s6, s7, s9
	s_add_u32 s20, s20, s5
	s_addc_u32 s21, s21, s6
	s_add_u32 s22, s28, 0x80
	s_mul_i32 s5, s39, s4
	s_mul_hi_u32 s6, s38, s4
	s_addc_u32 s23, s29, 0
	s_add_i32 s5, s6, s5
	s_mul_i32 s4, s38, s4
	s_lshl_b64 s[26:27], s[36:37], 3
	s_lshl_b64 s[4:5], s[4:5], 3
	;; [unrolled: 1-line block ×3, first 2 shown]
	v_ashrrev_i32_e32 v13, 31, v12
	v_lshlrev_b32_e32 v3, 3, v2
	v_mov_b32_e32 v1, s0
	v_sub_co_u32_e32 v0, vcc, s45, v12
	s_add_u32 s4, s4, s6
	v_lshlrev_b32_e32 v53, 8, v51
	v_subb_co_u32_e32 v1, vcc, v1, v13, vcc
	v_or_b32_e32 v57, 0x2000, v3
	v_add_u32_e32 v14, 16, v12
	s_addc_u32 s5, s5, s7
	v_mov_b32_e32 v24, 0
	v_add_u32_e32 v55, v53, v3
	v_add_u32_e32 v59, v57, v53
	v_cmp_gt_i64_e32 vcc, 1, v[0:1]
	v_cmp_gt_i64_e64 s[0:1], 17, v[0:1]
	v_cmp_gt_i32_e64 s[16:17], s45, v12
	v_cmp_gt_i32_e64 s[18:19], s45, v14
	v_ashrrev_i32_e32 v15, 31, v14
	s_mov_b32 s44, s35
	s_mov_b32 s45, s34
	v_lshl_add_u64 v[20:21], v[12:13], 3, s[4:5]
	s_lshl_b64 s[30:31], s[24:25], 3
	s_mov_b64 s[38:39], 0x100
	v_mov_b64_e32 v[22:23], 0x80
	v_mov_b32_e32 v25, v24
	v_mov_b32_e32 v26, 1.0
	v_mov_b32_e32 v27, v24
	v_add_u32_e32 v61, 0x800, v57
	v_add_u32_e32 v63, 0x1000, v57
	v_add_u32_e32 v65, 0x1800, v57
	s_branch .LBB84_4
.LBB84_3:                               ;   in Loop: Header=BB84_4 Depth=1
	s_or_b64 exec, exec, s[4:5]
	s_add_i32 s3, s62, s3
	v_add_u32_e32 v16, s2, v16
	s_cmp_le_i32 s3, s33
	v_add_u32_e32 v18, s2, v18
	s_cbranch_scc0 .LBB84_60
.LBB84_4:                               ; =>This Loop Header: Depth=1
                                        ;     Child Loop BB84_7 Depth 2
	s_lshl_b32 s4, s3, 5
	v_add_u32_e32 v28, s4, v51
	s_sub_i32 s63, s46, s4
	v_ashrrev_i32_e32 v17, 31, v16
	v_ashrrev_i32_e32 v19, 31, v18
	s_cmp_lt_i32 s63, 1
	v_ashrrev_i32_e32 v29, 31, v28
	s_cbranch_scc1 .LBB84_51
; %bb.5:                                ;   in Loop: Header=BB84_4 Depth=1
	v_sub_co_u32_e64 v30, s[4:5], v18, v16
	v_lshl_add_u64 v[0:1], v[18:19], 3, v[22:23]
	v_mov_b64_e32 v[2:3], s[20:21]
	v_subb_co_u32_e64 v31, s[4:5], v19, v17, s[4:5]
	v_mul_lo_u32 v4, s24, v1
	v_mul_lo_u32 v5, s25, v0
	v_mad_u64_u32 v[34:35], s[4:5], s24, v0, v[2:3]
	v_add3_u32 v35, v5, v35, v4
	v_mov_b64_e32 v[4:5], s[22:23]
	v_mad_u64_u32 v[38:39], s[4:5], s30, v18, v[2:3]
	v_mul_lo_u32 v2, s30, v19
	v_mul_lo_u32 v3, s31, v18
	v_mad_u64_u32 v[36:37], s[4:5], s26, v18, v[4:5]
	v_mul_lo_u32 v4, s26, v19
	v_mul_lo_u32 v5, s27, v18
	v_add3_u32 v39, v3, v39, v2
	v_mov_b64_e32 v[2:3], s[28:29]
	v_add3_u32 v37, v5, v37, v4
	v_mul_lo_u32 v1, s36, v1
	v_mul_lo_u32 v4, s37, v0
	v_mad_u64_u32 v[40:41], s[4:5], s36, v0, v[2:3]
	v_lshl_add_u64 v[42:43], v[28:29], 0, 16
	v_lshlrev_b64 v[32:33], 3, v[16:17]
	v_add3_u32 v41, v4, v41, v1
	v_cmp_le_i32_e64 s[6:7], s46, v28
	v_cmp_le_i64_e64 s[8:9], s[46:47], v[42:43]
	v_lshl_add_u64 v[44:45], v[30:31], 0, 16
	v_lshl_add_u64 v[46:47], v[30:31], 0, -16
	v_mov_b32_e32 v50, 0
	s_mov_b64 s[54:55], 0
	v_mov_b64_e32 v[48:49], v[20:21]
	v_mov_b32_e32 v52, 0
	v_mov_b32_e32 v56, 0
	;; [unrolled: 1-line block ×7, first 2 shown]
	s_branch .LBB84_7
.LBB84_6:                               ;   in Loop: Header=BB84_7 Depth=2
	s_or_b64 exec, exec, s[4:5]
	s_waitcnt lgkmcnt(0)
	s_barrier
	ds_read2_b64 v[66:69], v57 offset1:16
	ds_read_b128 v[70:73], v53
	ds_read_b128 v[8:11], v53 offset:16
	ds_read_b128 v[4:7], v53 offset:32
	;; [unrolled: 1-line block ×3, first 2 shown]
	ds_read2_b64 v[82:85], v57 offset0:32 offset1:48
	s_waitcnt lgkmcnt(4)
	v_mul_f32_e32 v74, v71, v67
	v_fma_f32 v74, v70, v66, -v74
	v_mul_f32_e32 v75, v70, v67
	v_fmac_f32_e32 v75, v71, v66
	v_add_f32_e32 v62, v62, v74
	v_mul_f32_e32 v74, v71, v69
	v_add_f32_e32 v64, v64, v75
	v_fma_f32 v78, v70, v68, -v74
	ds_read_b128 v[74:77], v53 offset:4096
	v_mul_f32_e32 v70, v70, v69
	v_fmac_f32_e32 v70, v71, v68
	v_add_f32_e32 v58, v58, v78
	v_add_f32_e32 v60, v60, v70
	ds_read_b128 v[78:81], v53 offset:4112
	s_waitcnt lgkmcnt(1)
	v_mul_f32_e32 v70, v75, v67
	v_mul_f32_e32 v67, v74, v67
	v_fma_f32 v70, v74, v66, -v70
	v_fmac_f32_e32 v67, v75, v66
	v_mul_f32_e32 v66, v75, v69
	v_add_f32_e32 v56, v56, v67
	v_fma_f32 v66, v74, v68, -v66
	v_mul_f32_e32 v67, v74, v69
	v_fmac_f32_e32 v67, v75, v68
	v_add_f32_e32 v52, v52, v66
	v_mul_f32_e32 v66, v73, v83
	v_add_f32_e32 v50, v50, v67
	v_fma_f32 v66, v72, v82, -v66
	v_mul_f32_e32 v67, v72, v83
	v_fmac_f32_e32 v67, v73, v82
	v_add_f32_e32 v62, v62, v66
	;; [unrolled: 6-line block ×3, first 2 shown]
	v_mul_f32_e32 v66, v77, v83
	v_add_f32_e32 v54, v54, v70
	v_add_f32_e32 v60, v60, v67
	v_fma_f32 v66, v76, v82, -v66
	v_mul_f32_e32 v67, v76, v83
	v_fmac_f32_e32 v67, v77, v82
	v_add_f32_e32 v54, v54, v66
	v_mul_f32_e32 v66, v77, v85
	v_add_f32_e32 v56, v56, v67
	v_fma_f32 v70, v76, v84, -v66
	ds_read2_b64 v[66:69], v57 offset0:64 offset1:80
	v_mul_f32_e32 v71, v76, v85
	v_add_f32_e32 v52, v52, v70
	v_fmac_f32_e32 v71, v77, v84
	v_add_f32_e32 v50, v50, v71
	s_waitcnt lgkmcnt(0)
	v_mul_f32_e32 v70, v9, v67
	v_fma_f32 v70, v8, v66, -v70
	v_mul_f32_e32 v71, v8, v67
	v_add_f32_e32 v62, v62, v70
	v_mul_f32_e32 v70, v9, v69
	v_fmac_f32_e32 v71, v9, v66
	v_fma_f32 v70, v8, v68, -v70
	v_mul_f32_e32 v8, v8, v69
	v_add_f32_e32 v64, v64, v71
	v_fmac_f32_e32 v8, v9, v68
	v_add_f32_e32 v9, v58, v70
	ds_read2_b64 v[70:73], v57 offset0:96 offset1:112
	v_mul_f32_e32 v58, v79, v67
	v_fma_f32 v58, v78, v66, -v58
	v_add_f32_e32 v54, v54, v58
	v_mul_f32_e32 v58, v79, v69
	v_add_f32_e32 v8, v60, v8
	v_mul_f32_e32 v60, v78, v67
	v_fma_f32 v58, v78, v68, -v58
	v_fmac_f32_e32 v60, v79, v66
	v_add_f32_e32 v52, v52, v58
	s_waitcnt lgkmcnt(0)
	v_mul_f32_e32 v58, v11, v71
	v_add_f32_e32 v56, v56, v60
	v_mul_f32_e32 v60, v78, v69
	v_fma_f32 v58, v10, v70, -v58
	v_fmac_f32_e32 v60, v79, v68
	v_add_f32_e32 v58, v62, v58
	v_mul_f32_e32 v62, v11, v73
	v_add_f32_e32 v50, v50, v60
	v_mul_f32_e32 v60, v10, v71
	v_fma_f32 v62, v10, v72, -v62
	v_mul_f32_e32 v10, v10, v73
	v_fmac_f32_e32 v60, v11, v70
	v_fmac_f32_e32 v10, v11, v72
	v_add_f32_e32 v60, v64, v60
	v_add_f32_e32 v64, v8, v10
	v_mul_f32_e32 v8, v81, v71
	v_add_f32_e32 v62, v9, v62
	v_fma_f32 v8, v80, v70, -v8
	v_mul_f32_e32 v9, v80, v71
	v_fmac_f32_e32 v9, v81, v70
	v_add_f32_e32 v54, v54, v8
	v_mul_f32_e32 v8, v81, v73
	v_add_f32_e32 v56, v56, v9
	v_fma_f32 v66, v80, v72, -v8
	ds_read2_b64 v[8:11], v57 offset0:128 offset1:144
	v_mul_f32_e32 v67, v80, v73
	v_fmac_f32_e32 v67, v81, v72
	v_add_f32_e32 v52, v52, v66
	v_add_f32_e32 v50, v50, v67
	s_waitcnt lgkmcnt(0)
	v_mul_f32_e32 v66, v5, v9
	v_fma_f32 v66, v4, v8, -v66
	v_mul_f32_e32 v67, v4, v9
	v_fmac_f32_e32 v67, v5, v8
	v_add_f32_e32 v58, v58, v66
	v_mul_f32_e32 v66, v5, v11
	v_add_f32_e32 v60, v60, v67
	v_fma_f32 v70, v4, v10, -v66
	ds_read_b128 v[66:69], v53 offset:4128
	v_mul_f32_e32 v4, v4, v11
	ds_read2_b64 v[74:77], v57 offset0:160 offset1:176
	v_fmac_f32_e32 v4, v5, v10
	v_add_f32_e32 v5, v62, v70
	ds_read_b128 v[70:73], v53 offset:4144
	s_waitcnt lgkmcnt(2)
	v_mul_f32_e32 v62, v67, v9
	v_fma_f32 v62, v66, v8, -v62
	v_mul_f32_e32 v9, v66, v9
	v_fmac_f32_e32 v9, v67, v8
	v_add_f32_e32 v8, v54, v62
	v_mul_f32_e32 v54, v67, v11
	v_mul_f32_e32 v11, v66, v11
	v_fma_f32 v54, v66, v10, -v54
	v_fmac_f32_e32 v11, v67, v10
	v_add_f32_e32 v10, v52, v54
	v_add_f32_e32 v11, v50, v11
	s_waitcnt lgkmcnt(1)
	v_mul_f32_e32 v50, v7, v75
	v_mul_f32_e32 v54, v7, v77
	v_fma_f32 v50, v6, v74, -v50
	v_mul_f32_e32 v52, v6, v75
	v_fma_f32 v54, v6, v76, -v54
	v_mul_f32_e32 v6, v6, v77
	v_add_f32_e32 v4, v64, v4
	v_fmac_f32_e32 v6, v7, v76
	v_add_f32_e32 v9, v56, v9
	v_add_f32_e32 v56, v4, v6
	v_mul_f32_e32 v4, v69, v75
	v_add_f32_e32 v54, v5, v54
	v_fma_f32 v4, v68, v74, -v4
	v_mul_f32_e32 v5, v68, v75
	v_fmac_f32_e32 v5, v69, v74
	v_add_f32_e32 v8, v8, v4
	v_mul_f32_e32 v4, v69, v77
	v_fmac_f32_e32 v52, v7, v74
	v_add_f32_e32 v50, v58, v50
	v_add_f32_e32 v9, v9, v5
	v_fma_f32 v58, v68, v76, -v4
	ds_read2_b64 v[4:7], v57 offset0:192 offset1:208
	v_add_f32_e32 v58, v10, v58
	v_add_f32_e32 v52, v60, v52
	v_mul_f32_e32 v60, v68, v77
	v_fmac_f32_e32 v60, v69, v76
	s_waitcnt lgkmcnt(0)
	v_mul_f32_e32 v10, v1, v5
	v_fma_f32 v10, v0, v4, -v10
	v_add_f32_e32 v50, v50, v10
	v_mul_f32_e32 v10, v1, v7
	v_add_f32_e32 v60, v11, v60
	v_mul_f32_e32 v11, v0, v5
	v_fma_f32 v10, v0, v6, -v10
	v_mul_f32_e32 v0, v0, v7
	v_fmac_f32_e32 v11, v1, v4
	v_fmac_f32_e32 v0, v1, v6
	v_add_f32_e32 v1, v54, v10
	v_mul_f32_e32 v10, v71, v5
	v_fma_f32 v10, v70, v4, -v10
	v_mul_f32_e32 v5, v70, v5
	v_fmac_f32_e32 v5, v71, v4
	v_add_f32_e32 v4, v8, v10
	v_mul_f32_e32 v8, v71, v7
	v_add_f32_e32 v52, v52, v11
	v_add_f32_e32 v5, v9, v5
	v_fma_f32 v54, v70, v6, -v8
	ds_read2_b64 v[8:11], v57 offset0:224 offset1:240
	v_mul_f32_e32 v7, v70, v7
	v_fmac_f32_e32 v7, v71, v6
	v_add_f32_e32 v0, v56, v0
	v_add_f32_e32 v56, v60, v7
	s_waitcnt lgkmcnt(0)
	v_mul_f32_e32 v6, v3, v9
	v_fma_f32 v6, v2, v8, -v6
	v_add_f32_e32 v50, v50, v6
	v_mul_f32_e32 v6, v3, v11
	v_mul_f32_e32 v7, v2, v9
	v_fma_f32 v6, v2, v10, -v6
	v_mul_f32_e32 v2, v2, v11
	v_fmac_f32_e32 v2, v3, v10
	v_add_f32_e32 v60, v0, v2
	v_mul_f32_e32 v0, v73, v9
	v_add_f32_e32 v54, v58, v54
	v_add_f32_e32 v58, v1, v6
	v_fma_f32 v0, v72, v8, -v0
	v_mul_f32_e32 v1, v72, v9
	v_fmac_f32_e32 v7, v3, v8
	v_fmac_f32_e32 v1, v73, v8
	v_add_f32_e32 v62, v4, v0
	v_mul_f32_e32 v0, v73, v11
	v_add_f32_e32 v52, v52, v7
	v_add_f32_e32 v64, v5, v1
	v_fma_f32 v8, v72, v10, -v0
	ds_read_b128 v[0:3], v53 offset:64
	ds_read2_b64 v[4:7], v61 offset1:16
	v_mul_f32_e32 v9, v72, v11
	v_fmac_f32_e32 v9, v73, v10
	v_add_f32_e32 v54, v54, v8
	v_add_f32_e32 v56, v56, v9
	s_waitcnt lgkmcnt(0)
	v_mul_f32_e32 v66, v1, v5
	v_fma_f32 v66, v0, v4, -v66
	v_mul_f32_e32 v67, v0, v5
	v_fmac_f32_e32 v67, v1, v4
	v_add_f32_e32 v50, v50, v66
	v_mul_f32_e32 v66, v1, v7
	ds_read_b128 v[8:11], v53 offset:80
	v_add_f32_e32 v52, v52, v67
	v_fma_f32 v70, v0, v6, -v66
	ds_read_b128 v[66:69], v53 offset:4160
	v_mul_f32_e32 v0, v0, v7
	ds_read2_b64 v[74:77], v61 offset0:32 offset1:48
	v_fmac_f32_e32 v0, v1, v6
	v_add_f32_e32 v1, v58, v70
	s_waitcnt lgkmcnt(1)
	v_mul_f32_e32 v58, v67, v5
	v_fma_f32 v58, v66, v4, -v58
	v_mul_f32_e32 v5, v66, v5
	v_fmac_f32_e32 v5, v67, v4
	v_add_f32_e32 v4, v62, v58
	v_mul_f32_e32 v58, v67, v7
	v_fma_f32 v58, v66, v6, -v58
	v_mul_f32_e32 v7, v66, v7
	v_fmac_f32_e32 v7, v67, v6
	v_add_f32_e32 v6, v54, v58
	s_waitcnt lgkmcnt(0)
	v_mul_f32_e32 v54, v3, v75
	v_fma_f32 v54, v2, v74, -v54
	v_add_f32_e32 v50, v50, v54
	v_mul_f32_e32 v54, v3, v77
	v_add_f32_e32 v7, v56, v7
	v_mul_f32_e32 v56, v2, v75
	v_fma_f32 v54, v2, v76, -v54
	v_mul_f32_e32 v2, v2, v77
	v_add_f32_e32 v0, v60, v0
	v_fmac_f32_e32 v56, v3, v74
	v_fmac_f32_e32 v2, v3, v76
	v_add_f32_e32 v52, v52, v56
	v_add_f32_e32 v56, v0, v2
	v_mul_f32_e32 v0, v69, v75
	v_add_f32_e32 v54, v1, v54
	v_fma_f32 v0, v68, v74, -v0
	v_mul_f32_e32 v1, v68, v75
	v_add_f32_e32 v5, v64, v5
	v_fmac_f32_e32 v1, v69, v74
	v_add_f32_e32 v4, v4, v0
	v_mul_f32_e32 v0, v69, v77
	v_add_f32_e32 v5, v5, v1
	v_fma_f32 v58, v68, v76, -v0
	ds_read2_b64 v[0:3], v61 offset0:64 offset1:80
	ds_read_b128 v[70:73], v53 offset:4176
	v_mul_f32_e32 v60, v68, v77
	v_add_f32_e32 v58, v6, v58
	v_fmac_f32_e32 v60, v69, v76
	s_waitcnt lgkmcnt(1)
	v_mul_f32_e32 v6, v9, v1
	v_fma_f32 v6, v8, v0, -v6
	v_add_f32_e32 v60, v7, v60
	v_mul_f32_e32 v7, v8, v1
	v_add_f32_e32 v50, v50, v6
	v_mul_f32_e32 v6, v9, v3
	v_fmac_f32_e32 v7, v9, v0
	v_fma_f32 v6, v8, v2, -v6
	v_add_f32_e32 v52, v52, v7
	v_mul_f32_e32 v7, v8, v3
	v_add_f32_e32 v8, v54, v6
	s_waitcnt lgkmcnt(0)
	v_mul_f32_e32 v6, v71, v1
	v_fma_f32 v6, v70, v0, -v6
	v_mul_f32_e32 v1, v70, v1
	v_fmac_f32_e32 v7, v9, v2
	v_fmac_f32_e32 v1, v71, v0
	v_add_f32_e32 v0, v4, v6
	v_mul_f32_e32 v4, v71, v3
	v_add_f32_e32 v9, v56, v7
	v_add_f32_e32 v1, v5, v1
	v_fma_f32 v54, v70, v2, -v4
	ds_read2_b64 v[4:7], v61 offset0:96 offset1:112
	v_mul_f32_e32 v3, v70, v3
	v_fmac_f32_e32 v3, v71, v2
	v_add_f32_e32 v56, v60, v3
	v_add_f32_e32 v54, v58, v54
	s_waitcnt lgkmcnt(0)
	v_mul_f32_e32 v2, v11, v5
	v_fma_f32 v2, v10, v4, -v2
	v_mul_f32_e32 v3, v10, v5
	v_fmac_f32_e32 v3, v11, v4
	v_add_f32_e32 v50, v50, v2
	v_mul_f32_e32 v2, v11, v7
	v_add_f32_e32 v52, v52, v3
	v_fma_f32 v2, v10, v6, -v2
	v_mul_f32_e32 v3, v10, v7
	v_fmac_f32_e32 v3, v11, v6
	v_add_f32_e32 v58, v8, v2
	v_mul_f32_e32 v2, v73, v5
	v_add_f32_e32 v60, v9, v3
	;; [unrolled: 6-line block ×3, first 2 shown]
	v_fma_f32 v4, v72, v6, -v0
	ds_read_b128 v[0:3], v53 offset:96
	ds_read2_b64 v[8:11], v61 offset0:128 offset1:144
	v_mul_f32_e32 v5, v72, v7
	v_fmac_f32_e32 v5, v73, v6
	v_add_f32_e32 v54, v54, v4
	v_add_f32_e32 v56, v56, v5
	s_waitcnt lgkmcnt(0)
	v_mul_f32_e32 v66, v1, v9
	v_fma_f32 v66, v0, v8, -v66
	v_mul_f32_e32 v67, v0, v9
	v_fmac_f32_e32 v67, v1, v8
	v_add_f32_e32 v50, v50, v66
	v_mul_f32_e32 v66, v1, v11
	ds_read_b128 v[4:7], v53 offset:112
	v_add_f32_e32 v52, v52, v67
	v_fma_f32 v70, v0, v10, -v66
	ds_read_b128 v[66:69], v53 offset:4192
	v_mul_f32_e32 v0, v0, v11
	ds_read2_b64 v[74:77], v61 offset0:160 offset1:176
	v_fmac_f32_e32 v0, v1, v10
	v_add_f32_e32 v1, v58, v70
	s_waitcnt lgkmcnt(1)
	v_mul_f32_e32 v58, v67, v9
	v_fma_f32 v58, v66, v8, -v58
	v_mul_f32_e32 v9, v66, v9
	v_fmac_f32_e32 v9, v67, v8
	v_add_f32_e32 v8, v62, v58
	v_mul_f32_e32 v58, v67, v11
	v_fma_f32 v58, v66, v10, -v58
	v_mul_f32_e32 v11, v66, v11
	v_fmac_f32_e32 v11, v67, v10
	v_add_f32_e32 v10, v54, v58
	s_waitcnt lgkmcnt(0)
	v_mul_f32_e32 v54, v3, v75
	v_fma_f32 v54, v2, v74, -v54
	v_add_f32_e32 v50, v50, v54
	v_mul_f32_e32 v54, v3, v77
	v_add_f32_e32 v11, v56, v11
	v_mul_f32_e32 v56, v2, v75
	v_fma_f32 v54, v2, v76, -v54
	v_mul_f32_e32 v2, v2, v77
	v_add_f32_e32 v0, v60, v0
	v_fmac_f32_e32 v56, v3, v74
	v_fmac_f32_e32 v2, v3, v76
	v_add_f32_e32 v52, v52, v56
	v_add_f32_e32 v56, v0, v2
	v_mul_f32_e32 v0, v69, v75
	v_add_f32_e32 v54, v1, v54
	v_fma_f32 v0, v68, v74, -v0
	v_mul_f32_e32 v1, v68, v75
	v_add_f32_e32 v9, v64, v9
	v_fmac_f32_e32 v1, v69, v74
	v_add_f32_e32 v8, v8, v0
	v_mul_f32_e32 v0, v69, v77
	v_add_f32_e32 v9, v9, v1
	v_fma_f32 v58, v68, v76, -v0
	ds_read2_b64 v[0:3], v61 offset0:192 offset1:208
	ds_read_b128 v[70:73], v53 offset:4208
	v_add_f32_e32 v58, v10, v58
	v_mul_f32_e32 v60, v68, v77
	v_fmac_f32_e32 v60, v69, v76
	s_waitcnt lgkmcnt(1)
	v_mul_f32_e32 v10, v5, v1
	v_fma_f32 v10, v4, v0, -v10
	v_add_f32_e32 v50, v50, v10
	v_mul_f32_e32 v10, v5, v3
	v_add_f32_e32 v60, v11, v60
	v_mul_f32_e32 v11, v4, v1
	v_fma_f32 v10, v4, v2, -v10
	v_mul_f32_e32 v4, v4, v3
	v_fmac_f32_e32 v11, v5, v0
	v_fmac_f32_e32 v4, v5, v2
	v_add_f32_e32 v5, v54, v10
	s_waitcnt lgkmcnt(0)
	v_mul_f32_e32 v10, v71, v1
	v_fma_f32 v10, v70, v0, -v10
	v_mul_f32_e32 v1, v70, v1
	v_fmac_f32_e32 v1, v71, v0
	v_add_f32_e32 v0, v8, v10
	v_mul_f32_e32 v8, v71, v3
	v_add_f32_e32 v52, v52, v11
	v_add_f32_e32 v1, v9, v1
	v_fma_f32 v54, v70, v2, -v8
	ds_read2_b64 v[8:11], v61 offset0:224 offset1:240
	v_mul_f32_e32 v3, v70, v3
	v_fmac_f32_e32 v3, v71, v2
	v_add_f32_e32 v4, v56, v4
	v_add_f32_e32 v56, v60, v3
	s_waitcnt lgkmcnt(0)
	v_mul_f32_e32 v2, v7, v9
	v_fma_f32 v2, v6, v8, -v2
	v_mul_f32_e32 v3, v6, v9
	v_fmac_f32_e32 v3, v7, v8
	v_add_f32_e32 v50, v50, v2
	v_mul_f32_e32 v2, v7, v11
	v_add_f32_e32 v52, v52, v3
	v_fma_f32 v2, v6, v10, -v2
	v_mul_f32_e32 v3, v6, v11
	v_add_f32_e32 v54, v58, v54
	v_fmac_f32_e32 v3, v7, v10
	v_add_f32_e32 v58, v5, v2
	v_mul_f32_e32 v2, v73, v9
	v_add_f32_e32 v60, v4, v3
	v_fma_f32 v2, v72, v8, -v2
	v_mul_f32_e32 v3, v72, v9
	v_fmac_f32_e32 v3, v73, v8
	v_add_f32_e32 v62, v0, v2
	v_mul_f32_e32 v0, v73, v11
	v_add_f32_e32 v64, v1, v3
	v_fma_f32 v8, v72, v10, -v0
	ds_read_b128 v[0:3], v53 offset:128
	ds_read2_b64 v[4:7], v63 offset1:16
	v_mul_f32_e32 v9, v72, v11
	v_fmac_f32_e32 v9, v73, v10
	v_add_f32_e32 v54, v54, v8
	v_add_f32_e32 v56, v56, v9
	s_waitcnt lgkmcnt(0)
	v_mul_f32_e32 v66, v1, v5
	v_fma_f32 v66, v0, v4, -v66
	v_mul_f32_e32 v67, v0, v5
	v_fmac_f32_e32 v67, v1, v4
	v_add_f32_e32 v50, v50, v66
	v_mul_f32_e32 v66, v1, v7
	ds_read_b128 v[8:11], v53 offset:144
	v_add_f32_e32 v52, v52, v67
	v_fma_f32 v70, v0, v6, -v66
	ds_read_b128 v[66:69], v53 offset:4224
	v_mul_f32_e32 v0, v0, v7
	ds_read2_b64 v[74:77], v63 offset0:32 offset1:48
	v_fmac_f32_e32 v0, v1, v6
	v_add_f32_e32 v1, v58, v70
	s_waitcnt lgkmcnt(1)
	v_mul_f32_e32 v58, v67, v5
	v_fma_f32 v58, v66, v4, -v58
	v_mul_f32_e32 v5, v66, v5
	v_fmac_f32_e32 v5, v67, v4
	v_add_f32_e32 v4, v62, v58
	v_mul_f32_e32 v58, v67, v7
	v_fma_f32 v58, v66, v6, -v58
	v_mul_f32_e32 v7, v66, v7
	v_fmac_f32_e32 v7, v67, v6
	v_add_f32_e32 v6, v54, v58
	s_waitcnt lgkmcnt(0)
	v_mul_f32_e32 v54, v3, v75
	v_fma_f32 v54, v2, v74, -v54
	v_add_f32_e32 v50, v50, v54
	v_mul_f32_e32 v54, v3, v77
	v_add_f32_e32 v7, v56, v7
	v_mul_f32_e32 v56, v2, v75
	v_fma_f32 v54, v2, v76, -v54
	v_mul_f32_e32 v2, v2, v77
	v_add_f32_e32 v0, v60, v0
	v_fmac_f32_e32 v56, v3, v74
	v_fmac_f32_e32 v2, v3, v76
	v_add_f32_e32 v52, v52, v56
	v_add_f32_e32 v56, v0, v2
	v_mul_f32_e32 v0, v69, v75
	v_add_f32_e32 v54, v1, v54
	v_fma_f32 v0, v68, v74, -v0
	v_mul_f32_e32 v1, v68, v75
	v_add_f32_e32 v5, v64, v5
	v_fmac_f32_e32 v1, v69, v74
	v_add_f32_e32 v4, v4, v0
	v_mul_f32_e32 v0, v69, v77
	v_add_f32_e32 v5, v5, v1
	v_fma_f32 v58, v68, v76, -v0
	ds_read2_b64 v[0:3], v63 offset0:64 offset1:80
	ds_read_b128 v[70:73], v53 offset:4240
	v_mul_f32_e32 v60, v68, v77
	v_add_f32_e32 v58, v6, v58
	v_fmac_f32_e32 v60, v69, v76
	s_waitcnt lgkmcnt(1)
	v_mul_f32_e32 v6, v9, v1
	v_fma_f32 v6, v8, v0, -v6
	v_add_f32_e32 v60, v7, v60
	v_mul_f32_e32 v7, v8, v1
	v_add_f32_e32 v50, v50, v6
	v_mul_f32_e32 v6, v9, v3
	v_fmac_f32_e32 v7, v9, v0
	v_fma_f32 v6, v8, v2, -v6
	v_add_f32_e32 v52, v52, v7
	v_mul_f32_e32 v7, v8, v3
	v_add_f32_e32 v8, v54, v6
	s_waitcnt lgkmcnt(0)
	v_mul_f32_e32 v6, v71, v1
	v_fma_f32 v6, v70, v0, -v6
	v_mul_f32_e32 v1, v70, v1
	v_fmac_f32_e32 v7, v9, v2
	v_fmac_f32_e32 v1, v71, v0
	v_add_f32_e32 v0, v4, v6
	v_mul_f32_e32 v4, v71, v3
	v_add_f32_e32 v9, v56, v7
	v_add_f32_e32 v1, v5, v1
	v_fma_f32 v54, v70, v2, -v4
	ds_read2_b64 v[4:7], v63 offset0:96 offset1:112
	v_mul_f32_e32 v3, v70, v3
	v_fmac_f32_e32 v3, v71, v2
	v_add_f32_e32 v56, v60, v3
	v_add_f32_e32 v54, v58, v54
	s_waitcnt lgkmcnt(0)
	v_mul_f32_e32 v2, v11, v5
	v_fma_f32 v2, v10, v4, -v2
	v_mul_f32_e32 v3, v10, v5
	v_fmac_f32_e32 v3, v11, v4
	v_add_f32_e32 v50, v50, v2
	v_mul_f32_e32 v2, v11, v7
	v_add_f32_e32 v52, v52, v3
	v_fma_f32 v2, v10, v6, -v2
	v_mul_f32_e32 v3, v10, v7
	v_fmac_f32_e32 v3, v11, v6
	v_add_f32_e32 v58, v8, v2
	v_mul_f32_e32 v2, v73, v5
	v_add_f32_e32 v60, v9, v3
	;; [unrolled: 6-line block ×3, first 2 shown]
	v_fma_f32 v4, v72, v6, -v0
	ds_read_b128 v[0:3], v53 offset:160
	ds_read2_b64 v[8:11], v63 offset0:128 offset1:144
	v_mul_f32_e32 v5, v72, v7
	v_fmac_f32_e32 v5, v73, v6
	v_add_f32_e32 v54, v54, v4
	v_add_f32_e32 v56, v56, v5
	s_waitcnt lgkmcnt(0)
	v_mul_f32_e32 v66, v1, v9
	v_fma_f32 v66, v0, v8, -v66
	v_mul_f32_e32 v67, v0, v9
	v_fmac_f32_e32 v67, v1, v8
	v_add_f32_e32 v50, v50, v66
	v_mul_f32_e32 v66, v1, v11
	ds_read_b128 v[4:7], v53 offset:176
	v_add_f32_e32 v52, v52, v67
	v_fma_f32 v70, v0, v10, -v66
	ds_read_b128 v[66:69], v53 offset:4256
	v_mul_f32_e32 v0, v0, v11
	ds_read2_b64 v[74:77], v63 offset0:160 offset1:176
	v_fmac_f32_e32 v0, v1, v10
	v_add_f32_e32 v1, v58, v70
	s_waitcnt lgkmcnt(1)
	v_mul_f32_e32 v58, v67, v9
	v_fma_f32 v58, v66, v8, -v58
	v_mul_f32_e32 v9, v66, v9
	v_fmac_f32_e32 v9, v67, v8
	v_add_f32_e32 v8, v62, v58
	v_mul_f32_e32 v58, v67, v11
	v_fma_f32 v58, v66, v10, -v58
	v_mul_f32_e32 v11, v66, v11
	v_fmac_f32_e32 v11, v67, v10
	v_add_f32_e32 v10, v54, v58
	s_waitcnt lgkmcnt(0)
	v_mul_f32_e32 v54, v3, v75
	v_fma_f32 v54, v2, v74, -v54
	v_add_f32_e32 v50, v50, v54
	v_mul_f32_e32 v54, v3, v77
	v_add_f32_e32 v11, v56, v11
	v_mul_f32_e32 v56, v2, v75
	v_fma_f32 v54, v2, v76, -v54
	v_mul_f32_e32 v2, v2, v77
	v_add_f32_e32 v0, v60, v0
	v_fmac_f32_e32 v56, v3, v74
	v_fmac_f32_e32 v2, v3, v76
	v_add_f32_e32 v52, v52, v56
	v_add_f32_e32 v56, v0, v2
	v_mul_f32_e32 v0, v69, v75
	v_add_f32_e32 v54, v1, v54
	v_fma_f32 v0, v68, v74, -v0
	v_mul_f32_e32 v1, v68, v75
	v_add_f32_e32 v9, v64, v9
	v_fmac_f32_e32 v1, v69, v74
	v_add_f32_e32 v8, v8, v0
	v_mul_f32_e32 v0, v69, v77
	v_add_f32_e32 v9, v9, v1
	v_fma_f32 v58, v68, v76, -v0
	ds_read2_b64 v[0:3], v63 offset0:192 offset1:208
	ds_read_b128 v[70:73], v53 offset:4272
	v_add_f32_e32 v58, v10, v58
	v_mul_f32_e32 v60, v68, v77
	v_fmac_f32_e32 v60, v69, v76
	s_waitcnt lgkmcnt(1)
	v_mul_f32_e32 v10, v5, v1
	v_fma_f32 v10, v4, v0, -v10
	v_add_f32_e32 v50, v50, v10
	v_mul_f32_e32 v10, v5, v3
	v_add_f32_e32 v60, v11, v60
	v_mul_f32_e32 v11, v4, v1
	v_fma_f32 v10, v4, v2, -v10
	v_mul_f32_e32 v4, v4, v3
	v_fmac_f32_e32 v11, v5, v0
	v_fmac_f32_e32 v4, v5, v2
	v_add_f32_e32 v5, v54, v10
	s_waitcnt lgkmcnt(0)
	v_mul_f32_e32 v10, v71, v1
	v_fma_f32 v10, v70, v0, -v10
	v_mul_f32_e32 v1, v70, v1
	v_fmac_f32_e32 v1, v71, v0
	v_add_f32_e32 v0, v8, v10
	v_mul_f32_e32 v8, v71, v3
	v_add_f32_e32 v52, v52, v11
	v_add_f32_e32 v1, v9, v1
	v_fma_f32 v54, v70, v2, -v8
	ds_read2_b64 v[8:11], v63 offset0:224 offset1:240
	v_mul_f32_e32 v3, v70, v3
	v_fmac_f32_e32 v3, v71, v2
	v_add_f32_e32 v4, v56, v4
	v_add_f32_e32 v56, v60, v3
	s_waitcnt lgkmcnt(0)
	v_mul_f32_e32 v2, v7, v9
	v_fma_f32 v2, v6, v8, -v2
	v_mul_f32_e32 v3, v6, v9
	v_fmac_f32_e32 v3, v7, v8
	v_add_f32_e32 v50, v50, v2
	v_mul_f32_e32 v2, v7, v11
	v_add_f32_e32 v52, v52, v3
	v_fma_f32 v2, v6, v10, -v2
	v_mul_f32_e32 v3, v6, v11
	v_add_f32_e32 v54, v58, v54
	v_fmac_f32_e32 v3, v7, v10
	v_add_f32_e32 v58, v5, v2
	v_mul_f32_e32 v2, v73, v9
	v_add_f32_e32 v60, v4, v3
	v_fma_f32 v2, v72, v8, -v2
	v_mul_f32_e32 v3, v72, v9
	v_fmac_f32_e32 v3, v73, v8
	v_add_f32_e32 v62, v0, v2
	v_mul_f32_e32 v0, v73, v11
	v_add_f32_e32 v64, v1, v3
	v_fma_f32 v8, v72, v10, -v0
	ds_read_b128 v[0:3], v53 offset:192
	ds_read2_b64 v[4:7], v65 offset1:16
	v_mul_f32_e32 v9, v72, v11
	v_fmac_f32_e32 v9, v73, v10
	v_add_f32_e32 v54, v54, v8
	v_add_f32_e32 v56, v56, v9
	s_waitcnt lgkmcnt(0)
	v_mul_f32_e32 v66, v1, v5
	v_fma_f32 v66, v0, v4, -v66
	v_mul_f32_e32 v67, v0, v5
	v_fmac_f32_e32 v67, v1, v4
	v_add_f32_e32 v50, v50, v66
	v_mul_f32_e32 v66, v1, v7
	ds_read_b128 v[8:11], v53 offset:208
	v_add_f32_e32 v52, v52, v67
	v_fma_f32 v70, v0, v6, -v66
	ds_read_b128 v[66:69], v53 offset:4288
	v_mul_f32_e32 v0, v0, v7
	ds_read2_b64 v[74:77], v65 offset0:32 offset1:48
	v_fmac_f32_e32 v0, v1, v6
	v_add_f32_e32 v1, v58, v70
	s_waitcnt lgkmcnt(1)
	v_mul_f32_e32 v58, v67, v5
	v_fma_f32 v58, v66, v4, -v58
	v_mul_f32_e32 v5, v66, v5
	v_fmac_f32_e32 v5, v67, v4
	v_add_f32_e32 v4, v62, v58
	v_mul_f32_e32 v58, v67, v7
	v_fma_f32 v58, v66, v6, -v58
	v_mul_f32_e32 v7, v66, v7
	v_fmac_f32_e32 v7, v67, v6
	v_add_f32_e32 v6, v54, v58
	s_waitcnt lgkmcnt(0)
	v_mul_f32_e32 v54, v3, v75
	v_fma_f32 v54, v2, v74, -v54
	v_add_f32_e32 v50, v50, v54
	v_mul_f32_e32 v54, v3, v77
	v_add_f32_e32 v7, v56, v7
	v_mul_f32_e32 v56, v2, v75
	v_fma_f32 v54, v2, v76, -v54
	v_mul_f32_e32 v2, v2, v77
	v_add_f32_e32 v0, v60, v0
	v_fmac_f32_e32 v56, v3, v74
	v_fmac_f32_e32 v2, v3, v76
	v_add_f32_e32 v52, v52, v56
	v_add_f32_e32 v56, v0, v2
	v_mul_f32_e32 v0, v69, v75
	v_add_f32_e32 v54, v1, v54
	v_fma_f32 v0, v68, v74, -v0
	v_mul_f32_e32 v1, v68, v75
	v_add_f32_e32 v5, v64, v5
	v_fmac_f32_e32 v1, v69, v74
	v_add_f32_e32 v4, v4, v0
	v_mul_f32_e32 v0, v69, v77
	v_add_f32_e32 v5, v5, v1
	v_fma_f32 v58, v68, v76, -v0
	ds_read2_b64 v[0:3], v65 offset0:64 offset1:80
	ds_read_b128 v[70:73], v53 offset:4304
	v_mul_f32_e32 v60, v68, v77
	v_add_f32_e32 v58, v6, v58
	v_fmac_f32_e32 v60, v69, v76
	s_waitcnt lgkmcnt(1)
	v_mul_f32_e32 v6, v9, v1
	v_fma_f32 v6, v8, v0, -v6
	v_add_f32_e32 v60, v7, v60
	v_mul_f32_e32 v7, v8, v1
	v_add_f32_e32 v50, v50, v6
	v_mul_f32_e32 v6, v9, v3
	v_fmac_f32_e32 v7, v9, v0
	v_fma_f32 v6, v8, v2, -v6
	v_add_f32_e32 v52, v52, v7
	v_mul_f32_e32 v7, v8, v3
	v_add_f32_e32 v8, v54, v6
	s_waitcnt lgkmcnt(0)
	v_mul_f32_e32 v6, v71, v1
	v_fma_f32 v6, v70, v0, -v6
	v_mul_f32_e32 v1, v70, v1
	v_fmac_f32_e32 v7, v9, v2
	v_fmac_f32_e32 v1, v71, v0
	v_add_f32_e32 v0, v4, v6
	v_mul_f32_e32 v4, v71, v3
	v_add_f32_e32 v9, v56, v7
	v_add_f32_e32 v1, v5, v1
	v_fma_f32 v54, v70, v2, -v4
	ds_read2_b64 v[4:7], v65 offset0:96 offset1:112
	v_mul_f32_e32 v3, v70, v3
	v_fmac_f32_e32 v3, v71, v2
	v_add_f32_e32 v56, v60, v3
	v_add_f32_e32 v54, v58, v54
	s_waitcnt lgkmcnt(0)
	v_mul_f32_e32 v2, v11, v5
	v_fma_f32 v2, v10, v4, -v2
	v_mul_f32_e32 v3, v10, v5
	v_fmac_f32_e32 v3, v11, v4
	v_add_f32_e32 v50, v50, v2
	v_mul_f32_e32 v2, v11, v7
	v_add_f32_e32 v52, v52, v3
	v_fma_f32 v2, v10, v6, -v2
	v_mul_f32_e32 v3, v10, v7
	v_fmac_f32_e32 v3, v11, v6
	v_add_f32_e32 v58, v8, v2
	v_mul_f32_e32 v2, v73, v5
	v_add_f32_e32 v60, v9, v3
	;; [unrolled: 6-line block ×3, first 2 shown]
	v_fma_f32 v4, v72, v6, -v0
	ds_read_b128 v[0:3], v53 offset:224
	ds_read2_b64 v[8:11], v65 offset0:128 offset1:144
	v_mul_f32_e32 v5, v72, v7
	v_fmac_f32_e32 v5, v73, v6
	v_add_f32_e32 v54, v54, v4
	v_add_f32_e32 v56, v56, v5
	s_waitcnt lgkmcnt(0)
	v_mul_f32_e32 v66, v1, v9
	v_fma_f32 v66, v0, v8, -v66
	v_mul_f32_e32 v67, v0, v9
	v_fmac_f32_e32 v67, v1, v8
	v_add_f32_e32 v50, v50, v66
	v_mul_f32_e32 v66, v1, v11
	ds_read_b128 v[4:7], v53 offset:240
	v_add_f32_e32 v52, v52, v67
	v_fma_f32 v70, v0, v10, -v66
	ds_read_b128 v[66:69], v53 offset:4320
	v_mul_f32_e32 v0, v0, v11
	ds_read2_b64 v[74:77], v65 offset0:160 offset1:176
	v_fmac_f32_e32 v0, v1, v10
	v_add_f32_e32 v1, v58, v70
	s_waitcnt lgkmcnt(1)
	v_mul_f32_e32 v58, v67, v9
	v_fma_f32 v58, v66, v8, -v58
	v_mul_f32_e32 v9, v66, v9
	v_fmac_f32_e32 v9, v67, v8
	v_add_f32_e32 v8, v62, v58
	v_mul_f32_e32 v58, v67, v11
	v_fma_f32 v58, v66, v10, -v58
	v_mul_f32_e32 v11, v66, v11
	v_fmac_f32_e32 v11, v67, v10
	v_add_f32_e32 v10, v54, v58
	s_waitcnt lgkmcnt(0)
	v_mul_f32_e32 v54, v3, v75
	v_fma_f32 v54, v2, v74, -v54
	v_add_f32_e32 v50, v50, v54
	v_mul_f32_e32 v54, v3, v77
	v_add_f32_e32 v11, v56, v11
	v_mul_f32_e32 v56, v2, v75
	v_fma_f32 v54, v2, v76, -v54
	v_mul_f32_e32 v2, v2, v77
	v_add_f32_e32 v0, v60, v0
	v_fmac_f32_e32 v56, v3, v74
	v_fmac_f32_e32 v2, v3, v76
	v_add_f32_e32 v52, v52, v56
	v_add_f32_e32 v56, v0, v2
	v_mul_f32_e32 v0, v69, v75
	v_add_f32_e32 v54, v1, v54
	v_fma_f32 v0, v68, v74, -v0
	v_mul_f32_e32 v1, v68, v75
	v_add_f32_e32 v9, v64, v9
	v_fmac_f32_e32 v1, v69, v74
	v_add_f32_e32 v8, v8, v0
	v_mul_f32_e32 v0, v69, v77
	v_add_f32_e32 v9, v9, v1
	v_fma_f32 v58, v68, v76, -v0
	ds_read2_b64 v[0:3], v65 offset0:192 offset1:208
	ds_read_b128 v[70:73], v53 offset:4336
	v_add_f32_e32 v58, v10, v58
	v_mul_f32_e32 v60, v68, v77
	v_fmac_f32_e32 v60, v69, v76
	s_waitcnt lgkmcnt(1)
	v_mul_f32_e32 v10, v5, v1
	v_fma_f32 v10, v4, v0, -v10
	v_add_f32_e32 v50, v50, v10
	v_mul_f32_e32 v10, v5, v3
	v_add_f32_e32 v60, v11, v60
	v_mul_f32_e32 v11, v4, v1
	v_fma_f32 v10, v4, v2, -v10
	v_mul_f32_e32 v4, v4, v3
	v_fmac_f32_e32 v11, v5, v0
	v_fmac_f32_e32 v4, v5, v2
	v_add_f32_e32 v5, v54, v10
	s_waitcnt lgkmcnt(0)
	v_mul_f32_e32 v10, v71, v1
	v_fma_f32 v10, v70, v0, -v10
	v_mul_f32_e32 v1, v70, v1
	v_fmac_f32_e32 v1, v71, v0
	v_add_f32_e32 v0, v8, v10
	v_mul_f32_e32 v8, v71, v3
	v_add_f32_e32 v52, v52, v11
	v_add_f32_e32 v1, v9, v1
	v_fma_f32 v54, v70, v2, -v8
	ds_read2_b64 v[8:11], v65 offset0:224 offset1:240
	v_mul_f32_e32 v3, v70, v3
	v_fmac_f32_e32 v3, v71, v2
	v_add_f32_e32 v2, v58, v54
	v_add_f32_e32 v4, v56, v4
	s_waitcnt lgkmcnt(0)
	v_mul_f32_e32 v54, v7, v9
	v_fma_f32 v54, v6, v8, -v54
	v_add_f32_e32 v62, v50, v54
	v_mul_f32_e32 v50, v7, v11
	v_mul_f32_e32 v56, v6, v9
	v_fma_f32 v50, v6, v10, -v50
	v_mul_f32_e32 v6, v6, v11
	v_fmac_f32_e32 v6, v7, v10
	v_add_f32_e32 v3, v60, v3
	v_add_f32_e32 v58, v5, v50
	;; [unrolled: 1-line block ×3, first 2 shown]
	v_mul_f32_e32 v4, v73, v9
	v_mul_f32_e32 v5, v72, v9
	v_fmac_f32_e32 v56, v7, v8
	v_fma_f32 v4, v72, v8, -v4
	v_fmac_f32_e32 v5, v73, v8
	v_add_f32_e32 v64, v52, v56
	v_add_f32_e32 v54, v0, v4
	;; [unrolled: 1-line block ×3, first 2 shown]
	v_mul_f32_e32 v0, v73, v11
	v_mul_f32_e32 v1, v72, v11
	s_add_u32 s54, s54, 32
	v_fma_f32 v0, v72, v10, -v0
	v_fmac_f32_e32 v1, v73, v10
	s_addc_u32 s55, s55, 0
	v_add_f32_e32 v52, v2, v0
	v_add_f32_e32 v50, v3, v1
	v_lshl_add_u64 v[34:35], v[34:35], 0, s[38:39]
	v_lshl_add_u64 v[48:49], v[48:49], 0, s[50:51]
	s_cmp_ge_i32 s54, s63
	v_lshl_add_u64 v[38:39], v[38:39], 0, s[38:39]
	s_barrier
	s_cbranch_scc1 .LBB84_52
.LBB84_7:                               ;   Parent Loop BB84_4 Depth=1
                                        ; =>  This Inner Loop Header: Depth=2
	v_lshl_add_u64 v[0:1], v[16:17], 0, s[54:55]
	v_cmp_eq_u64_e64 s[4:5], s[54:55], v[30:31]
	v_cmp_lt_i64_e64 s[10:11], v[0:1], v[28:29]
	s_and_b64 s[58:59], s[42:43], s[4:5]
	v_cmp_le_i64_e64 s[12:13], s[46:47], v[0:1]
	s_or_b64 s[4:5], s[6:7], s[10:11]
	s_or_b64 s[4:5], s[12:13], s[4:5]
	v_lshl_add_u64 v[2:3], v[38:39], 0, v[32:33]
	s_nor_b64 s[4:5], s[4:5], s[58:59]
	s_and_saveexec_b64 s[14:15], s[4:5]
	s_xor_b64 s[4:5], exec, s[14:15]
	s_cbranch_execz .LBB84_9
; %bb.8:                                ;   in Loop: Header=BB84_7 Depth=2
	global_load_dwordx2 v[4:5], v[2:3], off
	s_waitcnt vmcnt(0)
	ds_write_b64 v55, v[4:5]
.LBB84_9:                               ;   in Loop: Header=BB84_7 Depth=2
	s_or_saveexec_b64 s[4:5], s[4:5]
	s_xor_b64 s[56:57], s[58:59], -1
	s_xor_b64 exec, exec, s[4:5]
	s_cbranch_execz .LBB84_15
; %bb.10:                               ;   in Loop: Header=BB84_7 Depth=2
	s_and_saveexec_b64 s[14:15], s[56:57]
	s_xor_b64 s[14:15], exec, s[14:15]
; %bb.11:                               ;   in Loop: Header=BB84_7 Depth=2
	ds_write_b64 v55, v[24:25]
; %bb.12:                               ;   in Loop: Header=BB84_7 Depth=2
	s_andn2_saveexec_b64 s[14:15], s[14:15]
; %bb.13:                               ;   in Loop: Header=BB84_7 Depth=2
	ds_write_b64 v55, v[26:27]
; %bb.14:                               ;   in Loop: Header=BB84_7 Depth=2
	s_or_b64 exec, exec, s[14:15]
.LBB84_15:                              ;   in Loop: Header=BB84_7 Depth=2
	s_or_b64 exec, exec, s[4:5]
	v_lshl_add_u64 v[4:5], v[0:1], 0, 16
	v_cmp_eq_u64_e64 s[4:5], s[54:55], v[46:47]
	s_and_b64 s[60:61], s[42:43], s[4:5]
	v_cmp_lt_i64_e64 s[4:5], v[4:5], v[28:29]
	v_cmp_le_i64_e64 s[14:15], s[46:47], v[4:5]
	s_or_b64 s[4:5], s[6:7], s[4:5]
	s_or_b64 s[4:5], s[14:15], s[4:5]
	s_nor_b64 s[4:5], s[4:5], s[60:61]
	s_and_saveexec_b64 s[64:65], s[4:5]
	s_xor_b64 s[4:5], exec, s[64:65]
	s_cbranch_execz .LBB84_17
; %bb.16:                               ;   in Loop: Header=BB84_7 Depth=2
	global_load_dwordx2 v[2:3], v[2:3], off offset:128
	s_waitcnt vmcnt(0)
	ds_write_b64 v55, v[2:3] offset:128
.LBB84_17:                              ;   in Loop: Header=BB84_7 Depth=2
	s_andn2_saveexec_b64 s[4:5], s[4:5]
	s_cbranch_execz .LBB84_23
; %bb.18:                               ;   in Loop: Header=BB84_7 Depth=2
	s_xor_b64 s[60:61], s[60:61], -1
	s_and_saveexec_b64 s[64:65], s[60:61]
	s_xor_b64 s[60:61], exec, s[64:65]
; %bb.19:                               ;   in Loop: Header=BB84_7 Depth=2
	ds_write_b64 v55, v[24:25] offset:128
; %bb.20:                               ;   in Loop: Header=BB84_7 Depth=2
	s_andn2_saveexec_b64 s[60:61], s[60:61]
; %bb.21:                               ;   in Loop: Header=BB84_7 Depth=2
	ds_write_b64 v55, v[26:27] offset:128
; %bb.22:                               ;   in Loop: Header=BB84_7 Depth=2
	s_or_b64 exec, exec, s[60:61]
.LBB84_23:                              ;   in Loop: Header=BB84_7 Depth=2
	s_or_b64 exec, exec, s[4:5]
	v_cmp_eq_u64_e64 s[4:5], s[54:55], v[44:45]
	s_and_b64 s[60:61], s[42:43], s[4:5]
	v_cmp_lt_i64_e64 s[4:5], v[0:1], v[42:43]
	s_or_b64 s[4:5], s[8:9], s[4:5]
	s_or_b64 s[4:5], s[4:5], s[60:61]
	v_lshl_add_u64 v[2:3], v[34:35], 0, v[32:33]
	s_nor_b64 s[4:5], s[12:13], s[4:5]
	s_and_saveexec_b64 s[12:13], s[4:5]
	s_xor_b64 s[4:5], exec, s[12:13]
	s_cbranch_execz .LBB84_25
; %bb.24:                               ;   in Loop: Header=BB84_7 Depth=2
	global_load_dwordx2 v[0:1], v[2:3], off
	s_waitcnt vmcnt(0)
	ds_write_b64 v55, v[0:1] offset:4096
.LBB84_25:                              ;   in Loop: Header=BB84_7 Depth=2
	s_andn2_saveexec_b64 s[4:5], s[4:5]
	s_cbranch_execz .LBB84_31
; %bb.26:                               ;   in Loop: Header=BB84_7 Depth=2
	s_xor_b64 s[12:13], s[60:61], -1
	s_and_saveexec_b64 s[60:61], s[12:13]
	s_xor_b64 s[12:13], exec, s[60:61]
; %bb.27:                               ;   in Loop: Header=BB84_7 Depth=2
	ds_write_b64 v55, v[24:25] offset:4096
; %bb.28:                               ;   in Loop: Header=BB84_7 Depth=2
	s_andn2_saveexec_b64 s[12:13], s[12:13]
; %bb.29:                               ;   in Loop: Header=BB84_7 Depth=2
	ds_write_b64 v55, v[26:27] offset:4096
; %bb.30:                               ;   in Loop: Header=BB84_7 Depth=2
	s_or_b64 exec, exec, s[12:13]
.LBB84_31:                              ;   in Loop: Header=BB84_7 Depth=2
	s_or_b64 exec, exec, s[4:5]
	s_or_b64 s[4:5], s[8:9], s[10:11]
	s_or_b64 s[4:5], s[14:15], s[4:5]
	s_nor_b64 s[4:5], s[4:5], s[58:59]
	s_and_saveexec_b64 s[10:11], s[4:5]
	s_xor_b64 s[4:5], exec, s[10:11]
	s_cbranch_execz .LBB84_33
; %bb.32:                               ;   in Loop: Header=BB84_7 Depth=2
	global_load_dwordx2 v[0:1], v[2:3], off offset:128
	s_waitcnt vmcnt(0)
	ds_write_b64 v55, v[0:1] offset:4224
.LBB84_33:                              ;   in Loop: Header=BB84_7 Depth=2
	s_andn2_saveexec_b64 s[4:5], s[4:5]
	s_cbranch_execz .LBB84_39
; %bb.34:                               ;   in Loop: Header=BB84_7 Depth=2
	s_and_saveexec_b64 s[10:11], s[56:57]
	s_xor_b64 s[10:11], exec, s[10:11]
; %bb.35:                               ;   in Loop: Header=BB84_7 Depth=2
	ds_write_b64 v55, v[24:25] offset:4224
; %bb.36:                               ;   in Loop: Header=BB84_7 Depth=2
	s_andn2_saveexec_b64 s[10:11], s[10:11]
; %bb.37:                               ;   in Loop: Header=BB84_7 Depth=2
	ds_write_b64 v55, v[26:27] offset:4224
; %bb.38:                               ;   in Loop: Header=BB84_7 Depth=2
	s_or_b64 exec, exec, s[10:11]
.LBB84_39:                              ;   in Loop: Header=BB84_7 Depth=2
	s_or_b64 exec, exec, s[4:5]
	v_lshl_add_u64 v[0:1], v[18:19], 0, s[54:55]
	v_cmp_le_i64_e64 s[10:11], s[46:47], v[0:1]
	v_lshl_add_u64 v[2:3], v[36:37], 0, v[48:49]
	s_nor_b64 s[12:13], s[10:11], vcc
	v_mov_b64_e32 v[4:5], 0
	s_and_saveexec_b64 s[4:5], s[12:13]
	s_cbranch_execz .LBB84_41
; %bb.40:                               ;   in Loop: Header=BB84_7 Depth=2
	global_load_dwordx2 v[4:5], v[2:3], off offset:-128
.LBB84_41:                              ;   in Loop: Header=BB84_7 Depth=2
	s_or_b64 exec, exec, s[4:5]
	s_nor_b64 s[4:5], s[10:11], s[0:1]
	s_waitcnt vmcnt(0)
	ds_write_b64 v59, v[4:5]
	s_and_saveexec_b64 s[10:11], s[4:5]
	s_xor_b64 s[4:5], exec, s[10:11]
	s_cbranch_execz .LBB84_43
; %bb.42:                               ;   in Loop: Header=BB84_7 Depth=2
	global_load_dwordx2 v[2:3], v[2:3], off
	s_waitcnt vmcnt(0)
	ds_write_b64 v59, v[2:3] offset:128
.LBB84_43:                              ;   in Loop: Header=BB84_7 Depth=2
	s_andn2_saveexec_b64 s[4:5], s[4:5]
; %bb.44:                               ;   in Loop: Header=BB84_7 Depth=2
	ds_write_b64 v59, v[24:25] offset:128
; %bb.45:                               ;   in Loop: Header=BB84_7 Depth=2
	s_or_b64 exec, exec, s[4:5]
	v_cmp_le_i64_e64 s[10:11], s[52:53], v[0:1]
	v_lshl_add_u64 v[0:1], v[40:41], 0, v[48:49]
	s_nor_b64 s[12:13], s[10:11], vcc
	v_mov_b64_e32 v[2:3], 0
	s_and_saveexec_b64 s[4:5], s[12:13]
	s_cbranch_execz .LBB84_47
; %bb.46:                               ;   in Loop: Header=BB84_7 Depth=2
	global_load_dwordx2 v[2:3], v[0:1], off
.LBB84_47:                              ;   in Loop: Header=BB84_7 Depth=2
	s_or_b64 exec, exec, s[4:5]
	s_nor_b64 s[4:5], s[10:11], s[0:1]
	s_waitcnt vmcnt(0)
	ds_write_b64 v59, v[2:3] offset:4096
	s_and_saveexec_b64 s[10:11], s[4:5]
	s_xor_b64 s[4:5], exec, s[10:11]
	s_cbranch_execz .LBB84_49
; %bb.48:                               ;   in Loop: Header=BB84_7 Depth=2
	global_load_dwordx2 v[0:1], v[0:1], off offset:128
	s_waitcnt vmcnt(0)
	ds_write_b64 v59, v[0:1] offset:4224
.LBB84_49:                              ;   in Loop: Header=BB84_7 Depth=2
	s_andn2_saveexec_b64 s[4:5], s[4:5]
	s_cbranch_execz .LBB84_6
; %bb.50:                               ;   in Loop: Header=BB84_7 Depth=2
	ds_write_b64 v59, v[24:25] offset:4224
	s_branch .LBB84_6
.LBB84_51:                              ;   in Loop: Header=BB84_4 Depth=1
	v_mov_b32_e32 v62, 0
	v_mov_b32_e32 v64, 0
	;; [unrolled: 1-line block ×8, first 2 shown]
.LBB84_52:                              ;   in Loop: Header=BB84_4 Depth=1
	v_mul_lo_u32 v2, s49, v28
	v_mul_lo_u32 v3, s48, v29
	v_mad_u64_u32 v[0:1], s[4:5], s48, v28, 0
	v_cmp_gt_i32_e64 s[6:7], s46, v28
	v_add3_u32 v1, v1, v3, v2
	v_lshl_add_u64 v[0:1], v[0:1], 3, s[40:41]
	s_and_b64 s[8:9], s[16:17], s[6:7]
	s_and_saveexec_b64 s[4:5], s[8:9]
	s_cbranch_execz .LBB84_54
; %bb.53:                               ;   in Loop: Header=BB84_4 Depth=1
	v_lshl_add_u64 v[2:3], v[12:13], 3, v[0:1]
	global_load_dwordx2 v[4:5], v[2:3], off
	v_pk_mul_f32 v[6:7], v[64:65], s[44:45] op_sel_hi:[0,1]
	v_pk_fma_f32 v[8:9], v[62:63], s[34:35], v[6:7] neg_lo:[0,0,1] neg_hi:[0,0,1]
	v_pk_fma_f32 v[6:7], v[62:63], s[34:35], v[6:7] op_sel_hi:[0,1,1]
	v_mov_b32_e32 v9, v7
	s_waitcnt vmcnt(0)
	v_pk_add_f32 v[4:5], v[4:5], v[8:9]
	global_store_dwordx2 v[2:3], v[4:5], off
.LBB84_54:                              ;   in Loop: Header=BB84_4 Depth=1
	s_or_b64 exec, exec, s[4:5]
	s_and_b64 s[6:7], s[18:19], s[6:7]
	s_and_saveexec_b64 s[4:5], s[6:7]
	s_cbranch_execz .LBB84_56
; %bb.55:                               ;   in Loop: Header=BB84_4 Depth=1
	v_lshl_add_u64 v[0:1], v[14:15], 3, v[0:1]
	global_load_dwordx2 v[2:3], v[0:1], off
	v_pk_mul_f32 v[4:5], v[60:61], s[44:45] op_sel_hi:[0,1]
	v_pk_fma_f32 v[6:7], v[58:59], s[34:35], v[4:5] neg_lo:[0,0,1] neg_hi:[0,0,1]
	v_pk_fma_f32 v[4:5], v[58:59], s[34:35], v[4:5] op_sel_hi:[0,1,1]
	v_mov_b32_e32 v7, v5
	s_waitcnt vmcnt(0)
	v_pk_add_f32 v[2:3], v[2:3], v[6:7]
	global_store_dwordx2 v[0:1], v[2:3], off
.LBB84_56:                              ;   in Loop: Header=BB84_4 Depth=1
	s_or_b64 exec, exec, s[4:5]
	v_add_u32_e32 v0, 16, v28
	v_ashrrev_i32_e32 v1, 31, v0
	v_cmp_gt_i32_e64 s[6:7], s46, v0
	v_mul_lo_u32 v2, s48, v1
	v_mul_lo_u32 v3, s49, v0
	v_mad_u64_u32 v[0:1], s[4:5], s48, v0, 0
	v_add3_u32 v1, v1, v2, v3
	v_lshl_add_u64 v[0:1], v[0:1], 3, s[40:41]
	s_and_b64 s[8:9], s[16:17], s[6:7]
	s_and_saveexec_b64 s[4:5], s[8:9]
	s_cbranch_execz .LBB84_58
; %bb.57:                               ;   in Loop: Header=BB84_4 Depth=1
	v_lshl_add_u64 v[2:3], v[12:13], 3, v[0:1]
	global_load_dwordx2 v[4:5], v[2:3], off
	v_pk_mul_f32 v[6:7], v[56:57], s[44:45] op_sel_hi:[0,1]
	v_pk_fma_f32 v[8:9], v[54:55], s[34:35], v[6:7] neg_lo:[0,0,1] neg_hi:[0,0,1]
	v_pk_fma_f32 v[6:7], v[54:55], s[34:35], v[6:7] op_sel_hi:[0,1,1]
	v_mov_b32_e32 v9, v7
	s_waitcnt vmcnt(0)
	v_pk_add_f32 v[4:5], v[4:5], v[8:9]
	global_store_dwordx2 v[2:3], v[4:5], off
.LBB84_58:                              ;   in Loop: Header=BB84_4 Depth=1
	s_or_b64 exec, exec, s[4:5]
	s_and_b64 s[6:7], s[18:19], s[6:7]
	s_and_saveexec_b64 s[4:5], s[6:7]
	s_cbranch_execz .LBB84_3
; %bb.59:                               ;   in Loop: Header=BB84_4 Depth=1
	v_lshl_add_u64 v[0:1], v[14:15], 3, v[0:1]
	global_load_dwordx2 v[2:3], v[0:1], off
	v_pk_mul_f32 v[4:5], v[50:51], s[44:45] op_sel_hi:[0,1]
	v_pk_fma_f32 v[6:7], v[52:53], s[34:35], v[4:5] neg_lo:[0,0,1] neg_hi:[0,0,1]
	v_pk_fma_f32 v[4:5], v[52:53], s[34:35], v[4:5] op_sel_hi:[0,1,1]
	v_mov_b32_e32 v7, v5
	s_waitcnt vmcnt(0)
	v_pk_add_f32 v[2:3], v[2:3], v[6:7]
	global_store_dwordx2 v[0:1], v[2:3], off
	s_branch .LBB84_3
.LBB84_60:
	s_endpgm
	.section	.rodata,"a",@progbits
	.p2align	6, 0x0
	.amdhsa_kernel _ZL30rocblas_trmm_outofplace_kernelI19rocblas_complex_numIfELi32ELi2ELb0ELb0ELb0ELb0EPKS1_S2_S1_Ev17rocblas_diagonal_iiT6_lPT7_lllS7_lllPT8_llli
		.amdhsa_group_segment_fixed_size 16384
		.amdhsa_private_segment_fixed_size 0
		.amdhsa_kernarg_size 392
		.amdhsa_user_sgpr_count 2
		.amdhsa_user_sgpr_dispatch_ptr 0
		.amdhsa_user_sgpr_queue_ptr 0
		.amdhsa_user_sgpr_kernarg_segment_ptr 1
		.amdhsa_user_sgpr_dispatch_id 0
		.amdhsa_user_sgpr_kernarg_preload_length 0
		.amdhsa_user_sgpr_kernarg_preload_offset 0
		.amdhsa_user_sgpr_private_segment_size 0
		.amdhsa_uses_dynamic_stack 0
		.amdhsa_enable_private_segment 0
		.amdhsa_system_sgpr_workgroup_id_x 1
		.amdhsa_system_sgpr_workgroup_id_y 1
		.amdhsa_system_sgpr_workgroup_id_z 1
		.amdhsa_system_sgpr_workgroup_info 0
		.amdhsa_system_vgpr_workitem_id 1
		.amdhsa_next_free_vgpr 86
		.amdhsa_next_free_sgpr 66
		.amdhsa_accum_offset 88
		.amdhsa_reserve_vcc 1
		.amdhsa_float_round_mode_32 0
		.amdhsa_float_round_mode_16_64 0
		.amdhsa_float_denorm_mode_32 3
		.amdhsa_float_denorm_mode_16_64 3
		.amdhsa_dx10_clamp 1
		.amdhsa_ieee_mode 1
		.amdhsa_fp16_overflow 0
		.amdhsa_tg_split 0
		.amdhsa_exception_fp_ieee_invalid_op 0
		.amdhsa_exception_fp_denorm_src 0
		.amdhsa_exception_fp_ieee_div_zero 0
		.amdhsa_exception_fp_ieee_overflow 0
		.amdhsa_exception_fp_ieee_underflow 0
		.amdhsa_exception_fp_ieee_inexact 0
		.amdhsa_exception_int_div_zero 0
	.end_amdhsa_kernel
	.section	.text._ZL30rocblas_trmm_outofplace_kernelI19rocblas_complex_numIfELi32ELi2ELb0ELb0ELb0ELb0EPKS1_S2_S1_Ev17rocblas_diagonal_iiT6_lPT7_lllS7_lllPT8_llli,"axG",@progbits,_ZL30rocblas_trmm_outofplace_kernelI19rocblas_complex_numIfELi32ELi2ELb0ELb0ELb0ELb0EPKS1_S2_S1_Ev17rocblas_diagonal_iiT6_lPT7_lllS7_lllPT8_llli,comdat
.Lfunc_end84:
	.size	_ZL30rocblas_trmm_outofplace_kernelI19rocblas_complex_numIfELi32ELi2ELb0ELb0ELb0ELb0EPKS1_S2_S1_Ev17rocblas_diagonal_iiT6_lPT7_lllS7_lllPT8_llli, .Lfunc_end84-_ZL30rocblas_trmm_outofplace_kernelI19rocblas_complex_numIfELi32ELi2ELb0ELb0ELb0ELb0EPKS1_S2_S1_Ev17rocblas_diagonal_iiT6_lPT7_lllS7_lllPT8_llli
                                        ; -- End function
	.set _ZL30rocblas_trmm_outofplace_kernelI19rocblas_complex_numIfELi32ELi2ELb0ELb0ELb0ELb0EPKS1_S2_S1_Ev17rocblas_diagonal_iiT6_lPT7_lllS7_lllPT8_llli.num_vgpr, 86
	.set _ZL30rocblas_trmm_outofplace_kernelI19rocblas_complex_numIfELi32ELi2ELb0ELb0ELb0ELb0EPKS1_S2_S1_Ev17rocblas_diagonal_iiT6_lPT7_lllS7_lllPT8_llli.num_agpr, 0
	.set _ZL30rocblas_trmm_outofplace_kernelI19rocblas_complex_numIfELi32ELi2ELb0ELb0ELb0ELb0EPKS1_S2_S1_Ev17rocblas_diagonal_iiT6_lPT7_lllS7_lllPT8_llli.numbered_sgpr, 66
	.set _ZL30rocblas_trmm_outofplace_kernelI19rocblas_complex_numIfELi32ELi2ELb0ELb0ELb0ELb0EPKS1_S2_S1_Ev17rocblas_diagonal_iiT6_lPT7_lllS7_lllPT8_llli.num_named_barrier, 0
	.set _ZL30rocblas_trmm_outofplace_kernelI19rocblas_complex_numIfELi32ELi2ELb0ELb0ELb0ELb0EPKS1_S2_S1_Ev17rocblas_diagonal_iiT6_lPT7_lllS7_lllPT8_llli.private_seg_size, 0
	.set _ZL30rocblas_trmm_outofplace_kernelI19rocblas_complex_numIfELi32ELi2ELb0ELb0ELb0ELb0EPKS1_S2_S1_Ev17rocblas_diagonal_iiT6_lPT7_lllS7_lllPT8_llli.uses_vcc, 1
	.set _ZL30rocblas_trmm_outofplace_kernelI19rocblas_complex_numIfELi32ELi2ELb0ELb0ELb0ELb0EPKS1_S2_S1_Ev17rocblas_diagonal_iiT6_lPT7_lllS7_lllPT8_llli.uses_flat_scratch, 0
	.set _ZL30rocblas_trmm_outofplace_kernelI19rocblas_complex_numIfELi32ELi2ELb0ELb0ELb0ELb0EPKS1_S2_S1_Ev17rocblas_diagonal_iiT6_lPT7_lllS7_lllPT8_llli.has_dyn_sized_stack, 0
	.set _ZL30rocblas_trmm_outofplace_kernelI19rocblas_complex_numIfELi32ELi2ELb0ELb0ELb0ELb0EPKS1_S2_S1_Ev17rocblas_diagonal_iiT6_lPT7_lllS7_lllPT8_llli.has_recursion, 0
	.set _ZL30rocblas_trmm_outofplace_kernelI19rocblas_complex_numIfELi32ELi2ELb0ELb0ELb0ELb0EPKS1_S2_S1_Ev17rocblas_diagonal_iiT6_lPT7_lllS7_lllPT8_llli.has_indirect_call, 0
	.section	.AMDGPU.csdata,"",@progbits
; Kernel info:
; codeLenInByte = 6296
; TotalNumSgprs: 72
; NumVgprs: 86
; NumAgprs: 0
; TotalNumVgprs: 86
; ScratchSize: 0
; MemoryBound: 1
; FloatMode: 240
; IeeeMode: 1
; LDSByteSize: 16384 bytes/workgroup (compile time only)
; SGPRBlocks: 8
; VGPRBlocks: 10
; NumSGPRsForWavesPerEU: 72
; NumVGPRsForWavesPerEU: 86
; AccumOffset: 88
; Occupancy: 5
; WaveLimiterHint : 0
; COMPUTE_PGM_RSRC2:SCRATCH_EN: 0
; COMPUTE_PGM_RSRC2:USER_SGPR: 2
; COMPUTE_PGM_RSRC2:TRAP_HANDLER: 0
; COMPUTE_PGM_RSRC2:TGID_X_EN: 1
; COMPUTE_PGM_RSRC2:TGID_Y_EN: 1
; COMPUTE_PGM_RSRC2:TGID_Z_EN: 1
; COMPUTE_PGM_RSRC2:TIDIG_COMP_CNT: 1
; COMPUTE_PGM_RSRC3_GFX90A:ACCUM_OFFSET: 21
; COMPUTE_PGM_RSRC3_GFX90A:TG_SPLIT: 0
	.section	.text._ZL30rocblas_trmm_outofplace_kernelI19rocblas_complex_numIfELi32ELi2ELb0ELb0ELb0ELb0ES1_KS1_S1_Ev17rocblas_diagonal_iiT6_lPT7_lllS6_lllPT8_llli,"axG",@progbits,_ZL30rocblas_trmm_outofplace_kernelI19rocblas_complex_numIfELi32ELi2ELb0ELb0ELb0ELb0ES1_KS1_S1_Ev17rocblas_diagonal_iiT6_lPT7_lllS6_lllPT8_llli,comdat
	.globl	_ZL30rocblas_trmm_outofplace_kernelI19rocblas_complex_numIfELi32ELi2ELb0ELb0ELb0ELb0ES1_KS1_S1_Ev17rocblas_diagonal_iiT6_lPT7_lllS6_lllPT8_llli ; -- Begin function _ZL30rocblas_trmm_outofplace_kernelI19rocblas_complex_numIfELi32ELi2ELb0ELb0ELb0ELb0ES1_KS1_S1_Ev17rocblas_diagonal_iiT6_lPT7_lllS6_lllPT8_llli
	.p2align	8
	.type	_ZL30rocblas_trmm_outofplace_kernelI19rocblas_complex_numIfELi32ELi2ELb0ELb0ELb0ELb0ES1_KS1_S1_Ev17rocblas_diagonal_iiT6_lPT7_lllS6_lllPT8_llli,@function
_ZL30rocblas_trmm_outofplace_kernelI19rocblas_complex_numIfELi32ELi2ELb0ELb0ELb0ELb0ES1_KS1_S1_Ev17rocblas_diagonal_iiT6_lPT7_lllS6_lllPT8_llli: ; @_ZL30rocblas_trmm_outofplace_kernelI19rocblas_complex_numIfELi32ELi2ELb0ELb0ELb0ELb0ES1_KS1_S1_Ev17rocblas_diagonal_iiT6_lPT7_lllS6_lllPT8_llli
; %bb.0:
	s_load_dwordx4 s[24:27], s[0:1], 0x0
	s_load_dword s29, s[0:1], 0x10
	s_waitcnt lgkmcnt(0)
	s_or_b32 s5, s27, s29
	s_bitset0_b32 s5, 31
	s_cmp_eq_u32 s5, 0
	s_cbranch_scc1 .LBB85_60
; %bb.1:
	s_add_i32 s5, s26, -1
	s_ashr_i32 s6, s5, 31
	s_lshr_b32 s6, s6, 27
	s_add_i32 s5, s5, s6
	s_ashr_i32 s33, s5, 5
	s_cmp_gt_i32 s3, s33
	s_cbranch_scc1 .LBB85_60
; %bb.2:
	s_load_dwordx8 s[16:23], s[0:1], 0x60
	s_load_dwordx16 s[36:51], s[0:1], 0x20
	v_and_b32_e32 v2, 0x3ff, v0
	v_lshl_add_u32 v12, s2, 5, v2
	v_bfe_u32 v51, v0, 10, 10
	s_waitcnt lgkmcnt(0)
	s_mul_i32 s5, s23, s4
	s_mul_hi_u32 s6, s22, s4
	s_add_i32 s7, s6, s5
	s_mul_i32 s6, s22, s4
	s_lshl_b64 s[6:7], s[6:7], 3
	s_add_u32 s5, s16, s6
	s_addc_u32 s8, s17, s7
	s_lshl_b64 s[6:7], s[18:19], 3
	s_add_u32 s22, s5, s6
	s_addc_u32 s23, s8, s7
	s_cmpk_eq_i32 s24, 0x84
	s_cselect_b64 s[30:31], -1, 0
	s_ashr_i32 s2, s25, 31
	s_ashr_i32 s35, s26, 31
	v_mov_b32_e32 v1, s2
	s_lshl_b64 s[52:53], s[48:49], 8
	s_load_dword s2, s[0:1], 0x8c
	s_add_u32 s54, s26, -16
	s_addc_u32 s55, s35, -1
	s_lshl_b32 s5, s3, 5
	v_add_u32_e32 v16, s5, v2
	v_add_u32_e32 v18, s5, v51
	s_mul_i32 s5, s43, s4
	s_mul_hi_u32 s6, s42, s4
	v_add_u32_e32 v14, 16, v12
	s_add_i32 s7, s6, s5
	s_mul_i32 s6, s42, s4
	s_mov_b32 s28, s27
	v_sub_co_u32_e32 v0, vcc, s25, v12
	v_cmp_gt_i32_e64 s[16:17], s25, v12
	v_cmp_gt_i32_e64 s[18:19], s25, v14
	s_mov_b32 s25, s27
	s_waitcnt lgkmcnt(0)
	s_lshl_b32 s27, s2, 5
	s_lshl_b64 s[6:7], s[6:7], 3
	s_lshl_b64 s[8:9], s[38:39], 3
	s_add_u32 s5, s6, s8
	s_addc_u32 s6, s7, s9
	s_add_u32 s36, s36, s5
	s_addc_u32 s37, s37, s6
	s_add_u32 s38, s44, 0x80
	s_mul_i32 s5, s51, s4
	s_mul_hi_u32 s6, s50, s4
	s_addc_u32 s39, s45, 0
	s_add_i32 s5, s6, s5
	s_mul_i32 s4, s50, s4
	s_lshl_b64 s[42:43], s[48:49], 3
	s_lshl_b64 s[4:5], s[4:5], 3
	;; [unrolled: 1-line block ×3, first 2 shown]
	v_ashrrev_i32_e32 v13, 31, v12
	v_lshlrev_b32_e32 v3, 3, v2
	s_add_u32 s4, s4, s6
	v_lshlrev_b32_e32 v53, 8, v51
	v_subb_co_u32_e32 v1, vcc, v1, v13, vcc
	v_or_b32_e32 v57, 0x2000, v3
	s_addc_u32 s5, s5, s7
	v_mov_b32_e32 v24, 0
	s_mov_b32 s34, s26
	v_add_u32_e32 v55, v53, v3
	v_add_u32_e32 v59, v57, v53
	v_cmp_gt_i64_e32 vcc, 1, v[0:1]
	v_cmp_gt_i64_e64 s[0:1], 17, v[0:1]
	v_ashrrev_i32_e32 v15, 31, v14
	s_mov_b32 s24, s29
	v_lshl_add_u64 v[20:21], v[12:13], 3, s[4:5]
	s_lshl_b64 s[46:47], s[40:41], 3
	s_mov_b64 s[50:51], 0x100
	v_mov_b64_e32 v[22:23], 0x80
	v_mov_b32_e32 v25, v24
	v_mov_b32_e32 v26, 1.0
	v_mov_b32_e32 v27, v24
	v_add_u32_e32 v61, 0x800, v57
	v_add_u32_e32 v63, 0x1000, v57
	;; [unrolled: 1-line block ×3, first 2 shown]
	s_branch .LBB85_4
.LBB85_3:                               ;   in Loop: Header=BB85_4 Depth=1
	s_or_b64 exec, exec, s[4:5]
	s_add_i32 s3, s2, s3
	v_add_u32_e32 v16, s27, v16
	s_cmp_le_i32 s3, s33
	v_add_u32_e32 v18, s27, v18
	s_cbranch_scc0 .LBB85_60
.LBB85_4:                               ; =>This Loop Header: Depth=1
                                        ;     Child Loop BB85_7 Depth 2
	s_lshl_b32 s4, s3, 5
	v_add_u32_e32 v28, s4, v51
	s_sub_i32 s64, s26, s4
	v_ashrrev_i32_e32 v17, 31, v16
	v_ashrrev_i32_e32 v19, 31, v18
	s_cmp_lt_i32 s64, 1
	v_ashrrev_i32_e32 v29, 31, v28
	s_cbranch_scc1 .LBB85_51
; %bb.5:                                ;   in Loop: Header=BB85_4 Depth=1
	v_sub_co_u32_e64 v30, s[4:5], v18, v16
	v_lshl_add_u64 v[0:1], v[18:19], 3, v[22:23]
	v_mov_b64_e32 v[2:3], s[36:37]
	v_subb_co_u32_e64 v31, s[4:5], v19, v17, s[4:5]
	v_mul_lo_u32 v4, s40, v1
	v_mul_lo_u32 v5, s41, v0
	v_mad_u64_u32 v[34:35], s[4:5], s40, v0, v[2:3]
	v_add3_u32 v35, v5, v35, v4
	v_mov_b64_e32 v[4:5], s[38:39]
	v_mad_u64_u32 v[38:39], s[4:5], s46, v18, v[2:3]
	v_mul_lo_u32 v2, s46, v19
	v_mul_lo_u32 v3, s47, v18
	v_mad_u64_u32 v[36:37], s[4:5], s42, v18, v[4:5]
	v_mul_lo_u32 v4, s42, v19
	v_mul_lo_u32 v5, s43, v18
	v_add3_u32 v39, v3, v39, v2
	v_mov_b64_e32 v[2:3], s[44:45]
	v_add3_u32 v37, v5, v37, v4
	v_mul_lo_u32 v1, s48, v1
	v_mul_lo_u32 v4, s49, v0
	v_mad_u64_u32 v[40:41], s[4:5], s48, v0, v[2:3]
	v_lshl_add_u64 v[42:43], v[28:29], 0, 16
	v_lshlrev_b64 v[32:33], 3, v[16:17]
	v_add3_u32 v41, v4, v41, v1
	v_cmp_le_i32_e64 s[6:7], s26, v28
	v_cmp_le_i64_e64 s[8:9], s[34:35], v[42:43]
	v_lshl_add_u64 v[44:45], v[30:31], 0, 16
	v_lshl_add_u64 v[46:47], v[30:31], 0, -16
	v_mov_b32_e32 v50, 0
	s_mov_b64 s[56:57], 0
	v_mov_b64_e32 v[48:49], v[20:21]
	v_mov_b32_e32 v52, 0
	v_mov_b32_e32 v56, 0
	;; [unrolled: 1-line block ×7, first 2 shown]
	s_branch .LBB85_7
.LBB85_6:                               ;   in Loop: Header=BB85_7 Depth=2
	s_or_b64 exec, exec, s[4:5]
	s_waitcnt lgkmcnt(0)
	s_barrier
	ds_read2_b64 v[66:69], v57 offset1:16
	ds_read_b128 v[70:73], v53
	ds_read_b128 v[8:11], v53 offset:16
	ds_read_b128 v[4:7], v53 offset:32
	;; [unrolled: 1-line block ×3, first 2 shown]
	ds_read2_b64 v[82:85], v57 offset0:32 offset1:48
	s_waitcnt lgkmcnt(4)
	v_mul_f32_e32 v74, v71, v67
	v_fma_f32 v74, v70, v66, -v74
	v_mul_f32_e32 v75, v70, v67
	v_fmac_f32_e32 v75, v71, v66
	v_add_f32_e32 v62, v62, v74
	v_mul_f32_e32 v74, v71, v69
	v_add_f32_e32 v64, v64, v75
	v_fma_f32 v78, v70, v68, -v74
	ds_read_b128 v[74:77], v53 offset:4096
	v_mul_f32_e32 v70, v70, v69
	v_fmac_f32_e32 v70, v71, v68
	v_add_f32_e32 v58, v58, v78
	v_add_f32_e32 v60, v60, v70
	ds_read_b128 v[78:81], v53 offset:4112
	s_waitcnt lgkmcnt(1)
	v_mul_f32_e32 v70, v75, v67
	v_mul_f32_e32 v67, v74, v67
	v_fma_f32 v70, v74, v66, -v70
	v_fmac_f32_e32 v67, v75, v66
	v_mul_f32_e32 v66, v75, v69
	v_add_f32_e32 v56, v56, v67
	v_fma_f32 v66, v74, v68, -v66
	v_mul_f32_e32 v67, v74, v69
	v_fmac_f32_e32 v67, v75, v68
	v_add_f32_e32 v52, v52, v66
	v_mul_f32_e32 v66, v73, v83
	v_add_f32_e32 v50, v50, v67
	v_fma_f32 v66, v72, v82, -v66
	v_mul_f32_e32 v67, v72, v83
	v_fmac_f32_e32 v67, v73, v82
	v_add_f32_e32 v62, v62, v66
	v_mul_f32_e32 v66, v73, v85
	v_add_f32_e32 v64, v64, v67
	v_fma_f32 v66, v72, v84, -v66
	v_mul_f32_e32 v67, v72, v85
	v_fmac_f32_e32 v67, v73, v84
	v_add_f32_e32 v58, v58, v66
	v_mul_f32_e32 v66, v77, v83
	v_add_f32_e32 v54, v54, v70
	v_add_f32_e32 v60, v60, v67
	v_fma_f32 v66, v76, v82, -v66
	v_mul_f32_e32 v67, v76, v83
	v_fmac_f32_e32 v67, v77, v82
	v_add_f32_e32 v54, v54, v66
	v_mul_f32_e32 v66, v77, v85
	v_add_f32_e32 v56, v56, v67
	v_fma_f32 v70, v76, v84, -v66
	ds_read2_b64 v[66:69], v57 offset0:64 offset1:80
	v_mul_f32_e32 v71, v76, v85
	v_add_f32_e32 v52, v52, v70
	v_fmac_f32_e32 v71, v77, v84
	v_add_f32_e32 v50, v50, v71
	s_waitcnt lgkmcnt(0)
	v_mul_f32_e32 v70, v9, v67
	v_fma_f32 v70, v8, v66, -v70
	v_mul_f32_e32 v71, v8, v67
	v_add_f32_e32 v62, v62, v70
	v_mul_f32_e32 v70, v9, v69
	v_fmac_f32_e32 v71, v9, v66
	v_fma_f32 v70, v8, v68, -v70
	v_mul_f32_e32 v8, v8, v69
	v_add_f32_e32 v64, v64, v71
	v_fmac_f32_e32 v8, v9, v68
	v_add_f32_e32 v9, v58, v70
	ds_read2_b64 v[70:73], v57 offset0:96 offset1:112
	v_mul_f32_e32 v58, v79, v67
	v_fma_f32 v58, v78, v66, -v58
	v_add_f32_e32 v54, v54, v58
	v_mul_f32_e32 v58, v79, v69
	v_add_f32_e32 v8, v60, v8
	v_mul_f32_e32 v60, v78, v67
	v_fma_f32 v58, v78, v68, -v58
	v_fmac_f32_e32 v60, v79, v66
	v_add_f32_e32 v52, v52, v58
	s_waitcnt lgkmcnt(0)
	v_mul_f32_e32 v58, v11, v71
	v_add_f32_e32 v56, v56, v60
	v_mul_f32_e32 v60, v78, v69
	v_fma_f32 v58, v10, v70, -v58
	v_fmac_f32_e32 v60, v79, v68
	v_add_f32_e32 v58, v62, v58
	v_mul_f32_e32 v62, v11, v73
	v_add_f32_e32 v50, v50, v60
	v_mul_f32_e32 v60, v10, v71
	v_fma_f32 v62, v10, v72, -v62
	v_mul_f32_e32 v10, v10, v73
	v_fmac_f32_e32 v60, v11, v70
	v_fmac_f32_e32 v10, v11, v72
	v_add_f32_e32 v60, v64, v60
	v_add_f32_e32 v64, v8, v10
	v_mul_f32_e32 v8, v81, v71
	v_add_f32_e32 v62, v9, v62
	v_fma_f32 v8, v80, v70, -v8
	v_mul_f32_e32 v9, v80, v71
	v_fmac_f32_e32 v9, v81, v70
	v_add_f32_e32 v54, v54, v8
	v_mul_f32_e32 v8, v81, v73
	v_add_f32_e32 v56, v56, v9
	v_fma_f32 v66, v80, v72, -v8
	ds_read2_b64 v[8:11], v57 offset0:128 offset1:144
	v_mul_f32_e32 v67, v80, v73
	v_fmac_f32_e32 v67, v81, v72
	v_add_f32_e32 v52, v52, v66
	v_add_f32_e32 v50, v50, v67
	s_waitcnt lgkmcnt(0)
	v_mul_f32_e32 v66, v5, v9
	v_fma_f32 v66, v4, v8, -v66
	v_mul_f32_e32 v67, v4, v9
	v_fmac_f32_e32 v67, v5, v8
	v_add_f32_e32 v58, v58, v66
	v_mul_f32_e32 v66, v5, v11
	v_add_f32_e32 v60, v60, v67
	v_fma_f32 v70, v4, v10, -v66
	ds_read_b128 v[66:69], v53 offset:4128
	v_mul_f32_e32 v4, v4, v11
	ds_read2_b64 v[74:77], v57 offset0:160 offset1:176
	v_fmac_f32_e32 v4, v5, v10
	v_add_f32_e32 v5, v62, v70
	ds_read_b128 v[70:73], v53 offset:4144
	s_waitcnt lgkmcnt(2)
	v_mul_f32_e32 v62, v67, v9
	v_fma_f32 v62, v66, v8, -v62
	v_mul_f32_e32 v9, v66, v9
	v_fmac_f32_e32 v9, v67, v8
	v_add_f32_e32 v8, v54, v62
	v_mul_f32_e32 v54, v67, v11
	v_mul_f32_e32 v11, v66, v11
	v_fma_f32 v54, v66, v10, -v54
	v_fmac_f32_e32 v11, v67, v10
	v_add_f32_e32 v10, v52, v54
	v_add_f32_e32 v11, v50, v11
	s_waitcnt lgkmcnt(1)
	v_mul_f32_e32 v50, v7, v75
	v_mul_f32_e32 v54, v7, v77
	v_fma_f32 v50, v6, v74, -v50
	v_mul_f32_e32 v52, v6, v75
	v_fma_f32 v54, v6, v76, -v54
	v_mul_f32_e32 v6, v6, v77
	v_add_f32_e32 v4, v64, v4
	v_fmac_f32_e32 v6, v7, v76
	v_add_f32_e32 v9, v56, v9
	v_add_f32_e32 v56, v4, v6
	v_mul_f32_e32 v4, v69, v75
	v_add_f32_e32 v54, v5, v54
	v_fma_f32 v4, v68, v74, -v4
	v_mul_f32_e32 v5, v68, v75
	v_fmac_f32_e32 v5, v69, v74
	v_add_f32_e32 v8, v8, v4
	v_mul_f32_e32 v4, v69, v77
	v_fmac_f32_e32 v52, v7, v74
	v_add_f32_e32 v50, v58, v50
	v_add_f32_e32 v9, v9, v5
	v_fma_f32 v58, v68, v76, -v4
	ds_read2_b64 v[4:7], v57 offset0:192 offset1:208
	v_add_f32_e32 v58, v10, v58
	v_add_f32_e32 v52, v60, v52
	v_mul_f32_e32 v60, v68, v77
	v_fmac_f32_e32 v60, v69, v76
	s_waitcnt lgkmcnt(0)
	v_mul_f32_e32 v10, v1, v5
	v_fma_f32 v10, v0, v4, -v10
	v_add_f32_e32 v50, v50, v10
	v_mul_f32_e32 v10, v1, v7
	v_add_f32_e32 v60, v11, v60
	v_mul_f32_e32 v11, v0, v5
	v_fma_f32 v10, v0, v6, -v10
	v_mul_f32_e32 v0, v0, v7
	v_fmac_f32_e32 v11, v1, v4
	v_fmac_f32_e32 v0, v1, v6
	v_add_f32_e32 v1, v54, v10
	v_mul_f32_e32 v10, v71, v5
	v_fma_f32 v10, v70, v4, -v10
	v_mul_f32_e32 v5, v70, v5
	v_fmac_f32_e32 v5, v71, v4
	v_add_f32_e32 v4, v8, v10
	v_mul_f32_e32 v8, v71, v7
	v_add_f32_e32 v52, v52, v11
	v_add_f32_e32 v5, v9, v5
	v_fma_f32 v54, v70, v6, -v8
	ds_read2_b64 v[8:11], v57 offset0:224 offset1:240
	v_mul_f32_e32 v7, v70, v7
	v_fmac_f32_e32 v7, v71, v6
	v_add_f32_e32 v0, v56, v0
	v_add_f32_e32 v56, v60, v7
	s_waitcnt lgkmcnt(0)
	v_mul_f32_e32 v6, v3, v9
	v_fma_f32 v6, v2, v8, -v6
	v_add_f32_e32 v50, v50, v6
	v_mul_f32_e32 v6, v3, v11
	v_mul_f32_e32 v7, v2, v9
	v_fma_f32 v6, v2, v10, -v6
	v_mul_f32_e32 v2, v2, v11
	v_fmac_f32_e32 v2, v3, v10
	v_add_f32_e32 v60, v0, v2
	v_mul_f32_e32 v0, v73, v9
	v_add_f32_e32 v54, v58, v54
	v_add_f32_e32 v58, v1, v6
	v_fma_f32 v0, v72, v8, -v0
	v_mul_f32_e32 v1, v72, v9
	v_fmac_f32_e32 v7, v3, v8
	v_fmac_f32_e32 v1, v73, v8
	v_add_f32_e32 v62, v4, v0
	v_mul_f32_e32 v0, v73, v11
	v_add_f32_e32 v52, v52, v7
	v_add_f32_e32 v64, v5, v1
	v_fma_f32 v8, v72, v10, -v0
	ds_read_b128 v[0:3], v53 offset:64
	ds_read2_b64 v[4:7], v61 offset1:16
	v_mul_f32_e32 v9, v72, v11
	v_fmac_f32_e32 v9, v73, v10
	v_add_f32_e32 v54, v54, v8
	v_add_f32_e32 v56, v56, v9
	s_waitcnt lgkmcnt(0)
	v_mul_f32_e32 v66, v1, v5
	v_fma_f32 v66, v0, v4, -v66
	v_mul_f32_e32 v67, v0, v5
	v_fmac_f32_e32 v67, v1, v4
	v_add_f32_e32 v50, v50, v66
	v_mul_f32_e32 v66, v1, v7
	ds_read_b128 v[8:11], v53 offset:80
	v_add_f32_e32 v52, v52, v67
	v_fma_f32 v70, v0, v6, -v66
	ds_read_b128 v[66:69], v53 offset:4160
	v_mul_f32_e32 v0, v0, v7
	ds_read2_b64 v[74:77], v61 offset0:32 offset1:48
	v_fmac_f32_e32 v0, v1, v6
	v_add_f32_e32 v1, v58, v70
	s_waitcnt lgkmcnt(1)
	v_mul_f32_e32 v58, v67, v5
	v_fma_f32 v58, v66, v4, -v58
	v_mul_f32_e32 v5, v66, v5
	v_fmac_f32_e32 v5, v67, v4
	v_add_f32_e32 v4, v62, v58
	v_mul_f32_e32 v58, v67, v7
	v_fma_f32 v58, v66, v6, -v58
	v_mul_f32_e32 v7, v66, v7
	v_fmac_f32_e32 v7, v67, v6
	v_add_f32_e32 v6, v54, v58
	s_waitcnt lgkmcnt(0)
	v_mul_f32_e32 v54, v3, v75
	v_fma_f32 v54, v2, v74, -v54
	v_add_f32_e32 v50, v50, v54
	v_mul_f32_e32 v54, v3, v77
	v_add_f32_e32 v7, v56, v7
	v_mul_f32_e32 v56, v2, v75
	v_fma_f32 v54, v2, v76, -v54
	v_mul_f32_e32 v2, v2, v77
	v_add_f32_e32 v0, v60, v0
	v_fmac_f32_e32 v56, v3, v74
	v_fmac_f32_e32 v2, v3, v76
	v_add_f32_e32 v52, v52, v56
	v_add_f32_e32 v56, v0, v2
	v_mul_f32_e32 v0, v69, v75
	v_add_f32_e32 v54, v1, v54
	v_fma_f32 v0, v68, v74, -v0
	v_mul_f32_e32 v1, v68, v75
	v_add_f32_e32 v5, v64, v5
	v_fmac_f32_e32 v1, v69, v74
	v_add_f32_e32 v4, v4, v0
	v_mul_f32_e32 v0, v69, v77
	v_add_f32_e32 v5, v5, v1
	v_fma_f32 v58, v68, v76, -v0
	ds_read2_b64 v[0:3], v61 offset0:64 offset1:80
	ds_read_b128 v[70:73], v53 offset:4176
	v_mul_f32_e32 v60, v68, v77
	v_add_f32_e32 v58, v6, v58
	v_fmac_f32_e32 v60, v69, v76
	s_waitcnt lgkmcnt(1)
	v_mul_f32_e32 v6, v9, v1
	v_fma_f32 v6, v8, v0, -v6
	v_add_f32_e32 v60, v7, v60
	v_mul_f32_e32 v7, v8, v1
	v_add_f32_e32 v50, v50, v6
	v_mul_f32_e32 v6, v9, v3
	v_fmac_f32_e32 v7, v9, v0
	v_fma_f32 v6, v8, v2, -v6
	v_add_f32_e32 v52, v52, v7
	v_mul_f32_e32 v7, v8, v3
	v_add_f32_e32 v8, v54, v6
	s_waitcnt lgkmcnt(0)
	v_mul_f32_e32 v6, v71, v1
	v_fma_f32 v6, v70, v0, -v6
	v_mul_f32_e32 v1, v70, v1
	v_fmac_f32_e32 v7, v9, v2
	v_fmac_f32_e32 v1, v71, v0
	v_add_f32_e32 v0, v4, v6
	v_mul_f32_e32 v4, v71, v3
	v_add_f32_e32 v9, v56, v7
	v_add_f32_e32 v1, v5, v1
	v_fma_f32 v54, v70, v2, -v4
	ds_read2_b64 v[4:7], v61 offset0:96 offset1:112
	v_mul_f32_e32 v3, v70, v3
	v_fmac_f32_e32 v3, v71, v2
	v_add_f32_e32 v56, v60, v3
	v_add_f32_e32 v54, v58, v54
	s_waitcnt lgkmcnt(0)
	v_mul_f32_e32 v2, v11, v5
	v_fma_f32 v2, v10, v4, -v2
	v_mul_f32_e32 v3, v10, v5
	v_fmac_f32_e32 v3, v11, v4
	v_add_f32_e32 v50, v50, v2
	v_mul_f32_e32 v2, v11, v7
	v_add_f32_e32 v52, v52, v3
	v_fma_f32 v2, v10, v6, -v2
	v_mul_f32_e32 v3, v10, v7
	v_fmac_f32_e32 v3, v11, v6
	v_add_f32_e32 v58, v8, v2
	v_mul_f32_e32 v2, v73, v5
	v_add_f32_e32 v60, v9, v3
	;; [unrolled: 6-line block ×3, first 2 shown]
	v_fma_f32 v4, v72, v6, -v0
	ds_read_b128 v[0:3], v53 offset:96
	ds_read2_b64 v[8:11], v61 offset0:128 offset1:144
	v_mul_f32_e32 v5, v72, v7
	v_fmac_f32_e32 v5, v73, v6
	v_add_f32_e32 v54, v54, v4
	v_add_f32_e32 v56, v56, v5
	s_waitcnt lgkmcnt(0)
	v_mul_f32_e32 v66, v1, v9
	v_fma_f32 v66, v0, v8, -v66
	v_mul_f32_e32 v67, v0, v9
	v_fmac_f32_e32 v67, v1, v8
	v_add_f32_e32 v50, v50, v66
	v_mul_f32_e32 v66, v1, v11
	ds_read_b128 v[4:7], v53 offset:112
	v_add_f32_e32 v52, v52, v67
	v_fma_f32 v70, v0, v10, -v66
	ds_read_b128 v[66:69], v53 offset:4192
	v_mul_f32_e32 v0, v0, v11
	ds_read2_b64 v[74:77], v61 offset0:160 offset1:176
	v_fmac_f32_e32 v0, v1, v10
	v_add_f32_e32 v1, v58, v70
	s_waitcnt lgkmcnt(1)
	v_mul_f32_e32 v58, v67, v9
	v_fma_f32 v58, v66, v8, -v58
	v_mul_f32_e32 v9, v66, v9
	v_fmac_f32_e32 v9, v67, v8
	v_add_f32_e32 v8, v62, v58
	v_mul_f32_e32 v58, v67, v11
	v_fma_f32 v58, v66, v10, -v58
	v_mul_f32_e32 v11, v66, v11
	v_fmac_f32_e32 v11, v67, v10
	v_add_f32_e32 v10, v54, v58
	s_waitcnt lgkmcnt(0)
	v_mul_f32_e32 v54, v3, v75
	v_fma_f32 v54, v2, v74, -v54
	v_add_f32_e32 v50, v50, v54
	v_mul_f32_e32 v54, v3, v77
	v_add_f32_e32 v11, v56, v11
	v_mul_f32_e32 v56, v2, v75
	v_fma_f32 v54, v2, v76, -v54
	v_mul_f32_e32 v2, v2, v77
	v_add_f32_e32 v0, v60, v0
	v_fmac_f32_e32 v56, v3, v74
	v_fmac_f32_e32 v2, v3, v76
	v_add_f32_e32 v52, v52, v56
	v_add_f32_e32 v56, v0, v2
	v_mul_f32_e32 v0, v69, v75
	v_add_f32_e32 v54, v1, v54
	v_fma_f32 v0, v68, v74, -v0
	v_mul_f32_e32 v1, v68, v75
	v_add_f32_e32 v9, v64, v9
	v_fmac_f32_e32 v1, v69, v74
	v_add_f32_e32 v8, v8, v0
	v_mul_f32_e32 v0, v69, v77
	v_add_f32_e32 v9, v9, v1
	v_fma_f32 v58, v68, v76, -v0
	ds_read2_b64 v[0:3], v61 offset0:192 offset1:208
	ds_read_b128 v[70:73], v53 offset:4208
	v_add_f32_e32 v58, v10, v58
	v_mul_f32_e32 v60, v68, v77
	v_fmac_f32_e32 v60, v69, v76
	s_waitcnt lgkmcnt(1)
	v_mul_f32_e32 v10, v5, v1
	v_fma_f32 v10, v4, v0, -v10
	v_add_f32_e32 v50, v50, v10
	v_mul_f32_e32 v10, v5, v3
	v_add_f32_e32 v60, v11, v60
	v_mul_f32_e32 v11, v4, v1
	v_fma_f32 v10, v4, v2, -v10
	v_mul_f32_e32 v4, v4, v3
	v_fmac_f32_e32 v11, v5, v0
	v_fmac_f32_e32 v4, v5, v2
	v_add_f32_e32 v5, v54, v10
	s_waitcnt lgkmcnt(0)
	v_mul_f32_e32 v10, v71, v1
	v_fma_f32 v10, v70, v0, -v10
	v_mul_f32_e32 v1, v70, v1
	v_fmac_f32_e32 v1, v71, v0
	v_add_f32_e32 v0, v8, v10
	v_mul_f32_e32 v8, v71, v3
	v_add_f32_e32 v52, v52, v11
	v_add_f32_e32 v1, v9, v1
	v_fma_f32 v54, v70, v2, -v8
	ds_read2_b64 v[8:11], v61 offset0:224 offset1:240
	v_mul_f32_e32 v3, v70, v3
	v_fmac_f32_e32 v3, v71, v2
	v_add_f32_e32 v4, v56, v4
	v_add_f32_e32 v56, v60, v3
	s_waitcnt lgkmcnt(0)
	v_mul_f32_e32 v2, v7, v9
	v_fma_f32 v2, v6, v8, -v2
	v_mul_f32_e32 v3, v6, v9
	v_fmac_f32_e32 v3, v7, v8
	v_add_f32_e32 v50, v50, v2
	v_mul_f32_e32 v2, v7, v11
	v_add_f32_e32 v52, v52, v3
	v_fma_f32 v2, v6, v10, -v2
	v_mul_f32_e32 v3, v6, v11
	v_add_f32_e32 v54, v58, v54
	v_fmac_f32_e32 v3, v7, v10
	v_add_f32_e32 v58, v5, v2
	v_mul_f32_e32 v2, v73, v9
	v_add_f32_e32 v60, v4, v3
	v_fma_f32 v2, v72, v8, -v2
	v_mul_f32_e32 v3, v72, v9
	v_fmac_f32_e32 v3, v73, v8
	v_add_f32_e32 v62, v0, v2
	v_mul_f32_e32 v0, v73, v11
	v_add_f32_e32 v64, v1, v3
	v_fma_f32 v8, v72, v10, -v0
	ds_read_b128 v[0:3], v53 offset:128
	ds_read2_b64 v[4:7], v63 offset1:16
	v_mul_f32_e32 v9, v72, v11
	v_fmac_f32_e32 v9, v73, v10
	v_add_f32_e32 v54, v54, v8
	v_add_f32_e32 v56, v56, v9
	s_waitcnt lgkmcnt(0)
	v_mul_f32_e32 v66, v1, v5
	v_fma_f32 v66, v0, v4, -v66
	v_mul_f32_e32 v67, v0, v5
	v_fmac_f32_e32 v67, v1, v4
	v_add_f32_e32 v50, v50, v66
	v_mul_f32_e32 v66, v1, v7
	ds_read_b128 v[8:11], v53 offset:144
	v_add_f32_e32 v52, v52, v67
	v_fma_f32 v70, v0, v6, -v66
	ds_read_b128 v[66:69], v53 offset:4224
	v_mul_f32_e32 v0, v0, v7
	ds_read2_b64 v[74:77], v63 offset0:32 offset1:48
	v_fmac_f32_e32 v0, v1, v6
	v_add_f32_e32 v1, v58, v70
	s_waitcnt lgkmcnt(1)
	v_mul_f32_e32 v58, v67, v5
	v_fma_f32 v58, v66, v4, -v58
	v_mul_f32_e32 v5, v66, v5
	v_fmac_f32_e32 v5, v67, v4
	v_add_f32_e32 v4, v62, v58
	v_mul_f32_e32 v58, v67, v7
	v_fma_f32 v58, v66, v6, -v58
	v_mul_f32_e32 v7, v66, v7
	v_fmac_f32_e32 v7, v67, v6
	v_add_f32_e32 v6, v54, v58
	s_waitcnt lgkmcnt(0)
	v_mul_f32_e32 v54, v3, v75
	v_fma_f32 v54, v2, v74, -v54
	v_add_f32_e32 v50, v50, v54
	v_mul_f32_e32 v54, v3, v77
	v_add_f32_e32 v7, v56, v7
	v_mul_f32_e32 v56, v2, v75
	v_fma_f32 v54, v2, v76, -v54
	v_mul_f32_e32 v2, v2, v77
	v_add_f32_e32 v0, v60, v0
	v_fmac_f32_e32 v56, v3, v74
	v_fmac_f32_e32 v2, v3, v76
	v_add_f32_e32 v52, v52, v56
	v_add_f32_e32 v56, v0, v2
	v_mul_f32_e32 v0, v69, v75
	v_add_f32_e32 v54, v1, v54
	v_fma_f32 v0, v68, v74, -v0
	v_mul_f32_e32 v1, v68, v75
	v_add_f32_e32 v5, v64, v5
	v_fmac_f32_e32 v1, v69, v74
	v_add_f32_e32 v4, v4, v0
	v_mul_f32_e32 v0, v69, v77
	v_add_f32_e32 v5, v5, v1
	v_fma_f32 v58, v68, v76, -v0
	ds_read2_b64 v[0:3], v63 offset0:64 offset1:80
	ds_read_b128 v[70:73], v53 offset:4240
	v_mul_f32_e32 v60, v68, v77
	v_add_f32_e32 v58, v6, v58
	v_fmac_f32_e32 v60, v69, v76
	s_waitcnt lgkmcnt(1)
	v_mul_f32_e32 v6, v9, v1
	v_fma_f32 v6, v8, v0, -v6
	v_add_f32_e32 v60, v7, v60
	v_mul_f32_e32 v7, v8, v1
	v_add_f32_e32 v50, v50, v6
	v_mul_f32_e32 v6, v9, v3
	v_fmac_f32_e32 v7, v9, v0
	v_fma_f32 v6, v8, v2, -v6
	v_add_f32_e32 v52, v52, v7
	v_mul_f32_e32 v7, v8, v3
	v_add_f32_e32 v8, v54, v6
	s_waitcnt lgkmcnt(0)
	v_mul_f32_e32 v6, v71, v1
	v_fma_f32 v6, v70, v0, -v6
	v_mul_f32_e32 v1, v70, v1
	v_fmac_f32_e32 v7, v9, v2
	v_fmac_f32_e32 v1, v71, v0
	v_add_f32_e32 v0, v4, v6
	v_mul_f32_e32 v4, v71, v3
	v_add_f32_e32 v9, v56, v7
	v_add_f32_e32 v1, v5, v1
	v_fma_f32 v54, v70, v2, -v4
	ds_read2_b64 v[4:7], v63 offset0:96 offset1:112
	v_mul_f32_e32 v3, v70, v3
	v_fmac_f32_e32 v3, v71, v2
	v_add_f32_e32 v56, v60, v3
	v_add_f32_e32 v54, v58, v54
	s_waitcnt lgkmcnt(0)
	v_mul_f32_e32 v2, v11, v5
	v_fma_f32 v2, v10, v4, -v2
	v_mul_f32_e32 v3, v10, v5
	v_fmac_f32_e32 v3, v11, v4
	v_add_f32_e32 v50, v50, v2
	v_mul_f32_e32 v2, v11, v7
	v_add_f32_e32 v52, v52, v3
	v_fma_f32 v2, v10, v6, -v2
	v_mul_f32_e32 v3, v10, v7
	v_fmac_f32_e32 v3, v11, v6
	v_add_f32_e32 v58, v8, v2
	v_mul_f32_e32 v2, v73, v5
	v_add_f32_e32 v60, v9, v3
	v_fma_f32 v2, v72, v4, -v2
	v_mul_f32_e32 v3, v72, v5
	v_fmac_f32_e32 v3, v73, v4
	v_add_f32_e32 v62, v0, v2
	v_mul_f32_e32 v0, v73, v7
	v_add_f32_e32 v64, v1, v3
	v_fma_f32 v4, v72, v6, -v0
	ds_read_b128 v[0:3], v53 offset:160
	ds_read2_b64 v[8:11], v63 offset0:128 offset1:144
	v_mul_f32_e32 v5, v72, v7
	v_fmac_f32_e32 v5, v73, v6
	v_add_f32_e32 v54, v54, v4
	v_add_f32_e32 v56, v56, v5
	s_waitcnt lgkmcnt(0)
	v_mul_f32_e32 v66, v1, v9
	v_fma_f32 v66, v0, v8, -v66
	v_mul_f32_e32 v67, v0, v9
	v_fmac_f32_e32 v67, v1, v8
	v_add_f32_e32 v50, v50, v66
	v_mul_f32_e32 v66, v1, v11
	ds_read_b128 v[4:7], v53 offset:176
	v_add_f32_e32 v52, v52, v67
	v_fma_f32 v70, v0, v10, -v66
	ds_read_b128 v[66:69], v53 offset:4256
	v_mul_f32_e32 v0, v0, v11
	ds_read2_b64 v[74:77], v63 offset0:160 offset1:176
	v_fmac_f32_e32 v0, v1, v10
	v_add_f32_e32 v1, v58, v70
	s_waitcnt lgkmcnt(1)
	v_mul_f32_e32 v58, v67, v9
	v_fma_f32 v58, v66, v8, -v58
	v_mul_f32_e32 v9, v66, v9
	v_fmac_f32_e32 v9, v67, v8
	v_add_f32_e32 v8, v62, v58
	v_mul_f32_e32 v58, v67, v11
	v_fma_f32 v58, v66, v10, -v58
	v_mul_f32_e32 v11, v66, v11
	v_fmac_f32_e32 v11, v67, v10
	v_add_f32_e32 v10, v54, v58
	s_waitcnt lgkmcnt(0)
	v_mul_f32_e32 v54, v3, v75
	v_fma_f32 v54, v2, v74, -v54
	v_add_f32_e32 v50, v50, v54
	v_mul_f32_e32 v54, v3, v77
	v_add_f32_e32 v11, v56, v11
	v_mul_f32_e32 v56, v2, v75
	v_fma_f32 v54, v2, v76, -v54
	v_mul_f32_e32 v2, v2, v77
	v_add_f32_e32 v0, v60, v0
	v_fmac_f32_e32 v56, v3, v74
	v_fmac_f32_e32 v2, v3, v76
	v_add_f32_e32 v52, v52, v56
	v_add_f32_e32 v56, v0, v2
	v_mul_f32_e32 v0, v69, v75
	v_add_f32_e32 v54, v1, v54
	v_fma_f32 v0, v68, v74, -v0
	v_mul_f32_e32 v1, v68, v75
	v_add_f32_e32 v9, v64, v9
	v_fmac_f32_e32 v1, v69, v74
	v_add_f32_e32 v8, v8, v0
	v_mul_f32_e32 v0, v69, v77
	v_add_f32_e32 v9, v9, v1
	v_fma_f32 v58, v68, v76, -v0
	ds_read2_b64 v[0:3], v63 offset0:192 offset1:208
	ds_read_b128 v[70:73], v53 offset:4272
	v_add_f32_e32 v58, v10, v58
	v_mul_f32_e32 v60, v68, v77
	v_fmac_f32_e32 v60, v69, v76
	s_waitcnt lgkmcnt(1)
	v_mul_f32_e32 v10, v5, v1
	v_fma_f32 v10, v4, v0, -v10
	v_add_f32_e32 v50, v50, v10
	v_mul_f32_e32 v10, v5, v3
	v_add_f32_e32 v60, v11, v60
	v_mul_f32_e32 v11, v4, v1
	v_fma_f32 v10, v4, v2, -v10
	v_mul_f32_e32 v4, v4, v3
	v_fmac_f32_e32 v11, v5, v0
	v_fmac_f32_e32 v4, v5, v2
	v_add_f32_e32 v5, v54, v10
	s_waitcnt lgkmcnt(0)
	v_mul_f32_e32 v10, v71, v1
	v_fma_f32 v10, v70, v0, -v10
	v_mul_f32_e32 v1, v70, v1
	v_fmac_f32_e32 v1, v71, v0
	v_add_f32_e32 v0, v8, v10
	v_mul_f32_e32 v8, v71, v3
	v_add_f32_e32 v52, v52, v11
	v_add_f32_e32 v1, v9, v1
	v_fma_f32 v54, v70, v2, -v8
	ds_read2_b64 v[8:11], v63 offset0:224 offset1:240
	v_mul_f32_e32 v3, v70, v3
	v_fmac_f32_e32 v3, v71, v2
	v_add_f32_e32 v4, v56, v4
	v_add_f32_e32 v56, v60, v3
	s_waitcnt lgkmcnt(0)
	v_mul_f32_e32 v2, v7, v9
	v_fma_f32 v2, v6, v8, -v2
	v_mul_f32_e32 v3, v6, v9
	v_fmac_f32_e32 v3, v7, v8
	v_add_f32_e32 v50, v50, v2
	v_mul_f32_e32 v2, v7, v11
	v_add_f32_e32 v52, v52, v3
	v_fma_f32 v2, v6, v10, -v2
	v_mul_f32_e32 v3, v6, v11
	v_add_f32_e32 v54, v58, v54
	v_fmac_f32_e32 v3, v7, v10
	v_add_f32_e32 v58, v5, v2
	v_mul_f32_e32 v2, v73, v9
	v_add_f32_e32 v60, v4, v3
	v_fma_f32 v2, v72, v8, -v2
	v_mul_f32_e32 v3, v72, v9
	v_fmac_f32_e32 v3, v73, v8
	v_add_f32_e32 v62, v0, v2
	v_mul_f32_e32 v0, v73, v11
	v_add_f32_e32 v64, v1, v3
	v_fma_f32 v8, v72, v10, -v0
	ds_read_b128 v[0:3], v53 offset:192
	ds_read2_b64 v[4:7], v65 offset1:16
	v_mul_f32_e32 v9, v72, v11
	v_fmac_f32_e32 v9, v73, v10
	v_add_f32_e32 v54, v54, v8
	v_add_f32_e32 v56, v56, v9
	s_waitcnt lgkmcnt(0)
	v_mul_f32_e32 v66, v1, v5
	v_fma_f32 v66, v0, v4, -v66
	v_mul_f32_e32 v67, v0, v5
	v_fmac_f32_e32 v67, v1, v4
	v_add_f32_e32 v50, v50, v66
	v_mul_f32_e32 v66, v1, v7
	ds_read_b128 v[8:11], v53 offset:208
	v_add_f32_e32 v52, v52, v67
	v_fma_f32 v70, v0, v6, -v66
	ds_read_b128 v[66:69], v53 offset:4288
	v_mul_f32_e32 v0, v0, v7
	ds_read2_b64 v[74:77], v65 offset0:32 offset1:48
	v_fmac_f32_e32 v0, v1, v6
	v_add_f32_e32 v1, v58, v70
	s_waitcnt lgkmcnt(1)
	v_mul_f32_e32 v58, v67, v5
	v_fma_f32 v58, v66, v4, -v58
	v_mul_f32_e32 v5, v66, v5
	v_fmac_f32_e32 v5, v67, v4
	v_add_f32_e32 v4, v62, v58
	v_mul_f32_e32 v58, v67, v7
	v_fma_f32 v58, v66, v6, -v58
	v_mul_f32_e32 v7, v66, v7
	v_fmac_f32_e32 v7, v67, v6
	v_add_f32_e32 v6, v54, v58
	s_waitcnt lgkmcnt(0)
	v_mul_f32_e32 v54, v3, v75
	v_fma_f32 v54, v2, v74, -v54
	v_add_f32_e32 v50, v50, v54
	v_mul_f32_e32 v54, v3, v77
	v_add_f32_e32 v7, v56, v7
	v_mul_f32_e32 v56, v2, v75
	v_fma_f32 v54, v2, v76, -v54
	v_mul_f32_e32 v2, v2, v77
	v_add_f32_e32 v0, v60, v0
	v_fmac_f32_e32 v56, v3, v74
	v_fmac_f32_e32 v2, v3, v76
	v_add_f32_e32 v52, v52, v56
	v_add_f32_e32 v56, v0, v2
	v_mul_f32_e32 v0, v69, v75
	v_add_f32_e32 v54, v1, v54
	v_fma_f32 v0, v68, v74, -v0
	v_mul_f32_e32 v1, v68, v75
	v_add_f32_e32 v5, v64, v5
	v_fmac_f32_e32 v1, v69, v74
	v_add_f32_e32 v4, v4, v0
	v_mul_f32_e32 v0, v69, v77
	v_add_f32_e32 v5, v5, v1
	v_fma_f32 v58, v68, v76, -v0
	ds_read2_b64 v[0:3], v65 offset0:64 offset1:80
	ds_read_b128 v[70:73], v53 offset:4304
	v_mul_f32_e32 v60, v68, v77
	v_add_f32_e32 v58, v6, v58
	v_fmac_f32_e32 v60, v69, v76
	s_waitcnt lgkmcnt(1)
	v_mul_f32_e32 v6, v9, v1
	v_fma_f32 v6, v8, v0, -v6
	v_add_f32_e32 v60, v7, v60
	v_mul_f32_e32 v7, v8, v1
	v_add_f32_e32 v50, v50, v6
	v_mul_f32_e32 v6, v9, v3
	v_fmac_f32_e32 v7, v9, v0
	v_fma_f32 v6, v8, v2, -v6
	v_add_f32_e32 v52, v52, v7
	v_mul_f32_e32 v7, v8, v3
	v_add_f32_e32 v8, v54, v6
	s_waitcnt lgkmcnt(0)
	v_mul_f32_e32 v6, v71, v1
	v_fma_f32 v6, v70, v0, -v6
	v_mul_f32_e32 v1, v70, v1
	v_fmac_f32_e32 v7, v9, v2
	v_fmac_f32_e32 v1, v71, v0
	v_add_f32_e32 v0, v4, v6
	v_mul_f32_e32 v4, v71, v3
	v_add_f32_e32 v9, v56, v7
	v_add_f32_e32 v1, v5, v1
	v_fma_f32 v54, v70, v2, -v4
	ds_read2_b64 v[4:7], v65 offset0:96 offset1:112
	v_mul_f32_e32 v3, v70, v3
	v_fmac_f32_e32 v3, v71, v2
	v_add_f32_e32 v56, v60, v3
	v_add_f32_e32 v54, v58, v54
	s_waitcnt lgkmcnt(0)
	v_mul_f32_e32 v2, v11, v5
	v_fma_f32 v2, v10, v4, -v2
	v_mul_f32_e32 v3, v10, v5
	v_fmac_f32_e32 v3, v11, v4
	v_add_f32_e32 v50, v50, v2
	v_mul_f32_e32 v2, v11, v7
	v_add_f32_e32 v52, v52, v3
	v_fma_f32 v2, v10, v6, -v2
	v_mul_f32_e32 v3, v10, v7
	v_fmac_f32_e32 v3, v11, v6
	v_add_f32_e32 v58, v8, v2
	v_mul_f32_e32 v2, v73, v5
	v_add_f32_e32 v60, v9, v3
	;; [unrolled: 6-line block ×3, first 2 shown]
	v_fma_f32 v4, v72, v6, -v0
	ds_read_b128 v[0:3], v53 offset:224
	ds_read2_b64 v[8:11], v65 offset0:128 offset1:144
	v_mul_f32_e32 v5, v72, v7
	v_fmac_f32_e32 v5, v73, v6
	v_add_f32_e32 v54, v54, v4
	v_add_f32_e32 v56, v56, v5
	s_waitcnt lgkmcnt(0)
	v_mul_f32_e32 v66, v1, v9
	v_fma_f32 v66, v0, v8, -v66
	v_mul_f32_e32 v67, v0, v9
	v_fmac_f32_e32 v67, v1, v8
	v_add_f32_e32 v50, v50, v66
	v_mul_f32_e32 v66, v1, v11
	ds_read_b128 v[4:7], v53 offset:240
	v_add_f32_e32 v52, v52, v67
	v_fma_f32 v70, v0, v10, -v66
	ds_read_b128 v[66:69], v53 offset:4320
	v_mul_f32_e32 v0, v0, v11
	ds_read2_b64 v[74:77], v65 offset0:160 offset1:176
	v_fmac_f32_e32 v0, v1, v10
	v_add_f32_e32 v1, v58, v70
	s_waitcnt lgkmcnt(1)
	v_mul_f32_e32 v58, v67, v9
	v_fma_f32 v58, v66, v8, -v58
	v_mul_f32_e32 v9, v66, v9
	v_fmac_f32_e32 v9, v67, v8
	v_add_f32_e32 v8, v62, v58
	v_mul_f32_e32 v58, v67, v11
	v_fma_f32 v58, v66, v10, -v58
	v_mul_f32_e32 v11, v66, v11
	v_fmac_f32_e32 v11, v67, v10
	v_add_f32_e32 v10, v54, v58
	s_waitcnt lgkmcnt(0)
	v_mul_f32_e32 v54, v3, v75
	v_fma_f32 v54, v2, v74, -v54
	v_add_f32_e32 v50, v50, v54
	v_mul_f32_e32 v54, v3, v77
	v_add_f32_e32 v11, v56, v11
	v_mul_f32_e32 v56, v2, v75
	v_fma_f32 v54, v2, v76, -v54
	v_mul_f32_e32 v2, v2, v77
	v_add_f32_e32 v0, v60, v0
	v_fmac_f32_e32 v56, v3, v74
	v_fmac_f32_e32 v2, v3, v76
	v_add_f32_e32 v52, v52, v56
	v_add_f32_e32 v56, v0, v2
	v_mul_f32_e32 v0, v69, v75
	v_add_f32_e32 v54, v1, v54
	v_fma_f32 v0, v68, v74, -v0
	v_mul_f32_e32 v1, v68, v75
	v_add_f32_e32 v9, v64, v9
	v_fmac_f32_e32 v1, v69, v74
	v_add_f32_e32 v8, v8, v0
	v_mul_f32_e32 v0, v69, v77
	v_add_f32_e32 v9, v9, v1
	v_fma_f32 v58, v68, v76, -v0
	ds_read2_b64 v[0:3], v65 offset0:192 offset1:208
	ds_read_b128 v[70:73], v53 offset:4336
	v_add_f32_e32 v58, v10, v58
	v_mul_f32_e32 v60, v68, v77
	v_fmac_f32_e32 v60, v69, v76
	s_waitcnt lgkmcnt(1)
	v_mul_f32_e32 v10, v5, v1
	v_fma_f32 v10, v4, v0, -v10
	v_add_f32_e32 v50, v50, v10
	v_mul_f32_e32 v10, v5, v3
	v_add_f32_e32 v60, v11, v60
	v_mul_f32_e32 v11, v4, v1
	v_fma_f32 v10, v4, v2, -v10
	v_mul_f32_e32 v4, v4, v3
	v_fmac_f32_e32 v11, v5, v0
	v_fmac_f32_e32 v4, v5, v2
	v_add_f32_e32 v5, v54, v10
	s_waitcnt lgkmcnt(0)
	v_mul_f32_e32 v10, v71, v1
	v_fma_f32 v10, v70, v0, -v10
	v_mul_f32_e32 v1, v70, v1
	v_fmac_f32_e32 v1, v71, v0
	v_add_f32_e32 v0, v8, v10
	v_mul_f32_e32 v8, v71, v3
	v_add_f32_e32 v52, v52, v11
	v_add_f32_e32 v1, v9, v1
	v_fma_f32 v54, v70, v2, -v8
	ds_read2_b64 v[8:11], v65 offset0:224 offset1:240
	v_mul_f32_e32 v3, v70, v3
	v_fmac_f32_e32 v3, v71, v2
	v_add_f32_e32 v2, v58, v54
	v_add_f32_e32 v4, v56, v4
	s_waitcnt lgkmcnt(0)
	v_mul_f32_e32 v54, v7, v9
	v_fma_f32 v54, v6, v8, -v54
	v_add_f32_e32 v62, v50, v54
	v_mul_f32_e32 v50, v7, v11
	v_mul_f32_e32 v56, v6, v9
	v_fma_f32 v50, v6, v10, -v50
	v_mul_f32_e32 v6, v6, v11
	v_fmac_f32_e32 v6, v7, v10
	v_add_f32_e32 v3, v60, v3
	v_add_f32_e32 v58, v5, v50
	;; [unrolled: 1-line block ×3, first 2 shown]
	v_mul_f32_e32 v4, v73, v9
	v_mul_f32_e32 v5, v72, v9
	v_fmac_f32_e32 v56, v7, v8
	v_fma_f32 v4, v72, v8, -v4
	v_fmac_f32_e32 v5, v73, v8
	v_add_f32_e32 v64, v52, v56
	v_add_f32_e32 v54, v0, v4
	;; [unrolled: 1-line block ×3, first 2 shown]
	v_mul_f32_e32 v0, v73, v11
	v_mul_f32_e32 v1, v72, v11
	s_add_u32 s56, s56, 32
	v_fma_f32 v0, v72, v10, -v0
	v_fmac_f32_e32 v1, v73, v10
	s_addc_u32 s57, s57, 0
	v_add_f32_e32 v52, v2, v0
	v_add_f32_e32 v50, v3, v1
	v_lshl_add_u64 v[34:35], v[34:35], 0, s[50:51]
	v_lshl_add_u64 v[48:49], v[48:49], 0, s[52:53]
	s_cmp_ge_i32 s56, s64
	v_lshl_add_u64 v[38:39], v[38:39], 0, s[50:51]
	s_barrier
	s_cbranch_scc1 .LBB85_52
.LBB85_7:                               ;   Parent Loop BB85_4 Depth=1
                                        ; =>  This Inner Loop Header: Depth=2
	v_lshl_add_u64 v[0:1], v[16:17], 0, s[56:57]
	v_cmp_eq_u64_e64 s[4:5], s[56:57], v[30:31]
	v_cmp_lt_i64_e64 s[10:11], v[0:1], v[28:29]
	s_and_b64 s[60:61], s[30:31], s[4:5]
	v_cmp_le_i64_e64 s[12:13], s[34:35], v[0:1]
	s_or_b64 s[4:5], s[6:7], s[10:11]
	s_or_b64 s[4:5], s[12:13], s[4:5]
	v_lshl_add_u64 v[2:3], v[38:39], 0, v[32:33]
	s_nor_b64 s[4:5], s[4:5], s[60:61]
	s_and_saveexec_b64 s[14:15], s[4:5]
	s_xor_b64 s[4:5], exec, s[14:15]
	s_cbranch_execz .LBB85_9
; %bb.8:                                ;   in Loop: Header=BB85_7 Depth=2
	global_load_dwordx2 v[4:5], v[2:3], off
	s_waitcnt vmcnt(0)
	ds_write_b64 v55, v[4:5]
.LBB85_9:                               ;   in Loop: Header=BB85_7 Depth=2
	s_or_saveexec_b64 s[4:5], s[4:5]
	s_xor_b64 s[58:59], s[60:61], -1
	s_xor_b64 exec, exec, s[4:5]
	s_cbranch_execz .LBB85_15
; %bb.10:                               ;   in Loop: Header=BB85_7 Depth=2
	s_and_saveexec_b64 s[14:15], s[58:59]
	s_xor_b64 s[14:15], exec, s[14:15]
; %bb.11:                               ;   in Loop: Header=BB85_7 Depth=2
	ds_write_b64 v55, v[24:25]
; %bb.12:                               ;   in Loop: Header=BB85_7 Depth=2
	s_andn2_saveexec_b64 s[14:15], s[14:15]
; %bb.13:                               ;   in Loop: Header=BB85_7 Depth=2
	ds_write_b64 v55, v[26:27]
; %bb.14:                               ;   in Loop: Header=BB85_7 Depth=2
	s_or_b64 exec, exec, s[14:15]
.LBB85_15:                              ;   in Loop: Header=BB85_7 Depth=2
	s_or_b64 exec, exec, s[4:5]
	v_lshl_add_u64 v[4:5], v[0:1], 0, 16
	v_cmp_eq_u64_e64 s[4:5], s[56:57], v[46:47]
	s_and_b64 s[62:63], s[30:31], s[4:5]
	v_cmp_lt_i64_e64 s[4:5], v[4:5], v[28:29]
	v_cmp_le_i64_e64 s[14:15], s[34:35], v[4:5]
	s_or_b64 s[4:5], s[6:7], s[4:5]
	s_or_b64 s[4:5], s[14:15], s[4:5]
	s_nor_b64 s[4:5], s[4:5], s[62:63]
	s_and_saveexec_b64 s[66:67], s[4:5]
	s_xor_b64 s[4:5], exec, s[66:67]
	s_cbranch_execz .LBB85_17
; %bb.16:                               ;   in Loop: Header=BB85_7 Depth=2
	global_load_dwordx2 v[2:3], v[2:3], off offset:128
	s_waitcnt vmcnt(0)
	ds_write_b64 v55, v[2:3] offset:128
.LBB85_17:                              ;   in Loop: Header=BB85_7 Depth=2
	s_andn2_saveexec_b64 s[4:5], s[4:5]
	s_cbranch_execz .LBB85_23
; %bb.18:                               ;   in Loop: Header=BB85_7 Depth=2
	s_xor_b64 s[62:63], s[62:63], -1
	s_and_saveexec_b64 s[66:67], s[62:63]
	s_xor_b64 s[62:63], exec, s[66:67]
; %bb.19:                               ;   in Loop: Header=BB85_7 Depth=2
	ds_write_b64 v55, v[24:25] offset:128
; %bb.20:                               ;   in Loop: Header=BB85_7 Depth=2
	s_andn2_saveexec_b64 s[62:63], s[62:63]
; %bb.21:                               ;   in Loop: Header=BB85_7 Depth=2
	ds_write_b64 v55, v[26:27] offset:128
; %bb.22:                               ;   in Loop: Header=BB85_7 Depth=2
	s_or_b64 exec, exec, s[62:63]
.LBB85_23:                              ;   in Loop: Header=BB85_7 Depth=2
	s_or_b64 exec, exec, s[4:5]
	v_cmp_eq_u64_e64 s[4:5], s[56:57], v[44:45]
	s_and_b64 s[62:63], s[30:31], s[4:5]
	v_cmp_lt_i64_e64 s[4:5], v[0:1], v[42:43]
	s_or_b64 s[4:5], s[8:9], s[4:5]
	s_or_b64 s[4:5], s[4:5], s[62:63]
	v_lshl_add_u64 v[2:3], v[34:35], 0, v[32:33]
	s_nor_b64 s[4:5], s[12:13], s[4:5]
	s_and_saveexec_b64 s[12:13], s[4:5]
	s_xor_b64 s[4:5], exec, s[12:13]
	s_cbranch_execz .LBB85_25
; %bb.24:                               ;   in Loop: Header=BB85_7 Depth=2
	global_load_dwordx2 v[0:1], v[2:3], off
	s_waitcnt vmcnt(0)
	ds_write_b64 v55, v[0:1] offset:4096
.LBB85_25:                              ;   in Loop: Header=BB85_7 Depth=2
	s_andn2_saveexec_b64 s[4:5], s[4:5]
	s_cbranch_execz .LBB85_31
; %bb.26:                               ;   in Loop: Header=BB85_7 Depth=2
	s_xor_b64 s[12:13], s[62:63], -1
	s_and_saveexec_b64 s[62:63], s[12:13]
	s_xor_b64 s[12:13], exec, s[62:63]
; %bb.27:                               ;   in Loop: Header=BB85_7 Depth=2
	ds_write_b64 v55, v[24:25] offset:4096
; %bb.28:                               ;   in Loop: Header=BB85_7 Depth=2
	s_andn2_saveexec_b64 s[12:13], s[12:13]
; %bb.29:                               ;   in Loop: Header=BB85_7 Depth=2
	ds_write_b64 v55, v[26:27] offset:4096
; %bb.30:                               ;   in Loop: Header=BB85_7 Depth=2
	s_or_b64 exec, exec, s[12:13]
.LBB85_31:                              ;   in Loop: Header=BB85_7 Depth=2
	s_or_b64 exec, exec, s[4:5]
	s_or_b64 s[4:5], s[8:9], s[10:11]
	s_or_b64 s[4:5], s[14:15], s[4:5]
	s_nor_b64 s[4:5], s[4:5], s[60:61]
	s_and_saveexec_b64 s[10:11], s[4:5]
	s_xor_b64 s[4:5], exec, s[10:11]
	s_cbranch_execz .LBB85_33
; %bb.32:                               ;   in Loop: Header=BB85_7 Depth=2
	global_load_dwordx2 v[0:1], v[2:3], off offset:128
	s_waitcnt vmcnt(0)
	ds_write_b64 v55, v[0:1] offset:4224
.LBB85_33:                              ;   in Loop: Header=BB85_7 Depth=2
	s_andn2_saveexec_b64 s[4:5], s[4:5]
	s_cbranch_execz .LBB85_39
; %bb.34:                               ;   in Loop: Header=BB85_7 Depth=2
	s_and_saveexec_b64 s[10:11], s[58:59]
	s_xor_b64 s[10:11], exec, s[10:11]
; %bb.35:                               ;   in Loop: Header=BB85_7 Depth=2
	ds_write_b64 v55, v[24:25] offset:4224
; %bb.36:                               ;   in Loop: Header=BB85_7 Depth=2
	s_andn2_saveexec_b64 s[10:11], s[10:11]
; %bb.37:                               ;   in Loop: Header=BB85_7 Depth=2
	ds_write_b64 v55, v[26:27] offset:4224
; %bb.38:                               ;   in Loop: Header=BB85_7 Depth=2
	s_or_b64 exec, exec, s[10:11]
.LBB85_39:                              ;   in Loop: Header=BB85_7 Depth=2
	s_or_b64 exec, exec, s[4:5]
	v_lshl_add_u64 v[0:1], v[18:19], 0, s[56:57]
	v_cmp_le_i64_e64 s[10:11], s[34:35], v[0:1]
	v_lshl_add_u64 v[2:3], v[36:37], 0, v[48:49]
	s_nor_b64 s[12:13], s[10:11], vcc
	v_mov_b64_e32 v[4:5], 0
	s_and_saveexec_b64 s[4:5], s[12:13]
	s_cbranch_execz .LBB85_41
; %bb.40:                               ;   in Loop: Header=BB85_7 Depth=2
	global_load_dwordx2 v[4:5], v[2:3], off offset:-128
.LBB85_41:                              ;   in Loop: Header=BB85_7 Depth=2
	s_or_b64 exec, exec, s[4:5]
	s_nor_b64 s[4:5], s[10:11], s[0:1]
	s_waitcnt vmcnt(0)
	ds_write_b64 v59, v[4:5]
	s_and_saveexec_b64 s[10:11], s[4:5]
	s_xor_b64 s[4:5], exec, s[10:11]
	s_cbranch_execz .LBB85_43
; %bb.42:                               ;   in Loop: Header=BB85_7 Depth=2
	global_load_dwordx2 v[2:3], v[2:3], off
	s_waitcnt vmcnt(0)
	ds_write_b64 v59, v[2:3] offset:128
.LBB85_43:                              ;   in Loop: Header=BB85_7 Depth=2
	s_andn2_saveexec_b64 s[4:5], s[4:5]
; %bb.44:                               ;   in Loop: Header=BB85_7 Depth=2
	ds_write_b64 v59, v[24:25] offset:128
; %bb.45:                               ;   in Loop: Header=BB85_7 Depth=2
	s_or_b64 exec, exec, s[4:5]
	v_cmp_le_i64_e64 s[10:11], s[54:55], v[0:1]
	v_lshl_add_u64 v[0:1], v[40:41], 0, v[48:49]
	s_nor_b64 s[12:13], s[10:11], vcc
	v_mov_b64_e32 v[2:3], 0
	s_and_saveexec_b64 s[4:5], s[12:13]
	s_cbranch_execz .LBB85_47
; %bb.46:                               ;   in Loop: Header=BB85_7 Depth=2
	global_load_dwordx2 v[2:3], v[0:1], off
.LBB85_47:                              ;   in Loop: Header=BB85_7 Depth=2
	s_or_b64 exec, exec, s[4:5]
	s_nor_b64 s[4:5], s[10:11], s[0:1]
	s_waitcnt vmcnt(0)
	ds_write_b64 v59, v[2:3] offset:4096
	s_and_saveexec_b64 s[10:11], s[4:5]
	s_xor_b64 s[4:5], exec, s[10:11]
	s_cbranch_execz .LBB85_49
; %bb.48:                               ;   in Loop: Header=BB85_7 Depth=2
	global_load_dwordx2 v[0:1], v[0:1], off offset:128
	s_waitcnt vmcnt(0)
	ds_write_b64 v59, v[0:1] offset:4224
.LBB85_49:                              ;   in Loop: Header=BB85_7 Depth=2
	s_andn2_saveexec_b64 s[4:5], s[4:5]
	s_cbranch_execz .LBB85_6
; %bb.50:                               ;   in Loop: Header=BB85_7 Depth=2
	ds_write_b64 v59, v[24:25] offset:4224
	s_branch .LBB85_6
.LBB85_51:                              ;   in Loop: Header=BB85_4 Depth=1
	v_mov_b32_e32 v62, 0
	v_mov_b32_e32 v64, 0
	;; [unrolled: 1-line block ×8, first 2 shown]
.LBB85_52:                              ;   in Loop: Header=BB85_4 Depth=1
	v_mul_lo_u32 v2, s21, v28
	v_mul_lo_u32 v3, s20, v29
	v_mad_u64_u32 v[0:1], s[4:5], s20, v28, 0
	v_cmp_gt_i32_e64 s[6:7], s26, v28
	v_add3_u32 v1, v1, v3, v2
	v_lshl_add_u64 v[0:1], v[0:1], 3, s[22:23]
	s_and_b64 s[8:9], s[16:17], s[6:7]
	s_and_saveexec_b64 s[4:5], s[8:9]
	s_cbranch_execz .LBB85_54
; %bb.53:                               ;   in Loop: Header=BB85_4 Depth=1
	v_lshl_add_u64 v[2:3], v[12:13], 3, v[0:1]
	global_load_dwordx2 v[4:5], v[2:3], off
	v_pk_mul_f32 v[6:7], v[64:65], s[24:25] op_sel_hi:[0,1]
	v_pk_fma_f32 v[8:9], v[62:63], s[28:29], v[6:7] neg_lo:[0,0,1] neg_hi:[0,0,1]
	v_pk_fma_f32 v[6:7], v[62:63], s[28:29], v[6:7] op_sel_hi:[0,1,1]
	v_mov_b32_e32 v9, v7
	s_waitcnt vmcnt(0)
	v_pk_add_f32 v[4:5], v[4:5], v[8:9]
	global_store_dwordx2 v[2:3], v[4:5], off
.LBB85_54:                              ;   in Loop: Header=BB85_4 Depth=1
	s_or_b64 exec, exec, s[4:5]
	s_and_b64 s[6:7], s[18:19], s[6:7]
	s_and_saveexec_b64 s[4:5], s[6:7]
	s_cbranch_execz .LBB85_56
; %bb.55:                               ;   in Loop: Header=BB85_4 Depth=1
	v_lshl_add_u64 v[0:1], v[14:15], 3, v[0:1]
	global_load_dwordx2 v[2:3], v[0:1], off
	v_pk_mul_f32 v[4:5], v[60:61], s[24:25] op_sel_hi:[0,1]
	v_pk_fma_f32 v[6:7], v[58:59], s[28:29], v[4:5] neg_lo:[0,0,1] neg_hi:[0,0,1]
	v_pk_fma_f32 v[4:5], v[58:59], s[28:29], v[4:5] op_sel_hi:[0,1,1]
	v_mov_b32_e32 v7, v5
	s_waitcnt vmcnt(0)
	v_pk_add_f32 v[2:3], v[2:3], v[6:7]
	global_store_dwordx2 v[0:1], v[2:3], off
.LBB85_56:                              ;   in Loop: Header=BB85_4 Depth=1
	s_or_b64 exec, exec, s[4:5]
	v_add_u32_e32 v0, 16, v28
	v_ashrrev_i32_e32 v1, 31, v0
	v_cmp_gt_i32_e64 s[6:7], s26, v0
	v_mul_lo_u32 v2, s20, v1
	v_mul_lo_u32 v3, s21, v0
	v_mad_u64_u32 v[0:1], s[4:5], s20, v0, 0
	v_add3_u32 v1, v1, v2, v3
	v_lshl_add_u64 v[0:1], v[0:1], 3, s[22:23]
	s_and_b64 s[8:9], s[16:17], s[6:7]
	s_and_saveexec_b64 s[4:5], s[8:9]
	s_cbranch_execz .LBB85_58
; %bb.57:                               ;   in Loop: Header=BB85_4 Depth=1
	v_lshl_add_u64 v[2:3], v[12:13], 3, v[0:1]
	global_load_dwordx2 v[4:5], v[2:3], off
	v_pk_mul_f32 v[6:7], v[56:57], s[24:25] op_sel_hi:[0,1]
	v_pk_fma_f32 v[8:9], v[54:55], s[28:29], v[6:7] neg_lo:[0,0,1] neg_hi:[0,0,1]
	v_pk_fma_f32 v[6:7], v[54:55], s[28:29], v[6:7] op_sel_hi:[0,1,1]
	v_mov_b32_e32 v9, v7
	s_waitcnt vmcnt(0)
	v_pk_add_f32 v[4:5], v[4:5], v[8:9]
	global_store_dwordx2 v[2:3], v[4:5], off
.LBB85_58:                              ;   in Loop: Header=BB85_4 Depth=1
	s_or_b64 exec, exec, s[4:5]
	s_and_b64 s[6:7], s[18:19], s[6:7]
	s_and_saveexec_b64 s[4:5], s[6:7]
	s_cbranch_execz .LBB85_3
; %bb.59:                               ;   in Loop: Header=BB85_4 Depth=1
	v_lshl_add_u64 v[0:1], v[14:15], 3, v[0:1]
	global_load_dwordx2 v[2:3], v[0:1], off
	v_pk_mul_f32 v[4:5], v[50:51], s[24:25] op_sel_hi:[0,1]
	v_pk_fma_f32 v[6:7], v[52:53], s[28:29], v[4:5] neg_lo:[0,0,1] neg_hi:[0,0,1]
	v_pk_fma_f32 v[4:5], v[52:53], s[28:29], v[4:5] op_sel_hi:[0,1,1]
	v_mov_b32_e32 v7, v5
	s_waitcnt vmcnt(0)
	v_pk_add_f32 v[2:3], v[2:3], v[6:7]
	global_store_dwordx2 v[0:1], v[2:3], off
	s_branch .LBB85_3
.LBB85_60:
	s_endpgm
	.section	.rodata,"a",@progbits
	.p2align	6, 0x0
	.amdhsa_kernel _ZL30rocblas_trmm_outofplace_kernelI19rocblas_complex_numIfELi32ELi2ELb0ELb0ELb0ELb0ES1_KS1_S1_Ev17rocblas_diagonal_iiT6_lPT7_lllS6_lllPT8_llli
		.amdhsa_group_segment_fixed_size 16384
		.amdhsa_private_segment_fixed_size 0
		.amdhsa_kernarg_size 392
		.amdhsa_user_sgpr_count 2
		.amdhsa_user_sgpr_dispatch_ptr 0
		.amdhsa_user_sgpr_queue_ptr 0
		.amdhsa_user_sgpr_kernarg_segment_ptr 1
		.amdhsa_user_sgpr_dispatch_id 0
		.amdhsa_user_sgpr_kernarg_preload_length 0
		.amdhsa_user_sgpr_kernarg_preload_offset 0
		.amdhsa_user_sgpr_private_segment_size 0
		.amdhsa_uses_dynamic_stack 0
		.amdhsa_enable_private_segment 0
		.amdhsa_system_sgpr_workgroup_id_x 1
		.amdhsa_system_sgpr_workgroup_id_y 1
		.amdhsa_system_sgpr_workgroup_id_z 1
		.amdhsa_system_sgpr_workgroup_info 0
		.amdhsa_system_vgpr_workitem_id 1
		.amdhsa_next_free_vgpr 86
		.amdhsa_next_free_sgpr 68
		.amdhsa_accum_offset 88
		.amdhsa_reserve_vcc 1
		.amdhsa_float_round_mode_32 0
		.amdhsa_float_round_mode_16_64 0
		.amdhsa_float_denorm_mode_32 3
		.amdhsa_float_denorm_mode_16_64 3
		.amdhsa_dx10_clamp 1
		.amdhsa_ieee_mode 1
		.amdhsa_fp16_overflow 0
		.amdhsa_tg_split 0
		.amdhsa_exception_fp_ieee_invalid_op 0
		.amdhsa_exception_fp_denorm_src 0
		.amdhsa_exception_fp_ieee_div_zero 0
		.amdhsa_exception_fp_ieee_overflow 0
		.amdhsa_exception_fp_ieee_underflow 0
		.amdhsa_exception_fp_ieee_inexact 0
		.amdhsa_exception_int_div_zero 0
	.end_amdhsa_kernel
	.section	.text._ZL30rocblas_trmm_outofplace_kernelI19rocblas_complex_numIfELi32ELi2ELb0ELb0ELb0ELb0ES1_KS1_S1_Ev17rocblas_diagonal_iiT6_lPT7_lllS6_lllPT8_llli,"axG",@progbits,_ZL30rocblas_trmm_outofplace_kernelI19rocblas_complex_numIfELi32ELi2ELb0ELb0ELb0ELb0ES1_KS1_S1_Ev17rocblas_diagonal_iiT6_lPT7_lllS6_lllPT8_llli,comdat
.Lfunc_end85:
	.size	_ZL30rocblas_trmm_outofplace_kernelI19rocblas_complex_numIfELi32ELi2ELb0ELb0ELb0ELb0ES1_KS1_S1_Ev17rocblas_diagonal_iiT6_lPT7_lllS6_lllPT8_llli, .Lfunc_end85-_ZL30rocblas_trmm_outofplace_kernelI19rocblas_complex_numIfELi32ELi2ELb0ELb0ELb0ELb0ES1_KS1_S1_Ev17rocblas_diagonal_iiT6_lPT7_lllS6_lllPT8_llli
                                        ; -- End function
	.set _ZL30rocblas_trmm_outofplace_kernelI19rocblas_complex_numIfELi32ELi2ELb0ELb0ELb0ELb0ES1_KS1_S1_Ev17rocblas_diagonal_iiT6_lPT7_lllS6_lllPT8_llli.num_vgpr, 86
	.set _ZL30rocblas_trmm_outofplace_kernelI19rocblas_complex_numIfELi32ELi2ELb0ELb0ELb0ELb0ES1_KS1_S1_Ev17rocblas_diagonal_iiT6_lPT7_lllS6_lllPT8_llli.num_agpr, 0
	.set _ZL30rocblas_trmm_outofplace_kernelI19rocblas_complex_numIfELi32ELi2ELb0ELb0ELb0ELb0ES1_KS1_S1_Ev17rocblas_diagonal_iiT6_lPT7_lllS6_lllPT8_llli.numbered_sgpr, 68
	.set _ZL30rocblas_trmm_outofplace_kernelI19rocblas_complex_numIfELi32ELi2ELb0ELb0ELb0ELb0ES1_KS1_S1_Ev17rocblas_diagonal_iiT6_lPT7_lllS6_lllPT8_llli.num_named_barrier, 0
	.set _ZL30rocblas_trmm_outofplace_kernelI19rocblas_complex_numIfELi32ELi2ELb0ELb0ELb0ELb0ES1_KS1_S1_Ev17rocblas_diagonal_iiT6_lPT7_lllS6_lllPT8_llli.private_seg_size, 0
	.set _ZL30rocblas_trmm_outofplace_kernelI19rocblas_complex_numIfELi32ELi2ELb0ELb0ELb0ELb0ES1_KS1_S1_Ev17rocblas_diagonal_iiT6_lPT7_lllS6_lllPT8_llli.uses_vcc, 1
	.set _ZL30rocblas_trmm_outofplace_kernelI19rocblas_complex_numIfELi32ELi2ELb0ELb0ELb0ELb0ES1_KS1_S1_Ev17rocblas_diagonal_iiT6_lPT7_lllS6_lllPT8_llli.uses_flat_scratch, 0
	.set _ZL30rocblas_trmm_outofplace_kernelI19rocblas_complex_numIfELi32ELi2ELb0ELb0ELb0ELb0ES1_KS1_S1_Ev17rocblas_diagonal_iiT6_lPT7_lllS6_lllPT8_llli.has_dyn_sized_stack, 0
	.set _ZL30rocblas_trmm_outofplace_kernelI19rocblas_complex_numIfELi32ELi2ELb0ELb0ELb0ELb0ES1_KS1_S1_Ev17rocblas_diagonal_iiT6_lPT7_lllS6_lllPT8_llli.has_recursion, 0
	.set _ZL30rocblas_trmm_outofplace_kernelI19rocblas_complex_numIfELi32ELi2ELb0ELb0ELb0ELb0ES1_KS1_S1_Ev17rocblas_diagonal_iiT6_lPT7_lllS6_lllPT8_llli.has_indirect_call, 0
	.section	.AMDGPU.csdata,"",@progbits
; Kernel info:
; codeLenInByte = 6264
; TotalNumSgprs: 74
; NumVgprs: 86
; NumAgprs: 0
; TotalNumVgprs: 86
; ScratchSize: 0
; MemoryBound: 1
; FloatMode: 240
; IeeeMode: 1
; LDSByteSize: 16384 bytes/workgroup (compile time only)
; SGPRBlocks: 9
; VGPRBlocks: 10
; NumSGPRsForWavesPerEU: 74
; NumVGPRsForWavesPerEU: 86
; AccumOffset: 88
; Occupancy: 5
; WaveLimiterHint : 0
; COMPUTE_PGM_RSRC2:SCRATCH_EN: 0
; COMPUTE_PGM_RSRC2:USER_SGPR: 2
; COMPUTE_PGM_RSRC2:TRAP_HANDLER: 0
; COMPUTE_PGM_RSRC2:TGID_X_EN: 1
; COMPUTE_PGM_RSRC2:TGID_Y_EN: 1
; COMPUTE_PGM_RSRC2:TGID_Z_EN: 1
; COMPUTE_PGM_RSRC2:TIDIG_COMP_CNT: 1
; COMPUTE_PGM_RSRC3_GFX90A:ACCUM_OFFSET: 21
; COMPUTE_PGM_RSRC3_GFX90A:TG_SPLIT: 0
	.section	.text._ZL30rocblas_trmm_outofplace_kernelI19rocblas_complex_numIfELi32ELi2ELb0ELb1ELb0ELb0EPKS1_S2_S1_Ev17rocblas_diagonal_iiT6_lPT7_lllS7_lllPT8_llli,"axG",@progbits,_ZL30rocblas_trmm_outofplace_kernelI19rocblas_complex_numIfELi32ELi2ELb0ELb1ELb0ELb0EPKS1_S2_S1_Ev17rocblas_diagonal_iiT6_lPT7_lllS7_lllPT8_llli,comdat
	.globl	_ZL30rocblas_trmm_outofplace_kernelI19rocblas_complex_numIfELi32ELi2ELb0ELb1ELb0ELb0EPKS1_S2_S1_Ev17rocblas_diagonal_iiT6_lPT7_lllS7_lllPT8_llli ; -- Begin function _ZL30rocblas_trmm_outofplace_kernelI19rocblas_complex_numIfELi32ELi2ELb0ELb1ELb0ELb0EPKS1_S2_S1_Ev17rocblas_diagonal_iiT6_lPT7_lllS7_lllPT8_llli
	.p2align	8
	.type	_ZL30rocblas_trmm_outofplace_kernelI19rocblas_complex_numIfELi32ELi2ELb0ELb1ELb0ELb0EPKS1_S2_S1_Ev17rocblas_diagonal_iiT6_lPT7_lllS7_lllPT8_llli,@function
_ZL30rocblas_trmm_outofplace_kernelI19rocblas_complex_numIfELi32ELi2ELb0ELb1ELb0ELb0EPKS1_S2_S1_Ev17rocblas_diagonal_iiT6_lPT7_lllS7_lllPT8_llli: ; @_ZL30rocblas_trmm_outofplace_kernelI19rocblas_complex_numIfELi32ELi2ELb0ELb1ELb0ELb0EPKS1_S2_S1_Ev17rocblas_diagonal_iiT6_lPT7_lllS7_lllPT8_llli
; %bb.0:
	s_load_dwordx16 s[16:31], s[0:1], 0x10
	s_waitcnt lgkmcnt(0)
	s_mul_i32 s5, s19, s4
	s_mul_hi_u32 s6, s18, s4
	s_add_i32 s7, s6, s5
	s_mul_i32 s6, s18, s4
	s_lshl_b64 s[6:7], s[6:7], 3
	s_add_u32 s6, s16, s6
	s_addc_u32 s7, s17, s7
	s_load_dwordx2 s[34:35], s[6:7], 0x0
	s_waitcnt lgkmcnt(0)
	s_or_b32 s5, s34, s35
	s_bitset0_b32 s5, 31
	s_cmp_eq_u32 s5, 0
	s_cbranch_scc1 .LBB86_59
; %bb.1:
	s_load_dwordx4 s[36:39], s[0:1], 0x0
	s_waitcnt lgkmcnt(0)
	s_add_i32 s5, s38, -1
	s_ashr_i32 s6, s5, 31
	s_lshr_b32 s6, s6, 27
	s_add_i32 s5, s5, s6
	s_ashr_i32 s33, s5, 5
	s_cmp_gt_i32 s3, s33
	s_cbranch_scc1 .LBB86_59
; %bb.2:
	s_load_dwordx8 s[8:15], s[0:1], 0x50
	s_load_dwordx4 s[40:43], s[0:1], 0x70
	s_load_dword s54, s[0:1], 0x8c
	v_and_b32_e32 v14, 0x3ff, v0
	v_lshl_add_u32 v16, s2, 5, v14
	s_waitcnt lgkmcnt(0)
	s_mul_i32 s5, s11, s4
	s_mul_hi_u32 s7, s10, s4
	s_mul_i32 s6, s10, s4
	s_add_i32 s7, s7, s5
	s_lshl_b64 s[6:7], s[6:7], 3
	s_add_u32 s5, s28, s6
	s_addc_u32 s10, s29, s7
	s_lshl_b64 s[6:7], s[30:31], 3
	s_add_u32 s6, s5, s6
	s_mul_i32 s0, s43, s4
	s_mul_hi_u32 s1, s42, s4
	s_addc_u32 s7, s10, s7
	s_add_i32 s1, s1, s0
	s_mul_i32 s0, s42, s4
	s_lshl_b64 s[0:1], s[0:1], 3
	s_add_u32 s5, s12, s0
	s_addc_u32 s10, s13, s1
	s_lshl_b64 s[0:1], s[14:15], 3
	s_add_u32 s28, s5, s0
	s_addc_u32 s29, s10, s1
	v_ashrrev_i32_e32 v17, 31, v16
	v_lshl_add_u64 v[18:19], v[16:17], 3, s[6:7]
	s_cmpk_eq_i32 s36, 0x84
	v_sub_co_u32_e64 v24, s[6:7], 0, v14
	s_cselect_b64 s[30:31], -1, 0
	s_ashr_i32 s39, s38, 31
	s_ashr_i32 s0, s37, 31
	s_lshl_b64 s[42:43], s[8:9], 8
	v_subb_co_u32_e64 v25, s[6:7], 0, 0, s[6:7]
	s_add_u32 s44, s38, -16
	s_mul_i32 s5, s27, s4
	s_mul_hi_u32 s6, s26, s4
	s_addc_u32 s45, s39, -1
	s_add_i32 s5, s6, s5
	s_mul_i32 s4, s26, s4
	s_lshl_b32 s2, s54, 5
	s_lshl_b64 s[4:5], s[4:5], 3
	s_lshl_b64 s[6:7], s[22:23], 3
	s_add_u32 s4, s4, s6
	v_bfe_u32 v12, v0, 10, 10
	v_mov_b32_e32 v1, s0
	v_sub_co_u32_e32 v0, vcc, s37, v16
	s_addc_u32 s5, s5, s7
	s_nop 0
	v_subb_co_u32_e32 v1, vcc, v1, v17, vcc
	s_add_u32 s20, s20, s4
	v_cmp_gt_i64_e32 vcc, 1, v[0:1]
	v_cmp_gt_i64_e64 s[0:1], 17, v[0:1]
	s_addc_u32 s21, s21, s5
	v_mad_u64_u32 v[0:1], s[4:5], s8, v12, 0
	v_mov_b32_e32 v2, v1
	v_mad_u64_u32 v[2:3], s[4:5], s9, v12, v[2:3]
	v_mov_b32_e32 v1, v2
	v_mov_b64_e32 v[28:29], 0x80
	v_lshl_add_u64 v[30:31], v[0:1], 3, v[28:29]
	v_mov_b32_e32 v0, 0x80
	v_lshl_add_u32 v1, v12, 3, v0
	v_mad_u64_u32 v[32:33], s[4:5], s8, v1, 0
	v_lshlrev_b32_e32 v20, 3, v14
	v_mov_b32_e32 v0, v33
	v_mov_b32_e32 v15, 0
	v_lshlrev_b32_e32 v53, 8, v12
	v_or_b32_e32 v57, 0x2000, v20
	v_add_u32_e32 v22, 16, v16
	v_mad_u64_u32 v[0:1], s[4:5], s9, v1, v[0:1]
	v_mov_b32_e32 v13, v15
	v_add_u32_e32 v55, v53, v20
	v_add_u32_e32 v59, v57, v53
	v_cmp_gt_i32_e64 s[16:17], s37, v16
	v_cmp_gt_i32_e64 s[18:19], s37, v22
	v_ashrrev_i32_e32 v23, 31, v22
	s_mov_b32 s36, s35
	s_mov_b32 s37, s34
	v_lshl_add_u32 v26, s3, 5, v12
	v_mov_b32_e32 v21, v15
	s_lshl_b64 s[22:23], s[24:25], 3
	v_mov_b32_e32 v33, v0
	s_mov_b64 s[26:27], 0x100
	v_mov_b32_e32 v68, v15
	v_mov_b32_e32 v69, v15
	v_mov_b32_e32 v34, 1.0
	v_mov_b32_e32 v35, v15
	v_add_u32_e32 v61, 0x800, v57
	v_add_u32_e32 v63, 0x1000, v57
	v_add_u32_e32 v65, 0x1800, v57
	s_branch .LBB86_4
.LBB86_3:                               ;   in Loop: Header=BB86_4 Depth=1
	s_or_b64 exec, exec, s[4:5]
	s_add_i32 s3, s54, s3
	s_cmp_le_i32 s3, s33
	v_add_u32_e32 v26, s2, v26
	s_cbranch_scc0 .LBB86_59
.LBB86_4:                               ; =>This Loop Header: Depth=1
                                        ;     Child Loop BB86_7 Depth 2
	s_lshl_b32 s55, s3, 5
	v_add_u32_e32 v36, s55, v12
	v_ashrrev_i32_e32 v37, 31, v36
	s_cmp_lt_i32 s3, 0
	v_mov_b32_e32 v64, 0
	v_mov_b32_e32 v66, 0
	;; [unrolled: 1-line block ×8, first 2 shown]
	s_cbranch_scc1 .LBB86_51
; %bb.5:                                ;   in Loop: Header=BB86_4 Depth=1
	v_ashrrev_i32_e32 v27, 31, v26
	v_lshl_add_u64 v[0:1], v[26:27], 3, v[28:29]
	v_mov_b64_e32 v[2:3], s[20:21]
	v_mul_lo_u32 v1, s24, v1
	v_mul_lo_u32 v4, s25, v0
	v_mad_u64_u32 v[40:41], s[4:5], s24, v0, v[2:3]
	v_lshl_add_u64 v[38:39], v[24:25], 0, v[26:27]
	v_add3_u32 v41, v4, v41, v1
	v_mad_u64_u32 v[42:43], s[4:5], s22, v26, v[2:3]
	v_mul_lo_u32 v0, s23, v26
	v_mul_lo_u32 v1, s22, v27
	v_lshl_add_u64 v[44:45], v[36:37], 0, 16
	v_add3_u32 v43, v0, v43, v1
	v_cmp_le_i32_e64 s[6:7], s38, v36
	v_cmp_le_i64_e64 s[8:9], s[38:39], v[44:45]
	v_lshl_add_u64 v[46:47], v[38:39], 0, 16
	v_lshl_add_u64 v[48:49], v[38:39], 0, -16
	v_mov_b32_e32 v52, 0
	s_mov_b64 s[46:47], 0
	v_mov_b64_e32 v[50:51], v[18:19]
	v_mov_b32_e32 v54, 0
	v_mov_b32_e32 v58, 0
	v_mov_b32_e32 v56, 0
	v_mov_b32_e32 v62, 0
	v_mov_b32_e32 v60, 0
	v_mov_b32_e32 v66, 0
	v_mov_b32_e32 v64, 0
	s_branch .LBB86_7
.LBB86_6:                               ;   in Loop: Header=BB86_7 Depth=2
	s_or_b64 exec, exec, s[4:5]
	s_waitcnt lgkmcnt(0)
	s_barrier
	ds_read2_b64 v[70:73], v57 offset1:16
	ds_read_b128 v[74:77], v53
	ds_read_b128 v[8:11], v53 offset:16
	ds_read_b128 v[4:7], v53 offset:32
	;; [unrolled: 1-line block ×5, first 2 shown]
	s_waitcnt lgkmcnt(5)
	v_mul_f32_e32 v27, v75, v71
	v_mul_f32_e32 v67, v74, v71
	v_fma_f32 v27, v74, v70, -v27
	v_fmac_f32_e32 v67, v75, v70
	v_add_f32_e32 v27, v64, v27
	v_add_f32_e32 v64, v66, v67
	v_mul_f32_e32 v66, v75, v73
	v_fma_f32 v66, v74, v72, -v66
	ds_read2_b64 v[86:89], v57 offset0:32 offset1:48
	v_add_f32_e32 v60, v60, v66
	s_waitcnt lgkmcnt(2)
	v_mul_f32_e32 v66, v79, v71
	v_mul_f32_e32 v67, v74, v73
	v_fma_f32 v66, v78, v70, -v66
	v_fmac_f32_e32 v67, v75, v72
	v_add_f32_e32 v56, v56, v66
	v_mul_f32_e32 v66, v79, v73
	v_add_f32_e32 v62, v62, v67
	v_mul_f32_e32 v67, v78, v71
	v_fma_f32 v66, v78, v72, -v66
	v_fmac_f32_e32 v67, v79, v70
	v_add_f32_e32 v54, v54, v66
	s_waitcnt lgkmcnt(0)
	v_mul_f32_e32 v66, v77, v87
	v_add_f32_e32 v58, v58, v67
	v_mul_f32_e32 v67, v78, v73
	v_fma_f32 v66, v76, v86, -v66
	v_fmac_f32_e32 v67, v79, v72
	v_add_f32_e32 v27, v27, v66
	v_mul_f32_e32 v66, v77, v89
	v_add_f32_e32 v52, v52, v67
	v_mul_f32_e32 v67, v76, v87
	v_fma_f32 v66, v76, v88, -v66
	ds_read2_b64 v[70:73], v57 offset0:64 offset1:80
	v_fmac_f32_e32 v67, v77, v86
	v_add_f32_e32 v60, v60, v66
	v_mul_f32_e32 v66, v81, v87
	v_add_f32_e32 v64, v64, v67
	v_mul_f32_e32 v67, v76, v89
	v_fma_f32 v66, v80, v86, -v66
	v_fmac_f32_e32 v67, v77, v88
	v_add_f32_e32 v56, v56, v66
	v_mul_f32_e32 v66, v81, v89
	v_add_f32_e32 v62, v62, v67
	v_mul_f32_e32 v67, v80, v87
	v_fma_f32 v66, v80, v88, -v66
	v_fmac_f32_e32 v67, v81, v86
	v_add_f32_e32 v54, v54, v66
	s_waitcnt lgkmcnt(0)
	v_mul_f32_e32 v66, v9, v71
	v_add_f32_e32 v58, v58, v67
	v_mul_f32_e32 v67, v80, v89
	v_fma_f32 v66, v8, v70, -v66
	v_fmac_f32_e32 v67, v81, v88
	v_add_f32_e32 v27, v27, v66
	v_mul_f32_e32 v66, v9, v73
	v_add_f32_e32 v52, v52, v67
	v_mul_f32_e32 v67, v8, v71
	v_fma_f32 v66, v8, v72, -v66
	v_mul_f32_e32 v8, v8, v73
	v_fmac_f32_e32 v8, v9, v72
	ds_read2_b64 v[74:77], v57 offset0:96 offset1:112
	v_fmac_f32_e32 v67, v9, v70
	v_add_f32_e32 v9, v60, v66
	v_add_f32_e32 v8, v62, v8
	v_mul_f32_e32 v60, v83, v71
	v_mul_f32_e32 v62, v82, v71
	v_fma_f32 v60, v82, v70, -v60
	v_fmac_f32_e32 v62, v83, v70
	v_add_f32_e32 v56, v56, v60
	v_add_f32_e32 v58, v58, v62
	v_mul_f32_e32 v60, v83, v73
	v_mul_f32_e32 v62, v82, v73
	v_fma_f32 v60, v82, v72, -v60
	v_fmac_f32_e32 v62, v83, v72
	v_add_f32_e32 v54, v54, v60
	v_add_f32_e32 v52, v52, v62
	s_waitcnt lgkmcnt(0)
	v_mul_f32_e32 v60, v11, v75
	v_mul_f32_e32 v62, v10, v75
	v_add_f32_e32 v64, v64, v67
	v_fma_f32 v60, v10, v74, -v60
	v_fmac_f32_e32 v62, v11, v74
	v_add_f32_e32 v27, v27, v60
	v_add_f32_e32 v60, v64, v62
	v_mul_f32_e32 v62, v11, v77
	v_fma_f32 v62, v10, v76, -v62
	v_mul_f32_e32 v10, v10, v77
	v_fmac_f32_e32 v10, v11, v76
	v_add_f32_e32 v64, v8, v10
	v_mul_f32_e32 v8, v85, v75
	v_add_f32_e32 v62, v9, v62
	v_fma_f32 v8, v84, v74, -v8
	v_mul_f32_e32 v9, v84, v75
	v_fmac_f32_e32 v9, v85, v74
	v_add_f32_e32 v56, v56, v8
	v_mul_f32_e32 v8, v85, v77
	v_add_f32_e32 v58, v58, v9
	v_fma_f32 v66, v84, v76, -v8
	ds_read2_b64 v[8:11], v57 offset0:128 offset1:144
	ds_read_b128 v[70:73], v53 offset:4128
	v_add_f32_e32 v54, v54, v66
	v_mul_f32_e32 v67, v84, v77
	v_fmac_f32_e32 v67, v85, v76
	s_waitcnt lgkmcnt(1)
	v_mul_f32_e32 v66, v5, v9
	v_fma_f32 v66, v4, v8, -v66
	v_add_f32_e32 v27, v27, v66
	v_mul_f32_e32 v66, v5, v11
	v_add_f32_e32 v52, v52, v67
	v_mul_f32_e32 v67, v4, v9
	v_fma_f32 v66, v4, v10, -v66
	v_mul_f32_e32 v4, v4, v11
	ds_read2_b64 v[78:81], v57 offset0:160 offset1:176
	v_fmac_f32_e32 v67, v5, v8
	v_fmac_f32_e32 v4, v5, v10
	v_add_f32_e32 v5, v62, v66
	ds_read_b128 v[74:77], v53 offset:4144
	s_waitcnt lgkmcnt(2)
	v_mul_f32_e32 v62, v71, v9
	v_fma_f32 v62, v70, v8, -v62
	v_mul_f32_e32 v9, v70, v9
	v_fmac_f32_e32 v9, v71, v8
	v_add_f32_e32 v8, v56, v62
	v_mul_f32_e32 v56, v71, v11
	v_mul_f32_e32 v11, v70, v11
	v_fma_f32 v56, v70, v10, -v56
	v_fmac_f32_e32 v11, v71, v10
	v_add_f32_e32 v10, v54, v56
	v_add_f32_e32 v11, v52, v11
	s_waitcnt lgkmcnt(1)
	v_mul_f32_e32 v52, v7, v79
	v_mul_f32_e32 v54, v6, v79
	v_add_f32_e32 v60, v60, v67
	v_fma_f32 v52, v6, v78, -v52
	v_fmac_f32_e32 v54, v7, v78
	v_add_f32_e32 v27, v27, v52
	v_add_f32_e32 v52, v60, v54
	v_mul_f32_e32 v54, v7, v81
	v_fma_f32 v54, v6, v80, -v54
	v_mul_f32_e32 v6, v6, v81
	v_add_f32_e32 v4, v64, v4
	v_fmac_f32_e32 v6, v7, v80
	v_add_f32_e32 v56, v4, v6
	v_mul_f32_e32 v4, v73, v79
	v_add_f32_e32 v54, v5, v54
	v_fma_f32 v4, v72, v78, -v4
	v_mul_f32_e32 v5, v72, v79
	v_add_f32_e32 v9, v58, v9
	v_fmac_f32_e32 v5, v73, v78
	v_add_f32_e32 v8, v8, v4
	v_mul_f32_e32 v4, v73, v81
	v_add_f32_e32 v9, v9, v5
	v_fma_f32 v58, v72, v80, -v4
	ds_read2_b64 v[4:7], v57 offset0:192 offset1:208
	v_add_f32_e32 v58, v10, v58
	v_mul_f32_e32 v60, v72, v81
	v_fmac_f32_e32 v60, v73, v80
	v_add_f32_e32 v60, v11, v60
	s_waitcnt lgkmcnt(0)
	v_mul_f32_e32 v10, v1, v5
	v_fma_f32 v10, v0, v4, -v10
	v_add_f32_e32 v27, v27, v10
	v_mul_f32_e32 v10, v1, v7
	v_mul_f32_e32 v11, v0, v5
	v_fma_f32 v10, v0, v6, -v10
	v_mul_f32_e32 v0, v0, v7
	v_fmac_f32_e32 v11, v1, v4
	v_fmac_f32_e32 v0, v1, v6
	v_add_f32_e32 v1, v54, v10
	v_mul_f32_e32 v10, v75, v5
	v_fma_f32 v10, v74, v4, -v10
	v_mul_f32_e32 v5, v74, v5
	v_fmac_f32_e32 v5, v75, v4
	v_add_f32_e32 v4, v8, v10
	v_mul_f32_e32 v8, v75, v7
	v_add_f32_e32 v52, v52, v11
	v_add_f32_e32 v5, v9, v5
	v_fma_f32 v54, v74, v6, -v8
	ds_read2_b64 v[8:11], v57 offset0:224 offset1:240
	v_mul_f32_e32 v7, v74, v7
	v_fmac_f32_e32 v7, v75, v6
	v_add_f32_e32 v0, v56, v0
	v_add_f32_e32 v56, v60, v7
	s_waitcnt lgkmcnt(0)
	v_mul_f32_e32 v6, v3, v9
	v_fma_f32 v6, v2, v8, -v6
	v_add_f32_e32 v27, v27, v6
	v_mul_f32_e32 v6, v3, v11
	v_mul_f32_e32 v7, v2, v9
	v_fma_f32 v6, v2, v10, -v6
	v_mul_f32_e32 v2, v2, v11
	v_fmac_f32_e32 v2, v3, v10
	v_add_f32_e32 v60, v0, v2
	v_mul_f32_e32 v0, v77, v9
	v_add_f32_e32 v54, v58, v54
	v_add_f32_e32 v58, v1, v6
	v_fma_f32 v0, v76, v8, -v0
	v_mul_f32_e32 v1, v76, v9
	v_fmac_f32_e32 v7, v3, v8
	v_fmac_f32_e32 v1, v77, v8
	v_add_f32_e32 v62, v4, v0
	v_mul_f32_e32 v0, v77, v11
	v_add_f32_e32 v52, v52, v7
	v_add_f32_e32 v64, v5, v1
	v_fma_f32 v8, v76, v10, -v0
	ds_read_b128 v[0:3], v53 offset:64
	ds_read2_b64 v[4:7], v61 offset1:16
	v_mul_f32_e32 v9, v76, v11
	v_fmac_f32_e32 v9, v77, v10
	v_add_f32_e32 v54, v54, v8
	v_add_f32_e32 v56, v56, v9
	ds_read_b128 v[8:11], v53 offset:80
	ds_read_b128 v[70:73], v53 offset:4160
	s_waitcnt lgkmcnt(2)
	v_mul_f32_e32 v66, v1, v5
	v_fma_f32 v66, v0, v4, -v66
	v_add_f32_e32 v27, v27, v66
	v_mul_f32_e32 v66, v1, v7
	v_mul_f32_e32 v67, v0, v5
	v_fma_f32 v66, v0, v6, -v66
	v_mul_f32_e32 v0, v0, v7
	ds_read2_b64 v[78:81], v61 offset0:32 offset1:48
	v_fmac_f32_e32 v67, v1, v4
	v_fmac_f32_e32 v0, v1, v6
	v_add_f32_e32 v1, v58, v66
	s_waitcnt lgkmcnt(1)
	v_mul_f32_e32 v58, v71, v5
	v_fma_f32 v58, v70, v4, -v58
	v_mul_f32_e32 v5, v70, v5
	v_fmac_f32_e32 v5, v71, v4
	v_add_f32_e32 v4, v62, v58
	v_mul_f32_e32 v58, v71, v7
	v_fma_f32 v58, v70, v6, -v58
	v_mul_f32_e32 v7, v70, v7
	v_fmac_f32_e32 v7, v71, v6
	v_add_f32_e32 v6, v54, v58
	s_waitcnt lgkmcnt(0)
	v_mul_f32_e32 v54, v3, v79
	v_fma_f32 v54, v2, v78, -v54
	v_add_f32_e32 v27, v27, v54
	v_mul_f32_e32 v54, v3, v81
	v_add_f32_e32 v7, v56, v7
	v_mul_f32_e32 v56, v2, v79
	v_fma_f32 v54, v2, v80, -v54
	v_mul_f32_e32 v2, v2, v81
	v_add_f32_e32 v52, v52, v67
	v_add_f32_e32 v0, v60, v0
	v_fmac_f32_e32 v56, v3, v78
	v_fmac_f32_e32 v2, v3, v80
	v_add_f32_e32 v52, v52, v56
	v_add_f32_e32 v56, v0, v2
	v_mul_f32_e32 v0, v73, v79
	v_add_f32_e32 v54, v1, v54
	v_fma_f32 v0, v72, v78, -v0
	v_mul_f32_e32 v1, v72, v79
	v_add_f32_e32 v5, v64, v5
	v_fmac_f32_e32 v1, v73, v78
	v_add_f32_e32 v4, v4, v0
	v_mul_f32_e32 v0, v73, v81
	v_add_f32_e32 v5, v5, v1
	v_fma_f32 v58, v72, v80, -v0
	ds_read2_b64 v[0:3], v61 offset0:64 offset1:80
	ds_read_b128 v[74:77], v53 offset:4176
	v_mul_f32_e32 v60, v72, v81
	v_add_f32_e32 v58, v6, v58
	v_fmac_f32_e32 v60, v73, v80
	s_waitcnt lgkmcnt(1)
	v_mul_f32_e32 v6, v9, v1
	v_fma_f32 v6, v8, v0, -v6
	v_add_f32_e32 v60, v7, v60
	v_mul_f32_e32 v7, v8, v1
	v_add_f32_e32 v27, v27, v6
	v_mul_f32_e32 v6, v9, v3
	v_fmac_f32_e32 v7, v9, v0
	v_fma_f32 v6, v8, v2, -v6
	v_add_f32_e32 v52, v52, v7
	v_mul_f32_e32 v7, v8, v3
	v_add_f32_e32 v8, v54, v6
	s_waitcnt lgkmcnt(0)
	v_mul_f32_e32 v6, v75, v1
	v_fma_f32 v6, v74, v0, -v6
	v_mul_f32_e32 v1, v74, v1
	v_fmac_f32_e32 v7, v9, v2
	v_fmac_f32_e32 v1, v75, v0
	v_add_f32_e32 v0, v4, v6
	v_mul_f32_e32 v4, v75, v3
	v_add_f32_e32 v9, v56, v7
	v_add_f32_e32 v1, v5, v1
	v_fma_f32 v54, v74, v2, -v4
	ds_read2_b64 v[4:7], v61 offset0:96 offset1:112
	v_mul_f32_e32 v3, v74, v3
	v_fmac_f32_e32 v3, v75, v2
	v_add_f32_e32 v56, v60, v3
	v_add_f32_e32 v54, v58, v54
	s_waitcnt lgkmcnt(0)
	v_mul_f32_e32 v2, v11, v5
	v_fma_f32 v2, v10, v4, -v2
	v_mul_f32_e32 v3, v10, v5
	v_fmac_f32_e32 v3, v11, v4
	v_add_f32_e32 v27, v27, v2
	v_mul_f32_e32 v2, v11, v7
	v_add_f32_e32 v52, v52, v3
	v_fma_f32 v2, v10, v6, -v2
	v_mul_f32_e32 v3, v10, v7
	v_fmac_f32_e32 v3, v11, v6
	v_add_f32_e32 v58, v8, v2
	v_mul_f32_e32 v2, v77, v5
	v_add_f32_e32 v60, v9, v3
	;; [unrolled: 6-line block ×3, first 2 shown]
	v_fma_f32 v4, v76, v6, -v0
	ds_read_b128 v[0:3], v53 offset:96
	ds_read2_b64 v[8:11], v61 offset0:128 offset1:144
	v_mul_f32_e32 v5, v76, v7
	v_fmac_f32_e32 v5, v77, v6
	v_add_f32_e32 v54, v54, v4
	v_add_f32_e32 v56, v56, v5
	ds_read_b128 v[4:7], v53 offset:112
	ds_read_b128 v[70:73], v53 offset:4192
	s_waitcnt lgkmcnt(2)
	v_mul_f32_e32 v66, v1, v9
	v_fma_f32 v66, v0, v8, -v66
	v_add_f32_e32 v27, v27, v66
	v_mul_f32_e32 v66, v1, v11
	v_mul_f32_e32 v67, v0, v9
	v_fma_f32 v66, v0, v10, -v66
	v_mul_f32_e32 v0, v0, v11
	ds_read2_b64 v[78:81], v61 offset0:160 offset1:176
	v_fmac_f32_e32 v67, v1, v8
	v_fmac_f32_e32 v0, v1, v10
	v_add_f32_e32 v1, v58, v66
	s_waitcnt lgkmcnt(1)
	v_mul_f32_e32 v58, v71, v9
	v_fma_f32 v58, v70, v8, -v58
	v_mul_f32_e32 v9, v70, v9
	v_fmac_f32_e32 v9, v71, v8
	v_add_f32_e32 v8, v62, v58
	v_mul_f32_e32 v58, v71, v11
	v_fma_f32 v58, v70, v10, -v58
	v_mul_f32_e32 v11, v70, v11
	v_fmac_f32_e32 v11, v71, v10
	v_add_f32_e32 v10, v54, v58
	s_waitcnt lgkmcnt(0)
	v_mul_f32_e32 v54, v3, v79
	v_fma_f32 v54, v2, v78, -v54
	v_add_f32_e32 v27, v27, v54
	v_mul_f32_e32 v54, v3, v81
	v_add_f32_e32 v11, v56, v11
	v_mul_f32_e32 v56, v2, v79
	v_fma_f32 v54, v2, v80, -v54
	v_mul_f32_e32 v2, v2, v81
	v_add_f32_e32 v52, v52, v67
	v_add_f32_e32 v0, v60, v0
	v_fmac_f32_e32 v56, v3, v78
	v_fmac_f32_e32 v2, v3, v80
	v_add_f32_e32 v52, v52, v56
	v_add_f32_e32 v56, v0, v2
	v_mul_f32_e32 v0, v73, v79
	v_add_f32_e32 v54, v1, v54
	v_fma_f32 v0, v72, v78, -v0
	v_mul_f32_e32 v1, v72, v79
	v_add_f32_e32 v9, v64, v9
	v_fmac_f32_e32 v1, v73, v78
	v_add_f32_e32 v8, v8, v0
	v_mul_f32_e32 v0, v73, v81
	v_add_f32_e32 v9, v9, v1
	v_fma_f32 v58, v72, v80, -v0
	ds_read2_b64 v[0:3], v61 offset0:192 offset1:208
	ds_read_b128 v[74:77], v53 offset:4208
	v_add_f32_e32 v58, v10, v58
	v_mul_f32_e32 v60, v72, v81
	v_fmac_f32_e32 v60, v73, v80
	s_waitcnt lgkmcnt(1)
	v_mul_f32_e32 v10, v5, v1
	v_fma_f32 v10, v4, v0, -v10
	v_add_f32_e32 v27, v27, v10
	v_mul_f32_e32 v10, v5, v3
	v_add_f32_e32 v60, v11, v60
	v_mul_f32_e32 v11, v4, v1
	v_fma_f32 v10, v4, v2, -v10
	v_mul_f32_e32 v4, v4, v3
	v_fmac_f32_e32 v11, v5, v0
	v_fmac_f32_e32 v4, v5, v2
	v_add_f32_e32 v5, v54, v10
	s_waitcnt lgkmcnt(0)
	v_mul_f32_e32 v10, v75, v1
	v_fma_f32 v10, v74, v0, -v10
	v_mul_f32_e32 v1, v74, v1
	v_fmac_f32_e32 v1, v75, v0
	v_add_f32_e32 v0, v8, v10
	v_mul_f32_e32 v8, v75, v3
	v_add_f32_e32 v52, v52, v11
	v_add_f32_e32 v1, v9, v1
	v_fma_f32 v54, v74, v2, -v8
	ds_read2_b64 v[8:11], v61 offset0:224 offset1:240
	v_mul_f32_e32 v3, v74, v3
	v_fmac_f32_e32 v3, v75, v2
	v_add_f32_e32 v4, v56, v4
	v_add_f32_e32 v56, v60, v3
	s_waitcnt lgkmcnt(0)
	v_mul_f32_e32 v2, v7, v9
	v_fma_f32 v2, v6, v8, -v2
	v_mul_f32_e32 v3, v6, v9
	v_fmac_f32_e32 v3, v7, v8
	v_add_f32_e32 v27, v27, v2
	v_mul_f32_e32 v2, v7, v11
	v_add_f32_e32 v52, v52, v3
	v_fma_f32 v2, v6, v10, -v2
	v_mul_f32_e32 v3, v6, v11
	v_add_f32_e32 v54, v58, v54
	v_fmac_f32_e32 v3, v7, v10
	v_add_f32_e32 v58, v5, v2
	v_mul_f32_e32 v2, v77, v9
	v_add_f32_e32 v60, v4, v3
	v_fma_f32 v2, v76, v8, -v2
	v_mul_f32_e32 v3, v76, v9
	v_fmac_f32_e32 v3, v77, v8
	v_add_f32_e32 v62, v0, v2
	v_mul_f32_e32 v0, v77, v11
	v_add_f32_e32 v64, v1, v3
	v_fma_f32 v8, v76, v10, -v0
	ds_read_b128 v[0:3], v53 offset:128
	ds_read2_b64 v[4:7], v63 offset1:16
	v_mul_f32_e32 v9, v76, v11
	v_fmac_f32_e32 v9, v77, v10
	v_add_f32_e32 v54, v54, v8
	v_add_f32_e32 v56, v56, v9
	ds_read_b128 v[8:11], v53 offset:144
	ds_read_b128 v[70:73], v53 offset:4224
	s_waitcnt lgkmcnt(2)
	v_mul_f32_e32 v66, v1, v5
	v_fma_f32 v66, v0, v4, -v66
	v_add_f32_e32 v27, v27, v66
	v_mul_f32_e32 v66, v1, v7
	v_mul_f32_e32 v67, v0, v5
	v_fma_f32 v66, v0, v6, -v66
	v_mul_f32_e32 v0, v0, v7
	ds_read2_b64 v[78:81], v63 offset0:32 offset1:48
	v_fmac_f32_e32 v67, v1, v4
	v_fmac_f32_e32 v0, v1, v6
	v_add_f32_e32 v1, v58, v66
	s_waitcnt lgkmcnt(1)
	v_mul_f32_e32 v58, v71, v5
	v_fma_f32 v58, v70, v4, -v58
	v_mul_f32_e32 v5, v70, v5
	v_fmac_f32_e32 v5, v71, v4
	v_add_f32_e32 v4, v62, v58
	v_mul_f32_e32 v58, v71, v7
	v_fma_f32 v58, v70, v6, -v58
	v_mul_f32_e32 v7, v70, v7
	v_fmac_f32_e32 v7, v71, v6
	v_add_f32_e32 v6, v54, v58
	s_waitcnt lgkmcnt(0)
	v_mul_f32_e32 v54, v3, v79
	v_fma_f32 v54, v2, v78, -v54
	v_add_f32_e32 v27, v27, v54
	v_mul_f32_e32 v54, v3, v81
	v_add_f32_e32 v7, v56, v7
	v_mul_f32_e32 v56, v2, v79
	v_fma_f32 v54, v2, v80, -v54
	v_mul_f32_e32 v2, v2, v81
	v_add_f32_e32 v52, v52, v67
	v_add_f32_e32 v0, v60, v0
	v_fmac_f32_e32 v56, v3, v78
	v_fmac_f32_e32 v2, v3, v80
	v_add_f32_e32 v52, v52, v56
	v_add_f32_e32 v56, v0, v2
	v_mul_f32_e32 v0, v73, v79
	v_add_f32_e32 v54, v1, v54
	v_fma_f32 v0, v72, v78, -v0
	v_mul_f32_e32 v1, v72, v79
	v_add_f32_e32 v5, v64, v5
	v_fmac_f32_e32 v1, v73, v78
	v_add_f32_e32 v4, v4, v0
	v_mul_f32_e32 v0, v73, v81
	v_add_f32_e32 v5, v5, v1
	v_fma_f32 v58, v72, v80, -v0
	ds_read2_b64 v[0:3], v63 offset0:64 offset1:80
	ds_read_b128 v[74:77], v53 offset:4240
	v_mul_f32_e32 v60, v72, v81
	v_add_f32_e32 v58, v6, v58
	v_fmac_f32_e32 v60, v73, v80
	s_waitcnt lgkmcnt(1)
	v_mul_f32_e32 v6, v9, v1
	v_fma_f32 v6, v8, v0, -v6
	v_add_f32_e32 v60, v7, v60
	v_mul_f32_e32 v7, v8, v1
	v_add_f32_e32 v27, v27, v6
	v_mul_f32_e32 v6, v9, v3
	v_fmac_f32_e32 v7, v9, v0
	v_fma_f32 v6, v8, v2, -v6
	v_add_f32_e32 v52, v52, v7
	v_mul_f32_e32 v7, v8, v3
	v_add_f32_e32 v8, v54, v6
	s_waitcnt lgkmcnt(0)
	v_mul_f32_e32 v6, v75, v1
	v_fma_f32 v6, v74, v0, -v6
	v_mul_f32_e32 v1, v74, v1
	v_fmac_f32_e32 v7, v9, v2
	v_fmac_f32_e32 v1, v75, v0
	v_add_f32_e32 v0, v4, v6
	v_mul_f32_e32 v4, v75, v3
	v_add_f32_e32 v9, v56, v7
	v_add_f32_e32 v1, v5, v1
	v_fma_f32 v54, v74, v2, -v4
	ds_read2_b64 v[4:7], v63 offset0:96 offset1:112
	v_mul_f32_e32 v3, v74, v3
	v_fmac_f32_e32 v3, v75, v2
	v_add_f32_e32 v56, v60, v3
	v_add_f32_e32 v54, v58, v54
	s_waitcnt lgkmcnt(0)
	v_mul_f32_e32 v2, v11, v5
	v_fma_f32 v2, v10, v4, -v2
	v_mul_f32_e32 v3, v10, v5
	v_fmac_f32_e32 v3, v11, v4
	v_add_f32_e32 v27, v27, v2
	v_mul_f32_e32 v2, v11, v7
	v_add_f32_e32 v52, v52, v3
	v_fma_f32 v2, v10, v6, -v2
	v_mul_f32_e32 v3, v10, v7
	v_fmac_f32_e32 v3, v11, v6
	v_add_f32_e32 v58, v8, v2
	v_mul_f32_e32 v2, v77, v5
	v_add_f32_e32 v60, v9, v3
	;; [unrolled: 6-line block ×3, first 2 shown]
	v_fma_f32 v4, v76, v6, -v0
	ds_read_b128 v[0:3], v53 offset:160
	ds_read2_b64 v[8:11], v63 offset0:128 offset1:144
	v_mul_f32_e32 v5, v76, v7
	v_fmac_f32_e32 v5, v77, v6
	v_add_f32_e32 v54, v54, v4
	v_add_f32_e32 v56, v56, v5
	ds_read_b128 v[4:7], v53 offset:176
	ds_read_b128 v[70:73], v53 offset:4256
	s_waitcnt lgkmcnt(2)
	v_mul_f32_e32 v66, v1, v9
	v_fma_f32 v66, v0, v8, -v66
	v_add_f32_e32 v27, v27, v66
	v_mul_f32_e32 v66, v1, v11
	v_mul_f32_e32 v67, v0, v9
	v_fma_f32 v66, v0, v10, -v66
	v_mul_f32_e32 v0, v0, v11
	ds_read2_b64 v[78:81], v63 offset0:160 offset1:176
	v_fmac_f32_e32 v67, v1, v8
	v_fmac_f32_e32 v0, v1, v10
	v_add_f32_e32 v1, v58, v66
	s_waitcnt lgkmcnt(1)
	v_mul_f32_e32 v58, v71, v9
	v_fma_f32 v58, v70, v8, -v58
	v_mul_f32_e32 v9, v70, v9
	v_fmac_f32_e32 v9, v71, v8
	v_add_f32_e32 v8, v62, v58
	v_mul_f32_e32 v58, v71, v11
	v_fma_f32 v58, v70, v10, -v58
	v_mul_f32_e32 v11, v70, v11
	v_fmac_f32_e32 v11, v71, v10
	v_add_f32_e32 v10, v54, v58
	s_waitcnt lgkmcnt(0)
	v_mul_f32_e32 v54, v3, v79
	v_fma_f32 v54, v2, v78, -v54
	v_add_f32_e32 v27, v27, v54
	v_mul_f32_e32 v54, v3, v81
	v_add_f32_e32 v11, v56, v11
	v_mul_f32_e32 v56, v2, v79
	v_fma_f32 v54, v2, v80, -v54
	v_mul_f32_e32 v2, v2, v81
	v_add_f32_e32 v52, v52, v67
	v_add_f32_e32 v0, v60, v0
	v_fmac_f32_e32 v56, v3, v78
	v_fmac_f32_e32 v2, v3, v80
	v_add_f32_e32 v52, v52, v56
	v_add_f32_e32 v56, v0, v2
	v_mul_f32_e32 v0, v73, v79
	v_add_f32_e32 v54, v1, v54
	v_fma_f32 v0, v72, v78, -v0
	v_mul_f32_e32 v1, v72, v79
	v_add_f32_e32 v9, v64, v9
	v_fmac_f32_e32 v1, v73, v78
	v_add_f32_e32 v8, v8, v0
	v_mul_f32_e32 v0, v73, v81
	v_add_f32_e32 v9, v9, v1
	v_fma_f32 v58, v72, v80, -v0
	ds_read2_b64 v[0:3], v63 offset0:192 offset1:208
	ds_read_b128 v[74:77], v53 offset:4272
	v_add_f32_e32 v58, v10, v58
	v_mul_f32_e32 v60, v72, v81
	v_fmac_f32_e32 v60, v73, v80
	s_waitcnt lgkmcnt(1)
	v_mul_f32_e32 v10, v5, v1
	v_fma_f32 v10, v4, v0, -v10
	v_add_f32_e32 v27, v27, v10
	v_mul_f32_e32 v10, v5, v3
	v_add_f32_e32 v60, v11, v60
	v_mul_f32_e32 v11, v4, v1
	v_fma_f32 v10, v4, v2, -v10
	v_mul_f32_e32 v4, v4, v3
	v_fmac_f32_e32 v11, v5, v0
	v_fmac_f32_e32 v4, v5, v2
	v_add_f32_e32 v5, v54, v10
	s_waitcnt lgkmcnt(0)
	v_mul_f32_e32 v10, v75, v1
	v_fma_f32 v10, v74, v0, -v10
	v_mul_f32_e32 v1, v74, v1
	v_fmac_f32_e32 v1, v75, v0
	v_add_f32_e32 v0, v8, v10
	v_mul_f32_e32 v8, v75, v3
	v_add_f32_e32 v52, v52, v11
	v_add_f32_e32 v1, v9, v1
	v_fma_f32 v54, v74, v2, -v8
	ds_read2_b64 v[8:11], v63 offset0:224 offset1:240
	v_mul_f32_e32 v3, v74, v3
	v_fmac_f32_e32 v3, v75, v2
	v_add_f32_e32 v4, v56, v4
	v_add_f32_e32 v56, v60, v3
	s_waitcnt lgkmcnt(0)
	v_mul_f32_e32 v2, v7, v9
	v_fma_f32 v2, v6, v8, -v2
	v_mul_f32_e32 v3, v6, v9
	v_fmac_f32_e32 v3, v7, v8
	v_add_f32_e32 v27, v27, v2
	v_mul_f32_e32 v2, v7, v11
	v_add_f32_e32 v52, v52, v3
	v_fma_f32 v2, v6, v10, -v2
	v_mul_f32_e32 v3, v6, v11
	v_add_f32_e32 v54, v58, v54
	v_fmac_f32_e32 v3, v7, v10
	v_add_f32_e32 v58, v5, v2
	v_mul_f32_e32 v2, v77, v9
	v_add_f32_e32 v60, v4, v3
	v_fma_f32 v2, v76, v8, -v2
	v_mul_f32_e32 v3, v76, v9
	v_fmac_f32_e32 v3, v77, v8
	v_add_f32_e32 v62, v0, v2
	v_mul_f32_e32 v0, v77, v11
	v_add_f32_e32 v64, v1, v3
	v_fma_f32 v8, v76, v10, -v0
	ds_read_b128 v[0:3], v53 offset:192
	ds_read2_b64 v[4:7], v65 offset1:16
	v_mul_f32_e32 v9, v76, v11
	v_fmac_f32_e32 v9, v77, v10
	v_add_f32_e32 v54, v54, v8
	v_add_f32_e32 v56, v56, v9
	ds_read_b128 v[8:11], v53 offset:208
	ds_read_b128 v[70:73], v53 offset:4288
	s_waitcnt lgkmcnt(2)
	v_mul_f32_e32 v66, v1, v5
	v_fma_f32 v66, v0, v4, -v66
	v_add_f32_e32 v27, v27, v66
	v_mul_f32_e32 v66, v1, v7
	v_mul_f32_e32 v67, v0, v5
	v_fma_f32 v66, v0, v6, -v66
	v_mul_f32_e32 v0, v0, v7
	ds_read2_b64 v[78:81], v65 offset0:32 offset1:48
	v_fmac_f32_e32 v67, v1, v4
	v_fmac_f32_e32 v0, v1, v6
	v_add_f32_e32 v1, v58, v66
	s_waitcnt lgkmcnt(1)
	v_mul_f32_e32 v58, v71, v5
	v_fma_f32 v58, v70, v4, -v58
	v_mul_f32_e32 v5, v70, v5
	v_fmac_f32_e32 v5, v71, v4
	v_add_f32_e32 v4, v62, v58
	v_mul_f32_e32 v58, v71, v7
	v_fma_f32 v58, v70, v6, -v58
	v_mul_f32_e32 v7, v70, v7
	v_fmac_f32_e32 v7, v71, v6
	v_add_f32_e32 v6, v54, v58
	s_waitcnt lgkmcnt(0)
	v_mul_f32_e32 v54, v3, v79
	v_fma_f32 v54, v2, v78, -v54
	v_add_f32_e32 v27, v27, v54
	v_mul_f32_e32 v54, v3, v81
	v_add_f32_e32 v7, v56, v7
	v_mul_f32_e32 v56, v2, v79
	v_fma_f32 v54, v2, v80, -v54
	v_mul_f32_e32 v2, v2, v81
	v_add_f32_e32 v52, v52, v67
	v_add_f32_e32 v0, v60, v0
	v_fmac_f32_e32 v56, v3, v78
	v_fmac_f32_e32 v2, v3, v80
	v_add_f32_e32 v52, v52, v56
	v_add_f32_e32 v56, v0, v2
	v_mul_f32_e32 v0, v73, v79
	v_add_f32_e32 v54, v1, v54
	v_fma_f32 v0, v72, v78, -v0
	v_mul_f32_e32 v1, v72, v79
	v_add_f32_e32 v5, v64, v5
	v_fmac_f32_e32 v1, v73, v78
	v_add_f32_e32 v4, v4, v0
	v_mul_f32_e32 v0, v73, v81
	v_add_f32_e32 v5, v5, v1
	v_fma_f32 v58, v72, v80, -v0
	ds_read2_b64 v[0:3], v65 offset0:64 offset1:80
	ds_read_b128 v[74:77], v53 offset:4304
	v_mul_f32_e32 v60, v72, v81
	v_add_f32_e32 v58, v6, v58
	v_fmac_f32_e32 v60, v73, v80
	s_waitcnt lgkmcnt(1)
	v_mul_f32_e32 v6, v9, v1
	v_fma_f32 v6, v8, v0, -v6
	v_add_f32_e32 v60, v7, v60
	v_mul_f32_e32 v7, v8, v1
	v_add_f32_e32 v27, v27, v6
	v_mul_f32_e32 v6, v9, v3
	v_fmac_f32_e32 v7, v9, v0
	v_fma_f32 v6, v8, v2, -v6
	v_add_f32_e32 v52, v52, v7
	v_mul_f32_e32 v7, v8, v3
	v_add_f32_e32 v8, v54, v6
	s_waitcnt lgkmcnt(0)
	v_mul_f32_e32 v6, v75, v1
	v_fma_f32 v6, v74, v0, -v6
	v_mul_f32_e32 v1, v74, v1
	v_fmac_f32_e32 v7, v9, v2
	v_fmac_f32_e32 v1, v75, v0
	v_add_f32_e32 v0, v4, v6
	v_mul_f32_e32 v4, v75, v3
	v_add_f32_e32 v9, v56, v7
	v_add_f32_e32 v1, v5, v1
	v_fma_f32 v54, v74, v2, -v4
	ds_read2_b64 v[4:7], v65 offset0:96 offset1:112
	v_mul_f32_e32 v3, v74, v3
	v_fmac_f32_e32 v3, v75, v2
	v_add_f32_e32 v56, v60, v3
	v_add_f32_e32 v54, v58, v54
	s_waitcnt lgkmcnt(0)
	v_mul_f32_e32 v2, v11, v5
	v_fma_f32 v2, v10, v4, -v2
	v_mul_f32_e32 v3, v10, v5
	v_fmac_f32_e32 v3, v11, v4
	v_add_f32_e32 v27, v27, v2
	v_mul_f32_e32 v2, v11, v7
	v_add_f32_e32 v52, v52, v3
	v_fma_f32 v2, v10, v6, -v2
	v_mul_f32_e32 v3, v10, v7
	v_fmac_f32_e32 v3, v11, v6
	v_add_f32_e32 v58, v8, v2
	v_mul_f32_e32 v2, v77, v5
	v_add_f32_e32 v60, v9, v3
	;; [unrolled: 6-line block ×3, first 2 shown]
	v_fma_f32 v4, v76, v6, -v0
	ds_read_b128 v[0:3], v53 offset:224
	ds_read2_b64 v[8:11], v65 offset0:128 offset1:144
	v_mul_f32_e32 v5, v76, v7
	v_fmac_f32_e32 v5, v77, v6
	v_add_f32_e32 v54, v54, v4
	v_add_f32_e32 v56, v56, v5
	ds_read_b128 v[4:7], v53 offset:240
	ds_read_b128 v[70:73], v53 offset:4320
	s_waitcnt lgkmcnt(2)
	v_mul_f32_e32 v66, v1, v9
	v_fma_f32 v66, v0, v8, -v66
	v_add_f32_e32 v27, v27, v66
	v_mul_f32_e32 v66, v1, v11
	v_mul_f32_e32 v67, v0, v9
	v_fma_f32 v66, v0, v10, -v66
	v_mul_f32_e32 v0, v0, v11
	ds_read2_b64 v[78:81], v65 offset0:160 offset1:176
	v_fmac_f32_e32 v67, v1, v8
	v_fmac_f32_e32 v0, v1, v10
	v_add_f32_e32 v1, v58, v66
	s_waitcnt lgkmcnt(1)
	v_mul_f32_e32 v58, v71, v9
	v_fma_f32 v58, v70, v8, -v58
	v_mul_f32_e32 v9, v70, v9
	v_fmac_f32_e32 v9, v71, v8
	v_add_f32_e32 v8, v62, v58
	v_mul_f32_e32 v58, v71, v11
	v_fma_f32 v58, v70, v10, -v58
	v_mul_f32_e32 v11, v70, v11
	v_fmac_f32_e32 v11, v71, v10
	v_add_f32_e32 v10, v54, v58
	s_waitcnt lgkmcnt(0)
	v_mul_f32_e32 v54, v3, v79
	v_fma_f32 v54, v2, v78, -v54
	v_add_f32_e32 v27, v27, v54
	v_mul_f32_e32 v54, v3, v81
	v_add_f32_e32 v11, v56, v11
	v_mul_f32_e32 v56, v2, v79
	v_fma_f32 v54, v2, v80, -v54
	v_mul_f32_e32 v2, v2, v81
	v_add_f32_e32 v52, v52, v67
	v_add_f32_e32 v0, v60, v0
	v_fmac_f32_e32 v56, v3, v78
	v_fmac_f32_e32 v2, v3, v80
	v_add_f32_e32 v52, v52, v56
	v_add_f32_e32 v56, v0, v2
	v_mul_f32_e32 v0, v73, v79
	v_add_f32_e32 v54, v1, v54
	v_fma_f32 v0, v72, v78, -v0
	v_mul_f32_e32 v1, v72, v79
	v_add_f32_e32 v9, v64, v9
	v_fmac_f32_e32 v1, v73, v78
	v_add_f32_e32 v8, v8, v0
	v_mul_f32_e32 v0, v73, v81
	v_add_f32_e32 v9, v9, v1
	v_fma_f32 v58, v72, v80, -v0
	ds_read2_b64 v[0:3], v65 offset0:192 offset1:208
	ds_read_b128 v[74:77], v53 offset:4336
	v_add_f32_e32 v58, v10, v58
	v_mul_f32_e32 v60, v72, v81
	v_fmac_f32_e32 v60, v73, v80
	s_waitcnt lgkmcnt(1)
	v_mul_f32_e32 v10, v5, v1
	v_fma_f32 v10, v4, v0, -v10
	v_add_f32_e32 v27, v27, v10
	v_mul_f32_e32 v10, v5, v3
	v_add_f32_e32 v60, v11, v60
	v_mul_f32_e32 v11, v4, v1
	v_fma_f32 v10, v4, v2, -v10
	v_mul_f32_e32 v4, v4, v3
	v_fmac_f32_e32 v11, v5, v0
	v_fmac_f32_e32 v4, v5, v2
	v_add_f32_e32 v5, v54, v10
	s_waitcnt lgkmcnt(0)
	v_mul_f32_e32 v10, v75, v1
	v_fma_f32 v10, v74, v0, -v10
	v_mul_f32_e32 v1, v74, v1
	v_fmac_f32_e32 v1, v75, v0
	v_add_f32_e32 v0, v8, v10
	v_mul_f32_e32 v8, v75, v3
	v_add_f32_e32 v52, v52, v11
	v_add_f32_e32 v1, v9, v1
	v_fma_f32 v54, v74, v2, -v8
	ds_read2_b64 v[8:11], v65 offset0:224 offset1:240
	v_mul_f32_e32 v3, v74, v3
	v_fmac_f32_e32 v3, v75, v2
	v_add_f32_e32 v2, v58, v54
	v_add_f32_e32 v4, v56, v4
	s_waitcnt lgkmcnt(0)
	v_mul_f32_e32 v54, v7, v9
	v_fma_f32 v54, v6, v8, -v54
	v_add_f32_e32 v64, v27, v54
	v_mul_f32_e32 v27, v7, v11
	v_mul_f32_e32 v56, v6, v9
	v_fma_f32 v27, v6, v10, -v27
	v_mul_f32_e32 v6, v6, v11
	v_fmac_f32_e32 v6, v7, v10
	v_add_f32_e32 v3, v60, v3
	v_add_f32_e32 v60, v5, v27
	;; [unrolled: 1-line block ×3, first 2 shown]
	v_mul_f32_e32 v4, v77, v9
	v_mul_f32_e32 v5, v76, v9
	v_fmac_f32_e32 v56, v7, v8
	v_fma_f32 v4, v76, v8, -v4
	v_fmac_f32_e32 v5, v77, v8
	v_add_f32_e32 v66, v52, v56
	v_add_f32_e32 v56, v0, v4
	;; [unrolled: 1-line block ×3, first 2 shown]
	v_mul_f32_e32 v0, v77, v11
	v_mul_f32_e32 v1, v76, v11
	s_add_u32 s46, s46, 32
	v_fma_f32 v0, v76, v10, -v0
	v_fmac_f32_e32 v1, v77, v10
	s_addc_u32 s47, s47, 0
	s_sub_i32 s4, s46, 32
	v_add_f32_e32 v54, v2, v0
	v_add_f32_e32 v52, v3, v1
	v_lshl_add_u64 v[40:41], v[40:41], 0, s[26:27]
	v_lshl_add_u64 v[50:51], v[50:51], 0, s[42:43]
	s_cmp_ge_i32 s4, s55
	v_lshl_add_u64 v[42:43], v[42:43], 0, s[26:27]
	s_barrier
	s_cbranch_scc1 .LBB86_51
.LBB86_7:                               ;   Parent Loop BB86_4 Depth=1
                                        ; =>  This Inner Loop Header: Depth=2
	v_lshl_add_u64 v[0:1], v[14:15], 0, s[46:47]
	v_cmp_eq_u64_e64 s[4:5], s[46:47], v[38:39]
	v_cmp_gt_i64_e64 s[10:11], v[0:1], v[36:37]
	s_and_b64 s[50:51], s[30:31], s[4:5]
	s_or_b64 s[4:5], s[6:7], s[10:11]
	v_cmp_le_i64_e64 s[12:13], s[38:39], v[0:1]
	s_or_b64 s[4:5], s[4:5], s[50:51]
	v_lshl_add_u64 v[2:3], v[42:43], 0, v[20:21]
	s_nor_b64 s[4:5], s[12:13], s[4:5]
	s_and_saveexec_b64 s[14:15], s[4:5]
	s_xor_b64 s[4:5], exec, s[14:15]
	s_cbranch_execz .LBB86_9
; %bb.8:                                ;   in Loop: Header=BB86_7 Depth=2
	global_load_dwordx2 v[4:5], v[2:3], off
	s_waitcnt vmcnt(0)
	ds_write_b64 v55, v[4:5]
.LBB86_9:                               ;   in Loop: Header=BB86_7 Depth=2
	s_or_saveexec_b64 s[4:5], s[4:5]
	s_xor_b64 s[48:49], s[50:51], -1
	s_xor_b64 exec, exec, s[4:5]
	s_cbranch_execz .LBB86_15
; %bb.10:                               ;   in Loop: Header=BB86_7 Depth=2
	s_and_saveexec_b64 s[14:15], s[48:49]
	s_xor_b64 s[14:15], exec, s[14:15]
; %bb.11:                               ;   in Loop: Header=BB86_7 Depth=2
	ds_write_b64 v55, v[68:69]
; %bb.12:                               ;   in Loop: Header=BB86_7 Depth=2
	s_andn2_saveexec_b64 s[14:15], s[14:15]
; %bb.13:                               ;   in Loop: Header=BB86_7 Depth=2
	ds_write_b64 v55, v[34:35]
; %bb.14:                               ;   in Loop: Header=BB86_7 Depth=2
	s_or_b64 exec, exec, s[14:15]
.LBB86_15:                              ;   in Loop: Header=BB86_7 Depth=2
	s_or_b64 exec, exec, s[4:5]
	v_lshl_add_u64 v[4:5], v[0:1], 0, 16
	v_cmp_eq_u64_e64 s[4:5], s[46:47], v[48:49]
	s_and_b64 s[52:53], s[30:31], s[4:5]
	v_cmp_gt_i64_e64 s[4:5], v[4:5], v[36:37]
	s_or_b64 s[4:5], s[6:7], s[4:5]
	v_cmp_le_i64_e64 s[14:15], s[38:39], v[4:5]
	s_or_b64 s[4:5], s[4:5], s[52:53]
	s_nor_b64 s[4:5], s[14:15], s[4:5]
	s_and_saveexec_b64 s[56:57], s[4:5]
	s_xor_b64 s[4:5], exec, s[56:57]
	s_cbranch_execz .LBB86_17
; %bb.16:                               ;   in Loop: Header=BB86_7 Depth=2
	global_load_dwordx2 v[2:3], v[2:3], off offset:128
	s_waitcnt vmcnt(0)
	ds_write_b64 v55, v[2:3] offset:128
.LBB86_17:                              ;   in Loop: Header=BB86_7 Depth=2
	s_andn2_saveexec_b64 s[4:5], s[4:5]
	s_cbranch_execz .LBB86_23
; %bb.18:                               ;   in Loop: Header=BB86_7 Depth=2
	s_xor_b64 s[52:53], s[52:53], -1
	s_and_saveexec_b64 s[56:57], s[52:53]
	s_xor_b64 s[52:53], exec, s[56:57]
; %bb.19:                               ;   in Loop: Header=BB86_7 Depth=2
	ds_write_b64 v55, v[68:69] offset:128
; %bb.20:                               ;   in Loop: Header=BB86_7 Depth=2
	s_andn2_saveexec_b64 s[52:53], s[52:53]
; %bb.21:                               ;   in Loop: Header=BB86_7 Depth=2
	ds_write_b64 v55, v[34:35] offset:128
; %bb.22:                               ;   in Loop: Header=BB86_7 Depth=2
	s_or_b64 exec, exec, s[52:53]
.LBB86_23:                              ;   in Loop: Header=BB86_7 Depth=2
	s_or_b64 exec, exec, s[4:5]
	v_cmp_eq_u64_e64 s[4:5], s[46:47], v[46:47]
	s_and_b64 s[52:53], s[30:31], s[4:5]
	v_cmp_gt_i64_e64 s[4:5], v[0:1], v[44:45]
	s_or_b64 s[4:5], s[8:9], s[4:5]
	s_or_b64 s[4:5], s[4:5], s[52:53]
	v_lshl_add_u64 v[2:3], v[40:41], 0, v[20:21]
	s_nor_b64 s[4:5], s[12:13], s[4:5]
	s_and_saveexec_b64 s[12:13], s[4:5]
	s_xor_b64 s[4:5], exec, s[12:13]
	s_cbranch_execz .LBB86_25
; %bb.24:                               ;   in Loop: Header=BB86_7 Depth=2
	global_load_dwordx2 v[0:1], v[2:3], off
	s_waitcnt vmcnt(0)
	ds_write_b64 v55, v[0:1] offset:4096
.LBB86_25:                              ;   in Loop: Header=BB86_7 Depth=2
	s_andn2_saveexec_b64 s[4:5], s[4:5]
	s_cbranch_execz .LBB86_31
; %bb.26:                               ;   in Loop: Header=BB86_7 Depth=2
	s_xor_b64 s[12:13], s[52:53], -1
	s_and_saveexec_b64 s[52:53], s[12:13]
	s_xor_b64 s[12:13], exec, s[52:53]
; %bb.27:                               ;   in Loop: Header=BB86_7 Depth=2
	ds_write_b64 v55, v[68:69] offset:4096
; %bb.28:                               ;   in Loop: Header=BB86_7 Depth=2
	s_andn2_saveexec_b64 s[12:13], s[12:13]
; %bb.29:                               ;   in Loop: Header=BB86_7 Depth=2
	ds_write_b64 v55, v[34:35] offset:4096
; %bb.30:                               ;   in Loop: Header=BB86_7 Depth=2
	s_or_b64 exec, exec, s[12:13]
.LBB86_31:                              ;   in Loop: Header=BB86_7 Depth=2
	s_or_b64 exec, exec, s[4:5]
	s_or_b64 s[4:5], s[8:9], s[10:11]
	s_or_b64 s[4:5], s[4:5], s[50:51]
	s_nor_b64 s[4:5], s[14:15], s[4:5]
	s_and_saveexec_b64 s[10:11], s[4:5]
	s_xor_b64 s[4:5], exec, s[10:11]
	s_cbranch_execz .LBB86_33
; %bb.32:                               ;   in Loop: Header=BB86_7 Depth=2
	global_load_dwordx2 v[0:1], v[2:3], off offset:128
	s_waitcnt vmcnt(0)
	ds_write_b64 v55, v[0:1] offset:4224
.LBB86_33:                              ;   in Loop: Header=BB86_7 Depth=2
	s_andn2_saveexec_b64 s[4:5], s[4:5]
	s_cbranch_execz .LBB86_39
; %bb.34:                               ;   in Loop: Header=BB86_7 Depth=2
	s_and_saveexec_b64 s[10:11], s[48:49]
	s_xor_b64 s[10:11], exec, s[10:11]
; %bb.35:                               ;   in Loop: Header=BB86_7 Depth=2
	ds_write_b64 v55, v[68:69] offset:4224
; %bb.36:                               ;   in Loop: Header=BB86_7 Depth=2
	s_andn2_saveexec_b64 s[10:11], s[10:11]
; %bb.37:                               ;   in Loop: Header=BB86_7 Depth=2
	ds_write_b64 v55, v[34:35] offset:4224
; %bb.38:                               ;   in Loop: Header=BB86_7 Depth=2
	s_or_b64 exec, exec, s[10:11]
.LBB86_39:                              ;   in Loop: Header=BB86_7 Depth=2
	s_or_b64 exec, exec, s[4:5]
	v_lshl_add_u64 v[0:1], v[12:13], 0, s[46:47]
	v_cmp_le_i64_e64 s[10:11], s[38:39], v[0:1]
	v_lshl_add_u64 v[2:3], v[50:51], 0, v[30:31]
	s_nor_b64 s[12:13], s[10:11], vcc
	v_mov_b64_e32 v[4:5], 0
	s_and_saveexec_b64 s[4:5], s[12:13]
	s_cbranch_execz .LBB86_41
; %bb.40:                               ;   in Loop: Header=BB86_7 Depth=2
	global_load_dwordx2 v[4:5], v[2:3], off offset:-128
.LBB86_41:                              ;   in Loop: Header=BB86_7 Depth=2
	s_or_b64 exec, exec, s[4:5]
	s_nor_b64 s[4:5], s[10:11], s[0:1]
	s_waitcnt vmcnt(0)
	ds_write_b64 v59, v[4:5]
	s_and_saveexec_b64 s[10:11], s[4:5]
	s_xor_b64 s[4:5], exec, s[10:11]
	s_cbranch_execz .LBB86_43
; %bb.42:                               ;   in Loop: Header=BB86_7 Depth=2
	global_load_dwordx2 v[2:3], v[2:3], off
	s_waitcnt vmcnt(0)
	ds_write_b64 v59, v[2:3] offset:128
.LBB86_43:                              ;   in Loop: Header=BB86_7 Depth=2
	s_andn2_saveexec_b64 s[4:5], s[4:5]
; %bb.44:                               ;   in Loop: Header=BB86_7 Depth=2
	ds_write_b64 v59, v[68:69] offset:128
; %bb.45:                               ;   in Loop: Header=BB86_7 Depth=2
	s_or_b64 exec, exec, s[4:5]
	v_cmp_le_i64_e64 s[10:11], s[44:45], v[0:1]
	v_lshl_add_u64 v[0:1], v[50:51], 0, v[32:33]
	s_nor_b64 s[12:13], s[10:11], vcc
	v_mov_b64_e32 v[2:3], 0
	s_and_saveexec_b64 s[4:5], s[12:13]
	s_cbranch_execz .LBB86_47
; %bb.46:                               ;   in Loop: Header=BB86_7 Depth=2
	global_load_dwordx2 v[2:3], v[0:1], off
.LBB86_47:                              ;   in Loop: Header=BB86_7 Depth=2
	s_or_b64 exec, exec, s[4:5]
	s_nor_b64 s[4:5], s[10:11], s[0:1]
	s_waitcnt vmcnt(0)
	ds_write_b64 v59, v[2:3] offset:4096
	s_and_saveexec_b64 s[10:11], s[4:5]
	s_xor_b64 s[4:5], exec, s[10:11]
	s_cbranch_execz .LBB86_49
; %bb.48:                               ;   in Loop: Header=BB86_7 Depth=2
	global_load_dwordx2 v[0:1], v[0:1], off offset:128
	s_waitcnt vmcnt(0)
	ds_write_b64 v59, v[0:1] offset:4224
.LBB86_49:                              ;   in Loop: Header=BB86_7 Depth=2
	s_andn2_saveexec_b64 s[4:5], s[4:5]
	s_cbranch_execz .LBB86_6
; %bb.50:                               ;   in Loop: Header=BB86_7 Depth=2
	ds_write_b64 v59, v[68:69] offset:4224
	s_branch .LBB86_6
.LBB86_51:                              ;   in Loop: Header=BB86_4 Depth=1
	v_mul_lo_u32 v2, s41, v36
	v_mul_lo_u32 v3, s40, v37
	v_mad_u64_u32 v[0:1], s[4:5], s40, v36, 0
	v_cmp_gt_i32_e64 s[6:7], s38, v36
	v_add3_u32 v1, v1, v3, v2
	v_lshl_add_u64 v[0:1], v[0:1], 3, s[28:29]
	s_and_b64 s[8:9], s[16:17], s[6:7]
	s_and_saveexec_b64 s[4:5], s[8:9]
	s_cbranch_execz .LBB86_53
; %bb.52:                               ;   in Loop: Header=BB86_4 Depth=1
	v_lshl_add_u64 v[2:3], v[16:17], 3, v[0:1]
	global_load_dwordx2 v[4:5], v[2:3], off
	v_pk_mul_f32 v[6:7], v[66:67], s[36:37] op_sel_hi:[0,1]
	v_pk_fma_f32 v[8:9], v[64:65], s[34:35], v[6:7] neg_lo:[0,0,1] neg_hi:[0,0,1]
	v_pk_fma_f32 v[6:7], v[64:65], s[34:35], v[6:7] op_sel_hi:[0,1,1]
	v_mov_b32_e32 v9, v7
	s_waitcnt vmcnt(0)
	v_pk_add_f32 v[4:5], v[4:5], v[8:9]
	global_store_dwordx2 v[2:3], v[4:5], off
.LBB86_53:                              ;   in Loop: Header=BB86_4 Depth=1
	s_or_b64 exec, exec, s[4:5]
	s_and_b64 s[6:7], s[18:19], s[6:7]
	s_and_saveexec_b64 s[4:5], s[6:7]
	s_cbranch_execz .LBB86_55
; %bb.54:                               ;   in Loop: Header=BB86_4 Depth=1
	v_lshl_add_u64 v[0:1], v[22:23], 3, v[0:1]
	global_load_dwordx2 v[2:3], v[0:1], off
	v_pk_mul_f32 v[4:5], v[62:63], s[36:37] op_sel_hi:[0,1]
	v_pk_fma_f32 v[6:7], v[60:61], s[34:35], v[4:5] neg_lo:[0,0,1] neg_hi:[0,0,1]
	v_pk_fma_f32 v[4:5], v[60:61], s[34:35], v[4:5] op_sel_hi:[0,1,1]
	v_mov_b32_e32 v7, v5
	s_waitcnt vmcnt(0)
	v_pk_add_f32 v[2:3], v[2:3], v[6:7]
	global_store_dwordx2 v[0:1], v[2:3], off
.LBB86_55:                              ;   in Loop: Header=BB86_4 Depth=1
	s_or_b64 exec, exec, s[4:5]
	v_add_u32_e32 v0, 16, v36
	v_ashrrev_i32_e32 v1, 31, v0
	v_cmp_gt_i32_e64 s[6:7], s38, v0
	v_mul_lo_u32 v2, s40, v1
	v_mul_lo_u32 v3, s41, v0
	v_mad_u64_u32 v[0:1], s[4:5], s40, v0, 0
	v_add3_u32 v1, v1, v2, v3
	v_lshl_add_u64 v[0:1], v[0:1], 3, s[28:29]
	s_and_b64 s[8:9], s[16:17], s[6:7]
	s_and_saveexec_b64 s[4:5], s[8:9]
	s_cbranch_execz .LBB86_57
; %bb.56:                               ;   in Loop: Header=BB86_4 Depth=1
	v_lshl_add_u64 v[2:3], v[16:17], 3, v[0:1]
	global_load_dwordx2 v[4:5], v[2:3], off
	v_pk_mul_f32 v[6:7], v[58:59], s[36:37] op_sel_hi:[0,1]
	v_pk_fma_f32 v[8:9], v[56:57], s[34:35], v[6:7] neg_lo:[0,0,1] neg_hi:[0,0,1]
	v_pk_fma_f32 v[6:7], v[56:57], s[34:35], v[6:7] op_sel_hi:[0,1,1]
	v_mov_b32_e32 v9, v7
	s_waitcnt vmcnt(0)
	v_pk_add_f32 v[4:5], v[4:5], v[8:9]
	global_store_dwordx2 v[2:3], v[4:5], off
.LBB86_57:                              ;   in Loop: Header=BB86_4 Depth=1
	s_or_b64 exec, exec, s[4:5]
	s_and_b64 s[6:7], s[18:19], s[6:7]
	s_and_saveexec_b64 s[4:5], s[6:7]
	s_cbranch_execz .LBB86_3
; %bb.58:                               ;   in Loop: Header=BB86_4 Depth=1
	v_lshl_add_u64 v[0:1], v[22:23], 3, v[0:1]
	global_load_dwordx2 v[2:3], v[0:1], off
	v_pk_mul_f32 v[4:5], v[52:53], s[36:37] op_sel_hi:[0,1]
	v_pk_fma_f32 v[6:7], v[54:55], s[34:35], v[4:5] neg_lo:[0,0,1] neg_hi:[0,0,1]
	v_pk_fma_f32 v[4:5], v[54:55], s[34:35], v[4:5] op_sel_hi:[0,1,1]
	v_mov_b32_e32 v7, v5
	s_waitcnt vmcnt(0)
	v_pk_add_f32 v[2:3], v[2:3], v[6:7]
	global_store_dwordx2 v[0:1], v[2:3], off
	s_branch .LBB86_3
.LBB86_59:
	s_endpgm
	.section	.rodata,"a",@progbits
	.p2align	6, 0x0
	.amdhsa_kernel _ZL30rocblas_trmm_outofplace_kernelI19rocblas_complex_numIfELi32ELi2ELb0ELb1ELb0ELb0EPKS1_S2_S1_Ev17rocblas_diagonal_iiT6_lPT7_lllS7_lllPT8_llli
		.amdhsa_group_segment_fixed_size 16384
		.amdhsa_private_segment_fixed_size 0
		.amdhsa_kernarg_size 392
		.amdhsa_user_sgpr_count 2
		.amdhsa_user_sgpr_dispatch_ptr 0
		.amdhsa_user_sgpr_queue_ptr 0
		.amdhsa_user_sgpr_kernarg_segment_ptr 1
		.amdhsa_user_sgpr_dispatch_id 0
		.amdhsa_user_sgpr_kernarg_preload_length 0
		.amdhsa_user_sgpr_kernarg_preload_offset 0
		.amdhsa_user_sgpr_private_segment_size 0
		.amdhsa_uses_dynamic_stack 0
		.amdhsa_enable_private_segment 0
		.amdhsa_system_sgpr_workgroup_id_x 1
		.amdhsa_system_sgpr_workgroup_id_y 1
		.amdhsa_system_sgpr_workgroup_id_z 1
		.amdhsa_system_sgpr_workgroup_info 0
		.amdhsa_system_vgpr_workitem_id 1
		.amdhsa_next_free_vgpr 90
		.amdhsa_next_free_sgpr 58
		.amdhsa_accum_offset 92
		.amdhsa_reserve_vcc 1
		.amdhsa_float_round_mode_32 0
		.amdhsa_float_round_mode_16_64 0
		.amdhsa_float_denorm_mode_32 3
		.amdhsa_float_denorm_mode_16_64 3
		.amdhsa_dx10_clamp 1
		.amdhsa_ieee_mode 1
		.amdhsa_fp16_overflow 0
		.amdhsa_tg_split 0
		.amdhsa_exception_fp_ieee_invalid_op 0
		.amdhsa_exception_fp_denorm_src 0
		.amdhsa_exception_fp_ieee_div_zero 0
		.amdhsa_exception_fp_ieee_overflow 0
		.amdhsa_exception_fp_ieee_underflow 0
		.amdhsa_exception_fp_ieee_inexact 0
		.amdhsa_exception_int_div_zero 0
	.end_amdhsa_kernel
	.section	.text._ZL30rocblas_trmm_outofplace_kernelI19rocblas_complex_numIfELi32ELi2ELb0ELb1ELb0ELb0EPKS1_S2_S1_Ev17rocblas_diagonal_iiT6_lPT7_lllS7_lllPT8_llli,"axG",@progbits,_ZL30rocblas_trmm_outofplace_kernelI19rocblas_complex_numIfELi32ELi2ELb0ELb1ELb0ELb0EPKS1_S2_S1_Ev17rocblas_diagonal_iiT6_lPT7_lllS7_lllPT8_llli,comdat
.Lfunc_end86:
	.size	_ZL30rocblas_trmm_outofplace_kernelI19rocblas_complex_numIfELi32ELi2ELb0ELb1ELb0ELb0EPKS1_S2_S1_Ev17rocblas_diagonal_iiT6_lPT7_lllS7_lllPT8_llli, .Lfunc_end86-_ZL30rocblas_trmm_outofplace_kernelI19rocblas_complex_numIfELi32ELi2ELb0ELb1ELb0ELb0EPKS1_S2_S1_Ev17rocblas_diagonal_iiT6_lPT7_lllS7_lllPT8_llli
                                        ; -- End function
	.set _ZL30rocblas_trmm_outofplace_kernelI19rocblas_complex_numIfELi32ELi2ELb0ELb1ELb0ELb0EPKS1_S2_S1_Ev17rocblas_diagonal_iiT6_lPT7_lllS7_lllPT8_llli.num_vgpr, 90
	.set _ZL30rocblas_trmm_outofplace_kernelI19rocblas_complex_numIfELi32ELi2ELb0ELb1ELb0ELb0EPKS1_S2_S1_Ev17rocblas_diagonal_iiT6_lPT7_lllS7_lllPT8_llli.num_agpr, 0
	.set _ZL30rocblas_trmm_outofplace_kernelI19rocblas_complex_numIfELi32ELi2ELb0ELb1ELb0ELb0EPKS1_S2_S1_Ev17rocblas_diagonal_iiT6_lPT7_lllS7_lllPT8_llli.numbered_sgpr, 58
	.set _ZL30rocblas_trmm_outofplace_kernelI19rocblas_complex_numIfELi32ELi2ELb0ELb1ELb0ELb0EPKS1_S2_S1_Ev17rocblas_diagonal_iiT6_lPT7_lllS7_lllPT8_llli.num_named_barrier, 0
	.set _ZL30rocblas_trmm_outofplace_kernelI19rocblas_complex_numIfELi32ELi2ELb0ELb1ELb0ELb0EPKS1_S2_S1_Ev17rocblas_diagonal_iiT6_lPT7_lllS7_lllPT8_llli.private_seg_size, 0
	.set _ZL30rocblas_trmm_outofplace_kernelI19rocblas_complex_numIfELi32ELi2ELb0ELb1ELb0ELb0EPKS1_S2_S1_Ev17rocblas_diagonal_iiT6_lPT7_lllS7_lllPT8_llli.uses_vcc, 1
	.set _ZL30rocblas_trmm_outofplace_kernelI19rocblas_complex_numIfELi32ELi2ELb0ELb1ELb0ELb0EPKS1_S2_S1_Ev17rocblas_diagonal_iiT6_lPT7_lllS7_lllPT8_llli.uses_flat_scratch, 0
	.set _ZL30rocblas_trmm_outofplace_kernelI19rocblas_complex_numIfELi32ELi2ELb0ELb1ELb0ELb0EPKS1_S2_S1_Ev17rocblas_diagonal_iiT6_lPT7_lllS7_lllPT8_llli.has_dyn_sized_stack, 0
	.set _ZL30rocblas_trmm_outofplace_kernelI19rocblas_complex_numIfELi32ELi2ELb0ELb1ELb0ELb0EPKS1_S2_S1_Ev17rocblas_diagonal_iiT6_lPT7_lllS7_lllPT8_llli.has_recursion, 0
	.set _ZL30rocblas_trmm_outofplace_kernelI19rocblas_complex_numIfELi32ELi2ELb0ELb1ELb0ELb0EPKS1_S2_S1_Ev17rocblas_diagonal_iiT6_lPT7_lllS7_lllPT8_llli.has_indirect_call, 0
	.section	.AMDGPU.csdata,"",@progbits
; Kernel info:
; codeLenInByte = 6296
; TotalNumSgprs: 64
; NumVgprs: 90
; NumAgprs: 0
; TotalNumVgprs: 90
; ScratchSize: 0
; MemoryBound: 1
; FloatMode: 240
; IeeeMode: 1
; LDSByteSize: 16384 bytes/workgroup (compile time only)
; SGPRBlocks: 7
; VGPRBlocks: 11
; NumSGPRsForWavesPerEU: 64
; NumVGPRsForWavesPerEU: 90
; AccumOffset: 92
; Occupancy: 5
; WaveLimiterHint : 0
; COMPUTE_PGM_RSRC2:SCRATCH_EN: 0
; COMPUTE_PGM_RSRC2:USER_SGPR: 2
; COMPUTE_PGM_RSRC2:TRAP_HANDLER: 0
; COMPUTE_PGM_RSRC2:TGID_X_EN: 1
; COMPUTE_PGM_RSRC2:TGID_Y_EN: 1
; COMPUTE_PGM_RSRC2:TGID_Z_EN: 1
; COMPUTE_PGM_RSRC2:TIDIG_COMP_CNT: 1
; COMPUTE_PGM_RSRC3_GFX90A:ACCUM_OFFSET: 22
; COMPUTE_PGM_RSRC3_GFX90A:TG_SPLIT: 0
	.section	.text._ZL30rocblas_trmm_outofplace_kernelI19rocblas_complex_numIfELi32ELi2ELb0ELb1ELb0ELb0ES1_KS1_S1_Ev17rocblas_diagonal_iiT6_lPT7_lllS6_lllPT8_llli,"axG",@progbits,_ZL30rocblas_trmm_outofplace_kernelI19rocblas_complex_numIfELi32ELi2ELb0ELb1ELb0ELb0ES1_KS1_S1_Ev17rocblas_diagonal_iiT6_lPT7_lllS6_lllPT8_llli,comdat
	.globl	_ZL30rocblas_trmm_outofplace_kernelI19rocblas_complex_numIfELi32ELi2ELb0ELb1ELb0ELb0ES1_KS1_S1_Ev17rocblas_diagonal_iiT6_lPT7_lllS6_lllPT8_llli ; -- Begin function _ZL30rocblas_trmm_outofplace_kernelI19rocblas_complex_numIfELi32ELi2ELb0ELb1ELb0ELb0ES1_KS1_S1_Ev17rocblas_diagonal_iiT6_lPT7_lllS6_lllPT8_llli
	.p2align	8
	.type	_ZL30rocblas_trmm_outofplace_kernelI19rocblas_complex_numIfELi32ELi2ELb0ELb1ELb0ELb0ES1_KS1_S1_Ev17rocblas_diagonal_iiT6_lPT7_lllS6_lllPT8_llli,@function
_ZL30rocblas_trmm_outofplace_kernelI19rocblas_complex_numIfELi32ELi2ELb0ELb1ELb0ELb0ES1_KS1_S1_Ev17rocblas_diagonal_iiT6_lPT7_lllS6_lllPT8_llli: ; @_ZL30rocblas_trmm_outofplace_kernelI19rocblas_complex_numIfELi32ELi2ELb0ELb1ELb0ELb0ES1_KS1_S1_Ev17rocblas_diagonal_iiT6_lPT7_lllS6_lllPT8_llli
; %bb.0:
	s_load_dwordx4 s[24:27], s[0:1], 0x0
	s_load_dword s29, s[0:1], 0x10
	s_waitcnt lgkmcnt(0)
	s_or_b32 s5, s27, s29
	s_bitset0_b32 s5, 31
	s_cmp_eq_u32 s5, 0
	s_cbranch_scc1 .LBB87_59
; %bb.1:
	s_add_i32 s5, s26, -1
	s_ashr_i32 s6, s5, 31
	s_lshr_b32 s6, s6, 27
	s_add_i32 s5, s5, s6
	s_ashr_i32 s33, s5, 5
	s_cmp_gt_i32 s3, s33
	s_cbranch_scc1 .LBB87_59
; %bb.2:
	s_load_dwordx16 s[36:51], s[0:1], 0x20
	s_load_dwordx8 s[16:23], s[0:1], 0x60
	v_and_b32_e32 v14, 0x3ff, v0
	v_lshl_add_u32 v16, s2, 5, v14
	v_ashrrev_i32_e32 v17, 31, v16
	s_waitcnt lgkmcnt(0)
	s_mul_i32 s5, s51, s4
	s_mul_hi_u32 s6, s50, s4
	s_add_i32 s7, s6, s5
	s_mul_i32 s6, s50, s4
	s_lshl_b64 s[6:7], s[6:7], 3
	s_add_u32 s5, s44, s6
	s_addc_u32 s8, s45, s7
	s_lshl_b64 s[6:7], s[46:47], 3
	s_add_u32 s6, s5, s6
	s_addc_u32 s7, s8, s7
	s_mul_i32 s5, s23, s4
	s_mul_hi_u32 s8, s22, s4
	s_add_i32 s9, s8, s5
	s_mul_i32 s8, s22, s4
	s_lshl_b64 s[8:9], s[8:9], 3
	s_add_u32 s5, s16, s8
	s_addc_u32 s10, s17, s9
	s_lshl_b64 s[8:9], s[18:19], 3
	s_add_u32 s22, s5, s8
	s_addc_u32 s23, s10, s9
	s_cmpk_eq_i32 s24, 0x84
	s_cselect_b64 s[30:31], -1, 0
	s_ashr_i32 s2, s25, 31
	v_mov_b32_e32 v1, s2
	s_load_dword s2, s[0:1], 0x8c
	v_lshl_add_u64 v[18:19], v[16:17], 3, s[6:7]
	v_sub_co_u32_e64 v24, s[6:7], 0, v14
	s_ashr_i32 s35, s26, 31
	s_lshl_b64 s[44:45], s[48:49], 8
	v_subb_co_u32_e64 v25, s[6:7], 0, 0, s[6:7]
	s_add_u32 s46, s26, -16
	s_mul_i32 s5, s43, s4
	s_mul_hi_u32 s6, s42, s4
	s_addc_u32 s47, s35, -1
	v_add_u32_e32 v22, 16, v16
	s_add_i32 s5, s6, s5
	s_mul_i32 s4, s42, s4
	s_mov_b32 s28, s27
	v_bfe_u32 v12, v0, 10, 10
	v_sub_co_u32_e32 v0, vcc, s25, v16
	v_cmp_gt_i32_e64 s[16:17], s25, v16
	v_cmp_gt_i32_e64 s[18:19], s25, v22
	s_mov_b32 s25, s27
	s_waitcnt lgkmcnt(0)
	s_lshl_b32 s27, s2, 5
	s_lshl_b64 s[4:5], s[4:5], 3
	s_lshl_b64 s[6:7], s[38:39], 3
	s_add_u32 s4, s4, s6
	s_addc_u32 s5, s5, s7
	v_subb_co_u32_e32 v1, vcc, v1, v17, vcc
	s_add_u32 s36, s36, s4
	v_cmp_gt_i64_e32 vcc, 1, v[0:1]
	v_cmp_gt_i64_e64 s[0:1], 17, v[0:1]
	s_addc_u32 s37, s37, s5
	v_mad_u64_u32 v[0:1], s[4:5], s48, v12, 0
	v_mov_b32_e32 v2, v1
	v_mad_u64_u32 v[2:3], s[4:5], s49, v12, v[2:3]
	v_mov_b32_e32 v1, v2
	v_mov_b64_e32 v[28:29], 0x80
	v_lshl_add_u64 v[30:31], v[0:1], 3, v[28:29]
	v_mov_b32_e32 v0, 0x80
	v_lshl_add_u32 v1, v12, 3, v0
	v_mad_u64_u32 v[32:33], s[4:5], s48, v1, 0
	v_lshlrev_b32_e32 v20, 3, v14
	v_mov_b32_e32 v0, v33
	v_mov_b32_e32 v15, 0
	v_lshlrev_b32_e32 v53, 8, v12
	v_or_b32_e32 v57, 0x2000, v20
	v_mad_u64_u32 v[0:1], s[4:5], s49, v1, v[0:1]
	v_mov_b32_e32 v13, v15
	s_mov_b32 s34, s26
	v_add_u32_e32 v55, v53, v20
	v_add_u32_e32 v59, v57, v53
	v_ashrrev_i32_e32 v23, 31, v22
	s_mov_b32 s24, s29
	v_lshl_add_u32 v26, s3, 5, v12
	v_mov_b32_e32 v21, v15
	s_lshl_b64 s[38:39], s[40:41], 3
	v_mov_b32_e32 v33, v0
	s_mov_b64 s[42:43], 0x100
	v_mov_b32_e32 v68, v15
	v_mov_b32_e32 v69, v15
	v_mov_b32_e32 v34, 1.0
	v_mov_b32_e32 v35, v15
	v_add_u32_e32 v61, 0x800, v57
	v_add_u32_e32 v63, 0x1000, v57
	;; [unrolled: 1-line block ×3, first 2 shown]
	s_branch .LBB87_4
.LBB87_3:                               ;   in Loop: Header=BB87_4 Depth=1
	s_or_b64 exec, exec, s[4:5]
	s_add_i32 s3, s2, s3
	s_cmp_le_i32 s3, s33
	v_add_u32_e32 v26, s27, v26
	s_cbranch_scc0 .LBB87_59
.LBB87_4:                               ; =>This Loop Header: Depth=1
                                        ;     Child Loop BB87_7 Depth 2
	s_lshl_b32 s56, s3, 5
	v_add_u32_e32 v36, s56, v12
	v_ashrrev_i32_e32 v37, 31, v36
	s_cmp_lt_i32 s3, 0
	v_mov_b32_e32 v64, 0
	v_mov_b32_e32 v66, 0
	;; [unrolled: 1-line block ×8, first 2 shown]
	s_cbranch_scc1 .LBB87_51
; %bb.5:                                ;   in Loop: Header=BB87_4 Depth=1
	v_ashrrev_i32_e32 v27, 31, v26
	v_lshl_add_u64 v[0:1], v[26:27], 3, v[28:29]
	v_mov_b64_e32 v[2:3], s[36:37]
	v_mul_lo_u32 v1, s40, v1
	v_mul_lo_u32 v4, s41, v0
	v_mad_u64_u32 v[40:41], s[4:5], s40, v0, v[2:3]
	v_lshl_add_u64 v[38:39], v[24:25], 0, v[26:27]
	v_add3_u32 v41, v4, v41, v1
	v_mad_u64_u32 v[42:43], s[4:5], s38, v26, v[2:3]
	v_mul_lo_u32 v0, s39, v26
	v_mul_lo_u32 v1, s38, v27
	v_lshl_add_u64 v[44:45], v[36:37], 0, 16
	v_add3_u32 v43, v0, v43, v1
	v_cmp_le_i32_e64 s[6:7], s26, v36
	v_cmp_le_i64_e64 s[8:9], s[34:35], v[44:45]
	v_lshl_add_u64 v[46:47], v[38:39], 0, 16
	v_lshl_add_u64 v[48:49], v[38:39], 0, -16
	v_mov_b32_e32 v52, 0
	s_mov_b64 s[48:49], 0
	v_mov_b64_e32 v[50:51], v[18:19]
	v_mov_b32_e32 v54, 0
	v_mov_b32_e32 v58, 0
	;; [unrolled: 1-line block ×7, first 2 shown]
	s_branch .LBB87_7
.LBB87_6:                               ;   in Loop: Header=BB87_7 Depth=2
	s_or_b64 exec, exec, s[4:5]
	s_waitcnt lgkmcnt(0)
	s_barrier
	ds_read2_b64 v[70:73], v57 offset1:16
	ds_read_b128 v[74:77], v53
	ds_read_b128 v[8:11], v53 offset:16
	ds_read_b128 v[4:7], v53 offset:32
	;; [unrolled: 1-line block ×5, first 2 shown]
	s_waitcnt lgkmcnt(5)
	v_mul_f32_e32 v27, v75, v71
	v_mul_f32_e32 v67, v74, v71
	v_fma_f32 v27, v74, v70, -v27
	v_fmac_f32_e32 v67, v75, v70
	v_add_f32_e32 v27, v64, v27
	v_add_f32_e32 v64, v66, v67
	v_mul_f32_e32 v66, v75, v73
	v_fma_f32 v66, v74, v72, -v66
	ds_read2_b64 v[86:89], v57 offset0:32 offset1:48
	v_add_f32_e32 v60, v60, v66
	s_waitcnt lgkmcnt(2)
	v_mul_f32_e32 v66, v79, v71
	v_mul_f32_e32 v67, v74, v73
	v_fma_f32 v66, v78, v70, -v66
	v_fmac_f32_e32 v67, v75, v72
	v_add_f32_e32 v56, v56, v66
	v_mul_f32_e32 v66, v79, v73
	v_add_f32_e32 v62, v62, v67
	v_mul_f32_e32 v67, v78, v71
	v_fma_f32 v66, v78, v72, -v66
	v_fmac_f32_e32 v67, v79, v70
	v_add_f32_e32 v54, v54, v66
	s_waitcnt lgkmcnt(0)
	v_mul_f32_e32 v66, v77, v87
	v_add_f32_e32 v58, v58, v67
	v_mul_f32_e32 v67, v78, v73
	v_fma_f32 v66, v76, v86, -v66
	v_fmac_f32_e32 v67, v79, v72
	v_add_f32_e32 v27, v27, v66
	v_mul_f32_e32 v66, v77, v89
	v_add_f32_e32 v52, v52, v67
	v_mul_f32_e32 v67, v76, v87
	v_fma_f32 v66, v76, v88, -v66
	ds_read2_b64 v[70:73], v57 offset0:64 offset1:80
	v_fmac_f32_e32 v67, v77, v86
	v_add_f32_e32 v60, v60, v66
	v_mul_f32_e32 v66, v81, v87
	v_add_f32_e32 v64, v64, v67
	v_mul_f32_e32 v67, v76, v89
	v_fma_f32 v66, v80, v86, -v66
	v_fmac_f32_e32 v67, v77, v88
	v_add_f32_e32 v56, v56, v66
	v_mul_f32_e32 v66, v81, v89
	v_add_f32_e32 v62, v62, v67
	v_mul_f32_e32 v67, v80, v87
	v_fma_f32 v66, v80, v88, -v66
	v_fmac_f32_e32 v67, v81, v86
	v_add_f32_e32 v54, v54, v66
	s_waitcnt lgkmcnt(0)
	v_mul_f32_e32 v66, v9, v71
	v_add_f32_e32 v58, v58, v67
	v_mul_f32_e32 v67, v80, v89
	v_fma_f32 v66, v8, v70, -v66
	v_fmac_f32_e32 v67, v81, v88
	v_add_f32_e32 v27, v27, v66
	v_mul_f32_e32 v66, v9, v73
	v_add_f32_e32 v52, v52, v67
	v_mul_f32_e32 v67, v8, v71
	v_fma_f32 v66, v8, v72, -v66
	v_mul_f32_e32 v8, v8, v73
	v_fmac_f32_e32 v8, v9, v72
	ds_read2_b64 v[74:77], v57 offset0:96 offset1:112
	v_fmac_f32_e32 v67, v9, v70
	v_add_f32_e32 v9, v60, v66
	v_add_f32_e32 v8, v62, v8
	v_mul_f32_e32 v60, v83, v71
	v_mul_f32_e32 v62, v82, v71
	v_fma_f32 v60, v82, v70, -v60
	v_fmac_f32_e32 v62, v83, v70
	v_add_f32_e32 v56, v56, v60
	v_add_f32_e32 v58, v58, v62
	v_mul_f32_e32 v60, v83, v73
	v_mul_f32_e32 v62, v82, v73
	v_fma_f32 v60, v82, v72, -v60
	v_fmac_f32_e32 v62, v83, v72
	v_add_f32_e32 v54, v54, v60
	v_add_f32_e32 v52, v52, v62
	s_waitcnt lgkmcnt(0)
	v_mul_f32_e32 v60, v11, v75
	v_mul_f32_e32 v62, v10, v75
	v_add_f32_e32 v64, v64, v67
	v_fma_f32 v60, v10, v74, -v60
	v_fmac_f32_e32 v62, v11, v74
	v_add_f32_e32 v27, v27, v60
	v_add_f32_e32 v60, v64, v62
	v_mul_f32_e32 v62, v11, v77
	v_fma_f32 v62, v10, v76, -v62
	v_mul_f32_e32 v10, v10, v77
	v_fmac_f32_e32 v10, v11, v76
	v_add_f32_e32 v64, v8, v10
	v_mul_f32_e32 v8, v85, v75
	v_add_f32_e32 v62, v9, v62
	v_fma_f32 v8, v84, v74, -v8
	v_mul_f32_e32 v9, v84, v75
	v_fmac_f32_e32 v9, v85, v74
	v_add_f32_e32 v56, v56, v8
	v_mul_f32_e32 v8, v85, v77
	v_add_f32_e32 v58, v58, v9
	v_fma_f32 v66, v84, v76, -v8
	ds_read2_b64 v[8:11], v57 offset0:128 offset1:144
	ds_read_b128 v[70:73], v53 offset:4128
	v_add_f32_e32 v54, v54, v66
	v_mul_f32_e32 v67, v84, v77
	v_fmac_f32_e32 v67, v85, v76
	s_waitcnt lgkmcnt(1)
	v_mul_f32_e32 v66, v5, v9
	v_fma_f32 v66, v4, v8, -v66
	v_add_f32_e32 v27, v27, v66
	v_mul_f32_e32 v66, v5, v11
	v_add_f32_e32 v52, v52, v67
	v_mul_f32_e32 v67, v4, v9
	v_fma_f32 v66, v4, v10, -v66
	v_mul_f32_e32 v4, v4, v11
	ds_read2_b64 v[78:81], v57 offset0:160 offset1:176
	v_fmac_f32_e32 v67, v5, v8
	v_fmac_f32_e32 v4, v5, v10
	v_add_f32_e32 v5, v62, v66
	ds_read_b128 v[74:77], v53 offset:4144
	s_waitcnt lgkmcnt(2)
	v_mul_f32_e32 v62, v71, v9
	v_fma_f32 v62, v70, v8, -v62
	v_mul_f32_e32 v9, v70, v9
	v_fmac_f32_e32 v9, v71, v8
	v_add_f32_e32 v8, v56, v62
	v_mul_f32_e32 v56, v71, v11
	v_mul_f32_e32 v11, v70, v11
	v_fma_f32 v56, v70, v10, -v56
	v_fmac_f32_e32 v11, v71, v10
	v_add_f32_e32 v10, v54, v56
	v_add_f32_e32 v11, v52, v11
	s_waitcnt lgkmcnt(1)
	v_mul_f32_e32 v52, v7, v79
	v_mul_f32_e32 v54, v6, v79
	v_add_f32_e32 v60, v60, v67
	v_fma_f32 v52, v6, v78, -v52
	v_fmac_f32_e32 v54, v7, v78
	v_add_f32_e32 v27, v27, v52
	v_add_f32_e32 v52, v60, v54
	v_mul_f32_e32 v54, v7, v81
	v_fma_f32 v54, v6, v80, -v54
	v_mul_f32_e32 v6, v6, v81
	v_add_f32_e32 v4, v64, v4
	v_fmac_f32_e32 v6, v7, v80
	v_add_f32_e32 v56, v4, v6
	v_mul_f32_e32 v4, v73, v79
	v_add_f32_e32 v54, v5, v54
	v_fma_f32 v4, v72, v78, -v4
	v_mul_f32_e32 v5, v72, v79
	v_add_f32_e32 v9, v58, v9
	v_fmac_f32_e32 v5, v73, v78
	v_add_f32_e32 v8, v8, v4
	v_mul_f32_e32 v4, v73, v81
	v_add_f32_e32 v9, v9, v5
	v_fma_f32 v58, v72, v80, -v4
	ds_read2_b64 v[4:7], v57 offset0:192 offset1:208
	v_add_f32_e32 v58, v10, v58
	v_mul_f32_e32 v60, v72, v81
	v_fmac_f32_e32 v60, v73, v80
	v_add_f32_e32 v60, v11, v60
	s_waitcnt lgkmcnt(0)
	v_mul_f32_e32 v10, v1, v5
	v_fma_f32 v10, v0, v4, -v10
	v_add_f32_e32 v27, v27, v10
	v_mul_f32_e32 v10, v1, v7
	v_mul_f32_e32 v11, v0, v5
	v_fma_f32 v10, v0, v6, -v10
	v_mul_f32_e32 v0, v0, v7
	v_fmac_f32_e32 v11, v1, v4
	v_fmac_f32_e32 v0, v1, v6
	v_add_f32_e32 v1, v54, v10
	v_mul_f32_e32 v10, v75, v5
	v_fma_f32 v10, v74, v4, -v10
	v_mul_f32_e32 v5, v74, v5
	v_fmac_f32_e32 v5, v75, v4
	v_add_f32_e32 v4, v8, v10
	v_mul_f32_e32 v8, v75, v7
	v_add_f32_e32 v52, v52, v11
	v_add_f32_e32 v5, v9, v5
	v_fma_f32 v54, v74, v6, -v8
	ds_read2_b64 v[8:11], v57 offset0:224 offset1:240
	v_mul_f32_e32 v7, v74, v7
	v_fmac_f32_e32 v7, v75, v6
	v_add_f32_e32 v0, v56, v0
	v_add_f32_e32 v56, v60, v7
	s_waitcnt lgkmcnt(0)
	v_mul_f32_e32 v6, v3, v9
	v_fma_f32 v6, v2, v8, -v6
	v_add_f32_e32 v27, v27, v6
	v_mul_f32_e32 v6, v3, v11
	v_mul_f32_e32 v7, v2, v9
	v_fma_f32 v6, v2, v10, -v6
	v_mul_f32_e32 v2, v2, v11
	v_fmac_f32_e32 v2, v3, v10
	v_add_f32_e32 v60, v0, v2
	v_mul_f32_e32 v0, v77, v9
	v_add_f32_e32 v54, v58, v54
	v_add_f32_e32 v58, v1, v6
	v_fma_f32 v0, v76, v8, -v0
	v_mul_f32_e32 v1, v76, v9
	v_fmac_f32_e32 v7, v3, v8
	v_fmac_f32_e32 v1, v77, v8
	v_add_f32_e32 v62, v4, v0
	v_mul_f32_e32 v0, v77, v11
	v_add_f32_e32 v52, v52, v7
	v_add_f32_e32 v64, v5, v1
	v_fma_f32 v8, v76, v10, -v0
	ds_read_b128 v[0:3], v53 offset:64
	ds_read2_b64 v[4:7], v61 offset1:16
	v_mul_f32_e32 v9, v76, v11
	v_fmac_f32_e32 v9, v77, v10
	v_add_f32_e32 v54, v54, v8
	v_add_f32_e32 v56, v56, v9
	ds_read_b128 v[8:11], v53 offset:80
	ds_read_b128 v[70:73], v53 offset:4160
	s_waitcnt lgkmcnt(2)
	v_mul_f32_e32 v66, v1, v5
	v_fma_f32 v66, v0, v4, -v66
	v_add_f32_e32 v27, v27, v66
	v_mul_f32_e32 v66, v1, v7
	v_mul_f32_e32 v67, v0, v5
	v_fma_f32 v66, v0, v6, -v66
	v_mul_f32_e32 v0, v0, v7
	ds_read2_b64 v[78:81], v61 offset0:32 offset1:48
	v_fmac_f32_e32 v67, v1, v4
	v_fmac_f32_e32 v0, v1, v6
	v_add_f32_e32 v1, v58, v66
	s_waitcnt lgkmcnt(1)
	v_mul_f32_e32 v58, v71, v5
	v_fma_f32 v58, v70, v4, -v58
	v_mul_f32_e32 v5, v70, v5
	v_fmac_f32_e32 v5, v71, v4
	v_add_f32_e32 v4, v62, v58
	v_mul_f32_e32 v58, v71, v7
	v_fma_f32 v58, v70, v6, -v58
	v_mul_f32_e32 v7, v70, v7
	v_fmac_f32_e32 v7, v71, v6
	v_add_f32_e32 v6, v54, v58
	s_waitcnt lgkmcnt(0)
	v_mul_f32_e32 v54, v3, v79
	v_fma_f32 v54, v2, v78, -v54
	v_add_f32_e32 v27, v27, v54
	v_mul_f32_e32 v54, v3, v81
	v_add_f32_e32 v7, v56, v7
	v_mul_f32_e32 v56, v2, v79
	v_fma_f32 v54, v2, v80, -v54
	v_mul_f32_e32 v2, v2, v81
	v_add_f32_e32 v52, v52, v67
	v_add_f32_e32 v0, v60, v0
	v_fmac_f32_e32 v56, v3, v78
	v_fmac_f32_e32 v2, v3, v80
	v_add_f32_e32 v52, v52, v56
	v_add_f32_e32 v56, v0, v2
	v_mul_f32_e32 v0, v73, v79
	v_add_f32_e32 v54, v1, v54
	v_fma_f32 v0, v72, v78, -v0
	v_mul_f32_e32 v1, v72, v79
	v_add_f32_e32 v5, v64, v5
	v_fmac_f32_e32 v1, v73, v78
	v_add_f32_e32 v4, v4, v0
	v_mul_f32_e32 v0, v73, v81
	v_add_f32_e32 v5, v5, v1
	v_fma_f32 v58, v72, v80, -v0
	ds_read2_b64 v[0:3], v61 offset0:64 offset1:80
	ds_read_b128 v[74:77], v53 offset:4176
	v_mul_f32_e32 v60, v72, v81
	v_add_f32_e32 v58, v6, v58
	v_fmac_f32_e32 v60, v73, v80
	s_waitcnt lgkmcnt(1)
	v_mul_f32_e32 v6, v9, v1
	v_fma_f32 v6, v8, v0, -v6
	v_add_f32_e32 v60, v7, v60
	v_mul_f32_e32 v7, v8, v1
	v_add_f32_e32 v27, v27, v6
	v_mul_f32_e32 v6, v9, v3
	v_fmac_f32_e32 v7, v9, v0
	v_fma_f32 v6, v8, v2, -v6
	v_add_f32_e32 v52, v52, v7
	v_mul_f32_e32 v7, v8, v3
	v_add_f32_e32 v8, v54, v6
	s_waitcnt lgkmcnt(0)
	v_mul_f32_e32 v6, v75, v1
	v_fma_f32 v6, v74, v0, -v6
	v_mul_f32_e32 v1, v74, v1
	v_fmac_f32_e32 v7, v9, v2
	v_fmac_f32_e32 v1, v75, v0
	v_add_f32_e32 v0, v4, v6
	v_mul_f32_e32 v4, v75, v3
	v_add_f32_e32 v9, v56, v7
	v_add_f32_e32 v1, v5, v1
	v_fma_f32 v54, v74, v2, -v4
	ds_read2_b64 v[4:7], v61 offset0:96 offset1:112
	v_mul_f32_e32 v3, v74, v3
	v_fmac_f32_e32 v3, v75, v2
	v_add_f32_e32 v56, v60, v3
	v_add_f32_e32 v54, v58, v54
	s_waitcnt lgkmcnt(0)
	v_mul_f32_e32 v2, v11, v5
	v_fma_f32 v2, v10, v4, -v2
	v_mul_f32_e32 v3, v10, v5
	v_fmac_f32_e32 v3, v11, v4
	v_add_f32_e32 v27, v27, v2
	v_mul_f32_e32 v2, v11, v7
	v_add_f32_e32 v52, v52, v3
	v_fma_f32 v2, v10, v6, -v2
	v_mul_f32_e32 v3, v10, v7
	v_fmac_f32_e32 v3, v11, v6
	v_add_f32_e32 v58, v8, v2
	v_mul_f32_e32 v2, v77, v5
	v_add_f32_e32 v60, v9, v3
	;; [unrolled: 6-line block ×3, first 2 shown]
	v_fma_f32 v4, v76, v6, -v0
	ds_read_b128 v[0:3], v53 offset:96
	ds_read2_b64 v[8:11], v61 offset0:128 offset1:144
	v_mul_f32_e32 v5, v76, v7
	v_fmac_f32_e32 v5, v77, v6
	v_add_f32_e32 v54, v54, v4
	v_add_f32_e32 v56, v56, v5
	ds_read_b128 v[4:7], v53 offset:112
	ds_read_b128 v[70:73], v53 offset:4192
	s_waitcnt lgkmcnt(2)
	v_mul_f32_e32 v66, v1, v9
	v_fma_f32 v66, v0, v8, -v66
	v_add_f32_e32 v27, v27, v66
	v_mul_f32_e32 v66, v1, v11
	v_mul_f32_e32 v67, v0, v9
	v_fma_f32 v66, v0, v10, -v66
	v_mul_f32_e32 v0, v0, v11
	ds_read2_b64 v[78:81], v61 offset0:160 offset1:176
	v_fmac_f32_e32 v67, v1, v8
	v_fmac_f32_e32 v0, v1, v10
	v_add_f32_e32 v1, v58, v66
	s_waitcnt lgkmcnt(1)
	v_mul_f32_e32 v58, v71, v9
	v_fma_f32 v58, v70, v8, -v58
	v_mul_f32_e32 v9, v70, v9
	v_fmac_f32_e32 v9, v71, v8
	v_add_f32_e32 v8, v62, v58
	v_mul_f32_e32 v58, v71, v11
	v_fma_f32 v58, v70, v10, -v58
	v_mul_f32_e32 v11, v70, v11
	v_fmac_f32_e32 v11, v71, v10
	v_add_f32_e32 v10, v54, v58
	s_waitcnt lgkmcnt(0)
	v_mul_f32_e32 v54, v3, v79
	v_fma_f32 v54, v2, v78, -v54
	v_add_f32_e32 v27, v27, v54
	v_mul_f32_e32 v54, v3, v81
	v_add_f32_e32 v11, v56, v11
	v_mul_f32_e32 v56, v2, v79
	v_fma_f32 v54, v2, v80, -v54
	v_mul_f32_e32 v2, v2, v81
	v_add_f32_e32 v52, v52, v67
	v_add_f32_e32 v0, v60, v0
	v_fmac_f32_e32 v56, v3, v78
	v_fmac_f32_e32 v2, v3, v80
	v_add_f32_e32 v52, v52, v56
	v_add_f32_e32 v56, v0, v2
	v_mul_f32_e32 v0, v73, v79
	v_add_f32_e32 v54, v1, v54
	v_fma_f32 v0, v72, v78, -v0
	v_mul_f32_e32 v1, v72, v79
	v_add_f32_e32 v9, v64, v9
	v_fmac_f32_e32 v1, v73, v78
	v_add_f32_e32 v8, v8, v0
	v_mul_f32_e32 v0, v73, v81
	v_add_f32_e32 v9, v9, v1
	v_fma_f32 v58, v72, v80, -v0
	ds_read2_b64 v[0:3], v61 offset0:192 offset1:208
	ds_read_b128 v[74:77], v53 offset:4208
	v_add_f32_e32 v58, v10, v58
	v_mul_f32_e32 v60, v72, v81
	v_fmac_f32_e32 v60, v73, v80
	s_waitcnt lgkmcnt(1)
	v_mul_f32_e32 v10, v5, v1
	v_fma_f32 v10, v4, v0, -v10
	v_add_f32_e32 v27, v27, v10
	v_mul_f32_e32 v10, v5, v3
	v_add_f32_e32 v60, v11, v60
	v_mul_f32_e32 v11, v4, v1
	v_fma_f32 v10, v4, v2, -v10
	v_mul_f32_e32 v4, v4, v3
	v_fmac_f32_e32 v11, v5, v0
	v_fmac_f32_e32 v4, v5, v2
	v_add_f32_e32 v5, v54, v10
	s_waitcnt lgkmcnt(0)
	v_mul_f32_e32 v10, v75, v1
	v_fma_f32 v10, v74, v0, -v10
	v_mul_f32_e32 v1, v74, v1
	v_fmac_f32_e32 v1, v75, v0
	v_add_f32_e32 v0, v8, v10
	v_mul_f32_e32 v8, v75, v3
	v_add_f32_e32 v52, v52, v11
	v_add_f32_e32 v1, v9, v1
	v_fma_f32 v54, v74, v2, -v8
	ds_read2_b64 v[8:11], v61 offset0:224 offset1:240
	v_mul_f32_e32 v3, v74, v3
	v_fmac_f32_e32 v3, v75, v2
	v_add_f32_e32 v4, v56, v4
	v_add_f32_e32 v56, v60, v3
	s_waitcnt lgkmcnt(0)
	v_mul_f32_e32 v2, v7, v9
	v_fma_f32 v2, v6, v8, -v2
	v_mul_f32_e32 v3, v6, v9
	v_fmac_f32_e32 v3, v7, v8
	v_add_f32_e32 v27, v27, v2
	v_mul_f32_e32 v2, v7, v11
	v_add_f32_e32 v52, v52, v3
	v_fma_f32 v2, v6, v10, -v2
	v_mul_f32_e32 v3, v6, v11
	v_add_f32_e32 v54, v58, v54
	v_fmac_f32_e32 v3, v7, v10
	v_add_f32_e32 v58, v5, v2
	v_mul_f32_e32 v2, v77, v9
	v_add_f32_e32 v60, v4, v3
	v_fma_f32 v2, v76, v8, -v2
	v_mul_f32_e32 v3, v76, v9
	v_fmac_f32_e32 v3, v77, v8
	v_add_f32_e32 v62, v0, v2
	v_mul_f32_e32 v0, v77, v11
	v_add_f32_e32 v64, v1, v3
	v_fma_f32 v8, v76, v10, -v0
	ds_read_b128 v[0:3], v53 offset:128
	ds_read2_b64 v[4:7], v63 offset1:16
	v_mul_f32_e32 v9, v76, v11
	v_fmac_f32_e32 v9, v77, v10
	v_add_f32_e32 v54, v54, v8
	v_add_f32_e32 v56, v56, v9
	ds_read_b128 v[8:11], v53 offset:144
	ds_read_b128 v[70:73], v53 offset:4224
	s_waitcnt lgkmcnt(2)
	v_mul_f32_e32 v66, v1, v5
	v_fma_f32 v66, v0, v4, -v66
	v_add_f32_e32 v27, v27, v66
	v_mul_f32_e32 v66, v1, v7
	v_mul_f32_e32 v67, v0, v5
	v_fma_f32 v66, v0, v6, -v66
	v_mul_f32_e32 v0, v0, v7
	ds_read2_b64 v[78:81], v63 offset0:32 offset1:48
	v_fmac_f32_e32 v67, v1, v4
	v_fmac_f32_e32 v0, v1, v6
	v_add_f32_e32 v1, v58, v66
	s_waitcnt lgkmcnt(1)
	v_mul_f32_e32 v58, v71, v5
	v_fma_f32 v58, v70, v4, -v58
	v_mul_f32_e32 v5, v70, v5
	v_fmac_f32_e32 v5, v71, v4
	v_add_f32_e32 v4, v62, v58
	v_mul_f32_e32 v58, v71, v7
	v_fma_f32 v58, v70, v6, -v58
	v_mul_f32_e32 v7, v70, v7
	v_fmac_f32_e32 v7, v71, v6
	v_add_f32_e32 v6, v54, v58
	s_waitcnt lgkmcnt(0)
	v_mul_f32_e32 v54, v3, v79
	v_fma_f32 v54, v2, v78, -v54
	v_add_f32_e32 v27, v27, v54
	v_mul_f32_e32 v54, v3, v81
	v_add_f32_e32 v7, v56, v7
	v_mul_f32_e32 v56, v2, v79
	v_fma_f32 v54, v2, v80, -v54
	v_mul_f32_e32 v2, v2, v81
	v_add_f32_e32 v52, v52, v67
	v_add_f32_e32 v0, v60, v0
	v_fmac_f32_e32 v56, v3, v78
	v_fmac_f32_e32 v2, v3, v80
	v_add_f32_e32 v52, v52, v56
	v_add_f32_e32 v56, v0, v2
	v_mul_f32_e32 v0, v73, v79
	v_add_f32_e32 v54, v1, v54
	v_fma_f32 v0, v72, v78, -v0
	v_mul_f32_e32 v1, v72, v79
	v_add_f32_e32 v5, v64, v5
	v_fmac_f32_e32 v1, v73, v78
	v_add_f32_e32 v4, v4, v0
	v_mul_f32_e32 v0, v73, v81
	v_add_f32_e32 v5, v5, v1
	v_fma_f32 v58, v72, v80, -v0
	ds_read2_b64 v[0:3], v63 offset0:64 offset1:80
	ds_read_b128 v[74:77], v53 offset:4240
	v_mul_f32_e32 v60, v72, v81
	v_add_f32_e32 v58, v6, v58
	v_fmac_f32_e32 v60, v73, v80
	s_waitcnt lgkmcnt(1)
	v_mul_f32_e32 v6, v9, v1
	v_fma_f32 v6, v8, v0, -v6
	v_add_f32_e32 v60, v7, v60
	v_mul_f32_e32 v7, v8, v1
	v_add_f32_e32 v27, v27, v6
	v_mul_f32_e32 v6, v9, v3
	v_fmac_f32_e32 v7, v9, v0
	v_fma_f32 v6, v8, v2, -v6
	v_add_f32_e32 v52, v52, v7
	v_mul_f32_e32 v7, v8, v3
	v_add_f32_e32 v8, v54, v6
	s_waitcnt lgkmcnt(0)
	v_mul_f32_e32 v6, v75, v1
	v_fma_f32 v6, v74, v0, -v6
	v_mul_f32_e32 v1, v74, v1
	v_fmac_f32_e32 v7, v9, v2
	v_fmac_f32_e32 v1, v75, v0
	v_add_f32_e32 v0, v4, v6
	v_mul_f32_e32 v4, v75, v3
	v_add_f32_e32 v9, v56, v7
	v_add_f32_e32 v1, v5, v1
	v_fma_f32 v54, v74, v2, -v4
	ds_read2_b64 v[4:7], v63 offset0:96 offset1:112
	v_mul_f32_e32 v3, v74, v3
	v_fmac_f32_e32 v3, v75, v2
	v_add_f32_e32 v56, v60, v3
	v_add_f32_e32 v54, v58, v54
	s_waitcnt lgkmcnt(0)
	v_mul_f32_e32 v2, v11, v5
	v_fma_f32 v2, v10, v4, -v2
	v_mul_f32_e32 v3, v10, v5
	v_fmac_f32_e32 v3, v11, v4
	v_add_f32_e32 v27, v27, v2
	v_mul_f32_e32 v2, v11, v7
	v_add_f32_e32 v52, v52, v3
	v_fma_f32 v2, v10, v6, -v2
	v_mul_f32_e32 v3, v10, v7
	v_fmac_f32_e32 v3, v11, v6
	v_add_f32_e32 v58, v8, v2
	v_mul_f32_e32 v2, v77, v5
	v_add_f32_e32 v60, v9, v3
	;; [unrolled: 6-line block ×3, first 2 shown]
	v_fma_f32 v4, v76, v6, -v0
	ds_read_b128 v[0:3], v53 offset:160
	ds_read2_b64 v[8:11], v63 offset0:128 offset1:144
	v_mul_f32_e32 v5, v76, v7
	v_fmac_f32_e32 v5, v77, v6
	v_add_f32_e32 v54, v54, v4
	v_add_f32_e32 v56, v56, v5
	ds_read_b128 v[4:7], v53 offset:176
	ds_read_b128 v[70:73], v53 offset:4256
	s_waitcnt lgkmcnt(2)
	v_mul_f32_e32 v66, v1, v9
	v_fma_f32 v66, v0, v8, -v66
	v_add_f32_e32 v27, v27, v66
	v_mul_f32_e32 v66, v1, v11
	v_mul_f32_e32 v67, v0, v9
	v_fma_f32 v66, v0, v10, -v66
	v_mul_f32_e32 v0, v0, v11
	ds_read2_b64 v[78:81], v63 offset0:160 offset1:176
	v_fmac_f32_e32 v67, v1, v8
	v_fmac_f32_e32 v0, v1, v10
	v_add_f32_e32 v1, v58, v66
	s_waitcnt lgkmcnt(1)
	v_mul_f32_e32 v58, v71, v9
	v_fma_f32 v58, v70, v8, -v58
	v_mul_f32_e32 v9, v70, v9
	v_fmac_f32_e32 v9, v71, v8
	v_add_f32_e32 v8, v62, v58
	v_mul_f32_e32 v58, v71, v11
	v_fma_f32 v58, v70, v10, -v58
	v_mul_f32_e32 v11, v70, v11
	v_fmac_f32_e32 v11, v71, v10
	v_add_f32_e32 v10, v54, v58
	s_waitcnt lgkmcnt(0)
	v_mul_f32_e32 v54, v3, v79
	v_fma_f32 v54, v2, v78, -v54
	v_add_f32_e32 v27, v27, v54
	v_mul_f32_e32 v54, v3, v81
	v_add_f32_e32 v11, v56, v11
	v_mul_f32_e32 v56, v2, v79
	v_fma_f32 v54, v2, v80, -v54
	v_mul_f32_e32 v2, v2, v81
	v_add_f32_e32 v52, v52, v67
	v_add_f32_e32 v0, v60, v0
	v_fmac_f32_e32 v56, v3, v78
	v_fmac_f32_e32 v2, v3, v80
	v_add_f32_e32 v52, v52, v56
	v_add_f32_e32 v56, v0, v2
	v_mul_f32_e32 v0, v73, v79
	v_add_f32_e32 v54, v1, v54
	v_fma_f32 v0, v72, v78, -v0
	v_mul_f32_e32 v1, v72, v79
	v_add_f32_e32 v9, v64, v9
	v_fmac_f32_e32 v1, v73, v78
	v_add_f32_e32 v8, v8, v0
	v_mul_f32_e32 v0, v73, v81
	v_add_f32_e32 v9, v9, v1
	v_fma_f32 v58, v72, v80, -v0
	ds_read2_b64 v[0:3], v63 offset0:192 offset1:208
	ds_read_b128 v[74:77], v53 offset:4272
	v_add_f32_e32 v58, v10, v58
	v_mul_f32_e32 v60, v72, v81
	v_fmac_f32_e32 v60, v73, v80
	s_waitcnt lgkmcnt(1)
	v_mul_f32_e32 v10, v5, v1
	v_fma_f32 v10, v4, v0, -v10
	v_add_f32_e32 v27, v27, v10
	v_mul_f32_e32 v10, v5, v3
	v_add_f32_e32 v60, v11, v60
	v_mul_f32_e32 v11, v4, v1
	v_fma_f32 v10, v4, v2, -v10
	v_mul_f32_e32 v4, v4, v3
	v_fmac_f32_e32 v11, v5, v0
	v_fmac_f32_e32 v4, v5, v2
	v_add_f32_e32 v5, v54, v10
	s_waitcnt lgkmcnt(0)
	v_mul_f32_e32 v10, v75, v1
	v_fma_f32 v10, v74, v0, -v10
	v_mul_f32_e32 v1, v74, v1
	v_fmac_f32_e32 v1, v75, v0
	v_add_f32_e32 v0, v8, v10
	v_mul_f32_e32 v8, v75, v3
	v_add_f32_e32 v52, v52, v11
	v_add_f32_e32 v1, v9, v1
	v_fma_f32 v54, v74, v2, -v8
	ds_read2_b64 v[8:11], v63 offset0:224 offset1:240
	v_mul_f32_e32 v3, v74, v3
	v_fmac_f32_e32 v3, v75, v2
	v_add_f32_e32 v4, v56, v4
	v_add_f32_e32 v56, v60, v3
	s_waitcnt lgkmcnt(0)
	v_mul_f32_e32 v2, v7, v9
	v_fma_f32 v2, v6, v8, -v2
	v_mul_f32_e32 v3, v6, v9
	v_fmac_f32_e32 v3, v7, v8
	v_add_f32_e32 v27, v27, v2
	v_mul_f32_e32 v2, v7, v11
	v_add_f32_e32 v52, v52, v3
	v_fma_f32 v2, v6, v10, -v2
	v_mul_f32_e32 v3, v6, v11
	v_add_f32_e32 v54, v58, v54
	v_fmac_f32_e32 v3, v7, v10
	v_add_f32_e32 v58, v5, v2
	v_mul_f32_e32 v2, v77, v9
	v_add_f32_e32 v60, v4, v3
	v_fma_f32 v2, v76, v8, -v2
	v_mul_f32_e32 v3, v76, v9
	v_fmac_f32_e32 v3, v77, v8
	v_add_f32_e32 v62, v0, v2
	v_mul_f32_e32 v0, v77, v11
	v_add_f32_e32 v64, v1, v3
	v_fma_f32 v8, v76, v10, -v0
	ds_read_b128 v[0:3], v53 offset:192
	ds_read2_b64 v[4:7], v65 offset1:16
	v_mul_f32_e32 v9, v76, v11
	v_fmac_f32_e32 v9, v77, v10
	v_add_f32_e32 v54, v54, v8
	v_add_f32_e32 v56, v56, v9
	ds_read_b128 v[8:11], v53 offset:208
	ds_read_b128 v[70:73], v53 offset:4288
	s_waitcnt lgkmcnt(2)
	v_mul_f32_e32 v66, v1, v5
	v_fma_f32 v66, v0, v4, -v66
	v_add_f32_e32 v27, v27, v66
	v_mul_f32_e32 v66, v1, v7
	v_mul_f32_e32 v67, v0, v5
	v_fma_f32 v66, v0, v6, -v66
	v_mul_f32_e32 v0, v0, v7
	ds_read2_b64 v[78:81], v65 offset0:32 offset1:48
	v_fmac_f32_e32 v67, v1, v4
	v_fmac_f32_e32 v0, v1, v6
	v_add_f32_e32 v1, v58, v66
	s_waitcnt lgkmcnt(1)
	v_mul_f32_e32 v58, v71, v5
	v_fma_f32 v58, v70, v4, -v58
	v_mul_f32_e32 v5, v70, v5
	v_fmac_f32_e32 v5, v71, v4
	v_add_f32_e32 v4, v62, v58
	v_mul_f32_e32 v58, v71, v7
	v_fma_f32 v58, v70, v6, -v58
	v_mul_f32_e32 v7, v70, v7
	v_fmac_f32_e32 v7, v71, v6
	v_add_f32_e32 v6, v54, v58
	s_waitcnt lgkmcnt(0)
	v_mul_f32_e32 v54, v3, v79
	v_fma_f32 v54, v2, v78, -v54
	v_add_f32_e32 v27, v27, v54
	v_mul_f32_e32 v54, v3, v81
	v_add_f32_e32 v7, v56, v7
	v_mul_f32_e32 v56, v2, v79
	v_fma_f32 v54, v2, v80, -v54
	v_mul_f32_e32 v2, v2, v81
	v_add_f32_e32 v52, v52, v67
	v_add_f32_e32 v0, v60, v0
	v_fmac_f32_e32 v56, v3, v78
	v_fmac_f32_e32 v2, v3, v80
	v_add_f32_e32 v52, v52, v56
	v_add_f32_e32 v56, v0, v2
	v_mul_f32_e32 v0, v73, v79
	v_add_f32_e32 v54, v1, v54
	v_fma_f32 v0, v72, v78, -v0
	v_mul_f32_e32 v1, v72, v79
	v_add_f32_e32 v5, v64, v5
	v_fmac_f32_e32 v1, v73, v78
	v_add_f32_e32 v4, v4, v0
	v_mul_f32_e32 v0, v73, v81
	v_add_f32_e32 v5, v5, v1
	v_fma_f32 v58, v72, v80, -v0
	ds_read2_b64 v[0:3], v65 offset0:64 offset1:80
	ds_read_b128 v[74:77], v53 offset:4304
	v_mul_f32_e32 v60, v72, v81
	v_add_f32_e32 v58, v6, v58
	v_fmac_f32_e32 v60, v73, v80
	s_waitcnt lgkmcnt(1)
	v_mul_f32_e32 v6, v9, v1
	v_fma_f32 v6, v8, v0, -v6
	v_add_f32_e32 v60, v7, v60
	v_mul_f32_e32 v7, v8, v1
	v_add_f32_e32 v27, v27, v6
	v_mul_f32_e32 v6, v9, v3
	v_fmac_f32_e32 v7, v9, v0
	v_fma_f32 v6, v8, v2, -v6
	v_add_f32_e32 v52, v52, v7
	v_mul_f32_e32 v7, v8, v3
	v_add_f32_e32 v8, v54, v6
	s_waitcnt lgkmcnt(0)
	v_mul_f32_e32 v6, v75, v1
	v_fma_f32 v6, v74, v0, -v6
	v_mul_f32_e32 v1, v74, v1
	v_fmac_f32_e32 v7, v9, v2
	v_fmac_f32_e32 v1, v75, v0
	v_add_f32_e32 v0, v4, v6
	v_mul_f32_e32 v4, v75, v3
	v_add_f32_e32 v9, v56, v7
	v_add_f32_e32 v1, v5, v1
	v_fma_f32 v54, v74, v2, -v4
	ds_read2_b64 v[4:7], v65 offset0:96 offset1:112
	v_mul_f32_e32 v3, v74, v3
	v_fmac_f32_e32 v3, v75, v2
	v_add_f32_e32 v56, v60, v3
	v_add_f32_e32 v54, v58, v54
	s_waitcnt lgkmcnt(0)
	v_mul_f32_e32 v2, v11, v5
	v_fma_f32 v2, v10, v4, -v2
	v_mul_f32_e32 v3, v10, v5
	v_fmac_f32_e32 v3, v11, v4
	v_add_f32_e32 v27, v27, v2
	v_mul_f32_e32 v2, v11, v7
	v_add_f32_e32 v52, v52, v3
	v_fma_f32 v2, v10, v6, -v2
	v_mul_f32_e32 v3, v10, v7
	v_fmac_f32_e32 v3, v11, v6
	v_add_f32_e32 v58, v8, v2
	v_mul_f32_e32 v2, v77, v5
	v_add_f32_e32 v60, v9, v3
	;; [unrolled: 6-line block ×3, first 2 shown]
	v_fma_f32 v4, v76, v6, -v0
	ds_read_b128 v[0:3], v53 offset:224
	ds_read2_b64 v[8:11], v65 offset0:128 offset1:144
	v_mul_f32_e32 v5, v76, v7
	v_fmac_f32_e32 v5, v77, v6
	v_add_f32_e32 v54, v54, v4
	v_add_f32_e32 v56, v56, v5
	ds_read_b128 v[4:7], v53 offset:240
	ds_read_b128 v[70:73], v53 offset:4320
	s_waitcnt lgkmcnt(2)
	v_mul_f32_e32 v66, v1, v9
	v_fma_f32 v66, v0, v8, -v66
	v_add_f32_e32 v27, v27, v66
	v_mul_f32_e32 v66, v1, v11
	v_mul_f32_e32 v67, v0, v9
	v_fma_f32 v66, v0, v10, -v66
	v_mul_f32_e32 v0, v0, v11
	ds_read2_b64 v[78:81], v65 offset0:160 offset1:176
	v_fmac_f32_e32 v67, v1, v8
	v_fmac_f32_e32 v0, v1, v10
	v_add_f32_e32 v1, v58, v66
	s_waitcnt lgkmcnt(1)
	v_mul_f32_e32 v58, v71, v9
	v_fma_f32 v58, v70, v8, -v58
	v_mul_f32_e32 v9, v70, v9
	v_fmac_f32_e32 v9, v71, v8
	v_add_f32_e32 v8, v62, v58
	v_mul_f32_e32 v58, v71, v11
	v_fma_f32 v58, v70, v10, -v58
	v_mul_f32_e32 v11, v70, v11
	v_fmac_f32_e32 v11, v71, v10
	v_add_f32_e32 v10, v54, v58
	s_waitcnt lgkmcnt(0)
	v_mul_f32_e32 v54, v3, v79
	v_fma_f32 v54, v2, v78, -v54
	v_add_f32_e32 v27, v27, v54
	v_mul_f32_e32 v54, v3, v81
	v_add_f32_e32 v11, v56, v11
	v_mul_f32_e32 v56, v2, v79
	v_fma_f32 v54, v2, v80, -v54
	v_mul_f32_e32 v2, v2, v81
	v_add_f32_e32 v52, v52, v67
	v_add_f32_e32 v0, v60, v0
	v_fmac_f32_e32 v56, v3, v78
	v_fmac_f32_e32 v2, v3, v80
	v_add_f32_e32 v52, v52, v56
	v_add_f32_e32 v56, v0, v2
	v_mul_f32_e32 v0, v73, v79
	v_add_f32_e32 v54, v1, v54
	v_fma_f32 v0, v72, v78, -v0
	v_mul_f32_e32 v1, v72, v79
	v_add_f32_e32 v9, v64, v9
	v_fmac_f32_e32 v1, v73, v78
	v_add_f32_e32 v8, v8, v0
	v_mul_f32_e32 v0, v73, v81
	v_add_f32_e32 v9, v9, v1
	v_fma_f32 v58, v72, v80, -v0
	ds_read2_b64 v[0:3], v65 offset0:192 offset1:208
	ds_read_b128 v[74:77], v53 offset:4336
	v_add_f32_e32 v58, v10, v58
	v_mul_f32_e32 v60, v72, v81
	v_fmac_f32_e32 v60, v73, v80
	s_waitcnt lgkmcnt(1)
	v_mul_f32_e32 v10, v5, v1
	v_fma_f32 v10, v4, v0, -v10
	v_add_f32_e32 v27, v27, v10
	v_mul_f32_e32 v10, v5, v3
	v_add_f32_e32 v60, v11, v60
	v_mul_f32_e32 v11, v4, v1
	v_fma_f32 v10, v4, v2, -v10
	v_mul_f32_e32 v4, v4, v3
	v_fmac_f32_e32 v11, v5, v0
	v_fmac_f32_e32 v4, v5, v2
	v_add_f32_e32 v5, v54, v10
	s_waitcnt lgkmcnt(0)
	v_mul_f32_e32 v10, v75, v1
	v_fma_f32 v10, v74, v0, -v10
	v_mul_f32_e32 v1, v74, v1
	v_fmac_f32_e32 v1, v75, v0
	v_add_f32_e32 v0, v8, v10
	v_mul_f32_e32 v8, v75, v3
	v_add_f32_e32 v52, v52, v11
	v_add_f32_e32 v1, v9, v1
	v_fma_f32 v54, v74, v2, -v8
	ds_read2_b64 v[8:11], v65 offset0:224 offset1:240
	v_mul_f32_e32 v3, v74, v3
	v_fmac_f32_e32 v3, v75, v2
	v_add_f32_e32 v2, v58, v54
	v_add_f32_e32 v4, v56, v4
	s_waitcnt lgkmcnt(0)
	v_mul_f32_e32 v54, v7, v9
	v_fma_f32 v54, v6, v8, -v54
	v_add_f32_e32 v64, v27, v54
	v_mul_f32_e32 v27, v7, v11
	v_mul_f32_e32 v56, v6, v9
	v_fma_f32 v27, v6, v10, -v27
	v_mul_f32_e32 v6, v6, v11
	v_fmac_f32_e32 v6, v7, v10
	v_add_f32_e32 v3, v60, v3
	v_add_f32_e32 v60, v5, v27
	;; [unrolled: 1-line block ×3, first 2 shown]
	v_mul_f32_e32 v4, v77, v9
	v_mul_f32_e32 v5, v76, v9
	v_fmac_f32_e32 v56, v7, v8
	v_fma_f32 v4, v76, v8, -v4
	v_fmac_f32_e32 v5, v77, v8
	v_add_f32_e32 v66, v52, v56
	v_add_f32_e32 v56, v0, v4
	;; [unrolled: 1-line block ×3, first 2 shown]
	v_mul_f32_e32 v0, v77, v11
	v_mul_f32_e32 v1, v76, v11
	s_add_u32 s48, s48, 32
	v_fma_f32 v0, v76, v10, -v0
	v_fmac_f32_e32 v1, v77, v10
	s_addc_u32 s49, s49, 0
	s_sub_i32 s4, s48, 32
	v_add_f32_e32 v54, v2, v0
	v_add_f32_e32 v52, v3, v1
	v_lshl_add_u64 v[40:41], v[40:41], 0, s[42:43]
	v_lshl_add_u64 v[50:51], v[50:51], 0, s[44:45]
	s_cmp_ge_i32 s4, s56
	v_lshl_add_u64 v[42:43], v[42:43], 0, s[42:43]
	s_barrier
	s_cbranch_scc1 .LBB87_51
.LBB87_7:                               ;   Parent Loop BB87_4 Depth=1
                                        ; =>  This Inner Loop Header: Depth=2
	v_lshl_add_u64 v[0:1], v[14:15], 0, s[48:49]
	v_cmp_eq_u64_e64 s[4:5], s[48:49], v[38:39]
	v_cmp_gt_i64_e64 s[10:11], v[0:1], v[36:37]
	s_and_b64 s[52:53], s[30:31], s[4:5]
	s_or_b64 s[4:5], s[6:7], s[10:11]
	v_cmp_le_i64_e64 s[12:13], s[34:35], v[0:1]
	s_or_b64 s[4:5], s[4:5], s[52:53]
	v_lshl_add_u64 v[2:3], v[42:43], 0, v[20:21]
	s_nor_b64 s[4:5], s[12:13], s[4:5]
	s_and_saveexec_b64 s[14:15], s[4:5]
	s_xor_b64 s[4:5], exec, s[14:15]
	s_cbranch_execz .LBB87_9
; %bb.8:                                ;   in Loop: Header=BB87_7 Depth=2
	global_load_dwordx2 v[4:5], v[2:3], off
	s_waitcnt vmcnt(0)
	ds_write_b64 v55, v[4:5]
.LBB87_9:                               ;   in Loop: Header=BB87_7 Depth=2
	s_or_saveexec_b64 s[4:5], s[4:5]
	s_xor_b64 s[50:51], s[52:53], -1
	s_xor_b64 exec, exec, s[4:5]
	s_cbranch_execz .LBB87_15
; %bb.10:                               ;   in Loop: Header=BB87_7 Depth=2
	s_and_saveexec_b64 s[14:15], s[50:51]
	s_xor_b64 s[14:15], exec, s[14:15]
; %bb.11:                               ;   in Loop: Header=BB87_7 Depth=2
	ds_write_b64 v55, v[68:69]
; %bb.12:                               ;   in Loop: Header=BB87_7 Depth=2
	s_andn2_saveexec_b64 s[14:15], s[14:15]
; %bb.13:                               ;   in Loop: Header=BB87_7 Depth=2
	ds_write_b64 v55, v[34:35]
; %bb.14:                               ;   in Loop: Header=BB87_7 Depth=2
	s_or_b64 exec, exec, s[14:15]
.LBB87_15:                              ;   in Loop: Header=BB87_7 Depth=2
	s_or_b64 exec, exec, s[4:5]
	v_lshl_add_u64 v[4:5], v[0:1], 0, 16
	v_cmp_eq_u64_e64 s[4:5], s[48:49], v[48:49]
	s_and_b64 s[54:55], s[30:31], s[4:5]
	v_cmp_gt_i64_e64 s[4:5], v[4:5], v[36:37]
	s_or_b64 s[4:5], s[6:7], s[4:5]
	v_cmp_le_i64_e64 s[14:15], s[34:35], v[4:5]
	s_or_b64 s[4:5], s[4:5], s[54:55]
	s_nor_b64 s[4:5], s[14:15], s[4:5]
	s_and_saveexec_b64 s[58:59], s[4:5]
	s_xor_b64 s[4:5], exec, s[58:59]
	s_cbranch_execz .LBB87_17
; %bb.16:                               ;   in Loop: Header=BB87_7 Depth=2
	global_load_dwordx2 v[2:3], v[2:3], off offset:128
	s_waitcnt vmcnt(0)
	ds_write_b64 v55, v[2:3] offset:128
.LBB87_17:                              ;   in Loop: Header=BB87_7 Depth=2
	s_andn2_saveexec_b64 s[4:5], s[4:5]
	s_cbranch_execz .LBB87_23
; %bb.18:                               ;   in Loop: Header=BB87_7 Depth=2
	s_xor_b64 s[54:55], s[54:55], -1
	s_and_saveexec_b64 s[58:59], s[54:55]
	s_xor_b64 s[54:55], exec, s[58:59]
; %bb.19:                               ;   in Loop: Header=BB87_7 Depth=2
	ds_write_b64 v55, v[68:69] offset:128
; %bb.20:                               ;   in Loop: Header=BB87_7 Depth=2
	s_andn2_saveexec_b64 s[54:55], s[54:55]
; %bb.21:                               ;   in Loop: Header=BB87_7 Depth=2
	ds_write_b64 v55, v[34:35] offset:128
; %bb.22:                               ;   in Loop: Header=BB87_7 Depth=2
	s_or_b64 exec, exec, s[54:55]
.LBB87_23:                              ;   in Loop: Header=BB87_7 Depth=2
	s_or_b64 exec, exec, s[4:5]
	v_cmp_eq_u64_e64 s[4:5], s[48:49], v[46:47]
	s_and_b64 s[54:55], s[30:31], s[4:5]
	v_cmp_gt_i64_e64 s[4:5], v[0:1], v[44:45]
	s_or_b64 s[4:5], s[8:9], s[4:5]
	s_or_b64 s[4:5], s[4:5], s[54:55]
	v_lshl_add_u64 v[2:3], v[40:41], 0, v[20:21]
	s_nor_b64 s[4:5], s[12:13], s[4:5]
	s_and_saveexec_b64 s[12:13], s[4:5]
	s_xor_b64 s[4:5], exec, s[12:13]
	s_cbranch_execz .LBB87_25
; %bb.24:                               ;   in Loop: Header=BB87_7 Depth=2
	global_load_dwordx2 v[0:1], v[2:3], off
	s_waitcnt vmcnt(0)
	ds_write_b64 v55, v[0:1] offset:4096
.LBB87_25:                              ;   in Loop: Header=BB87_7 Depth=2
	s_andn2_saveexec_b64 s[4:5], s[4:5]
	s_cbranch_execz .LBB87_31
; %bb.26:                               ;   in Loop: Header=BB87_7 Depth=2
	s_xor_b64 s[12:13], s[54:55], -1
	s_and_saveexec_b64 s[54:55], s[12:13]
	s_xor_b64 s[12:13], exec, s[54:55]
; %bb.27:                               ;   in Loop: Header=BB87_7 Depth=2
	ds_write_b64 v55, v[68:69] offset:4096
; %bb.28:                               ;   in Loop: Header=BB87_7 Depth=2
	s_andn2_saveexec_b64 s[12:13], s[12:13]
; %bb.29:                               ;   in Loop: Header=BB87_7 Depth=2
	ds_write_b64 v55, v[34:35] offset:4096
; %bb.30:                               ;   in Loop: Header=BB87_7 Depth=2
	s_or_b64 exec, exec, s[12:13]
.LBB87_31:                              ;   in Loop: Header=BB87_7 Depth=2
	s_or_b64 exec, exec, s[4:5]
	s_or_b64 s[4:5], s[8:9], s[10:11]
	s_or_b64 s[4:5], s[4:5], s[52:53]
	s_nor_b64 s[4:5], s[14:15], s[4:5]
	s_and_saveexec_b64 s[10:11], s[4:5]
	s_xor_b64 s[4:5], exec, s[10:11]
	s_cbranch_execz .LBB87_33
; %bb.32:                               ;   in Loop: Header=BB87_7 Depth=2
	global_load_dwordx2 v[0:1], v[2:3], off offset:128
	s_waitcnt vmcnt(0)
	ds_write_b64 v55, v[0:1] offset:4224
.LBB87_33:                              ;   in Loop: Header=BB87_7 Depth=2
	s_andn2_saveexec_b64 s[4:5], s[4:5]
	s_cbranch_execz .LBB87_39
; %bb.34:                               ;   in Loop: Header=BB87_7 Depth=2
	s_and_saveexec_b64 s[10:11], s[50:51]
	s_xor_b64 s[10:11], exec, s[10:11]
; %bb.35:                               ;   in Loop: Header=BB87_7 Depth=2
	ds_write_b64 v55, v[68:69] offset:4224
; %bb.36:                               ;   in Loop: Header=BB87_7 Depth=2
	s_andn2_saveexec_b64 s[10:11], s[10:11]
; %bb.37:                               ;   in Loop: Header=BB87_7 Depth=2
	ds_write_b64 v55, v[34:35] offset:4224
; %bb.38:                               ;   in Loop: Header=BB87_7 Depth=2
	s_or_b64 exec, exec, s[10:11]
.LBB87_39:                              ;   in Loop: Header=BB87_7 Depth=2
	s_or_b64 exec, exec, s[4:5]
	v_lshl_add_u64 v[0:1], v[12:13], 0, s[48:49]
	v_cmp_le_i64_e64 s[10:11], s[34:35], v[0:1]
	v_lshl_add_u64 v[2:3], v[50:51], 0, v[30:31]
	s_nor_b64 s[12:13], s[10:11], vcc
	v_mov_b64_e32 v[4:5], 0
	s_and_saveexec_b64 s[4:5], s[12:13]
	s_cbranch_execz .LBB87_41
; %bb.40:                               ;   in Loop: Header=BB87_7 Depth=2
	global_load_dwordx2 v[4:5], v[2:3], off offset:-128
.LBB87_41:                              ;   in Loop: Header=BB87_7 Depth=2
	s_or_b64 exec, exec, s[4:5]
	s_nor_b64 s[4:5], s[10:11], s[0:1]
	s_waitcnt vmcnt(0)
	ds_write_b64 v59, v[4:5]
	s_and_saveexec_b64 s[10:11], s[4:5]
	s_xor_b64 s[4:5], exec, s[10:11]
	s_cbranch_execz .LBB87_43
; %bb.42:                               ;   in Loop: Header=BB87_7 Depth=2
	global_load_dwordx2 v[2:3], v[2:3], off
	s_waitcnt vmcnt(0)
	ds_write_b64 v59, v[2:3] offset:128
.LBB87_43:                              ;   in Loop: Header=BB87_7 Depth=2
	s_andn2_saveexec_b64 s[4:5], s[4:5]
; %bb.44:                               ;   in Loop: Header=BB87_7 Depth=2
	ds_write_b64 v59, v[68:69] offset:128
; %bb.45:                               ;   in Loop: Header=BB87_7 Depth=2
	s_or_b64 exec, exec, s[4:5]
	v_cmp_le_i64_e64 s[10:11], s[46:47], v[0:1]
	v_lshl_add_u64 v[0:1], v[50:51], 0, v[32:33]
	s_nor_b64 s[12:13], s[10:11], vcc
	v_mov_b64_e32 v[2:3], 0
	s_and_saveexec_b64 s[4:5], s[12:13]
	s_cbranch_execz .LBB87_47
; %bb.46:                               ;   in Loop: Header=BB87_7 Depth=2
	global_load_dwordx2 v[2:3], v[0:1], off
.LBB87_47:                              ;   in Loop: Header=BB87_7 Depth=2
	s_or_b64 exec, exec, s[4:5]
	s_nor_b64 s[4:5], s[10:11], s[0:1]
	s_waitcnt vmcnt(0)
	ds_write_b64 v59, v[2:3] offset:4096
	s_and_saveexec_b64 s[10:11], s[4:5]
	s_xor_b64 s[4:5], exec, s[10:11]
	s_cbranch_execz .LBB87_49
; %bb.48:                               ;   in Loop: Header=BB87_7 Depth=2
	global_load_dwordx2 v[0:1], v[0:1], off offset:128
	s_waitcnt vmcnt(0)
	ds_write_b64 v59, v[0:1] offset:4224
.LBB87_49:                              ;   in Loop: Header=BB87_7 Depth=2
	s_andn2_saveexec_b64 s[4:5], s[4:5]
	s_cbranch_execz .LBB87_6
; %bb.50:                               ;   in Loop: Header=BB87_7 Depth=2
	ds_write_b64 v59, v[68:69] offset:4224
	s_branch .LBB87_6
.LBB87_51:                              ;   in Loop: Header=BB87_4 Depth=1
	v_mul_lo_u32 v2, s21, v36
	v_mul_lo_u32 v3, s20, v37
	v_mad_u64_u32 v[0:1], s[4:5], s20, v36, 0
	v_cmp_gt_i32_e64 s[6:7], s26, v36
	v_add3_u32 v1, v1, v3, v2
	v_lshl_add_u64 v[0:1], v[0:1], 3, s[22:23]
	s_and_b64 s[8:9], s[16:17], s[6:7]
	s_and_saveexec_b64 s[4:5], s[8:9]
	s_cbranch_execz .LBB87_53
; %bb.52:                               ;   in Loop: Header=BB87_4 Depth=1
	v_lshl_add_u64 v[2:3], v[16:17], 3, v[0:1]
	global_load_dwordx2 v[4:5], v[2:3], off
	v_pk_mul_f32 v[6:7], v[66:67], s[24:25] op_sel_hi:[0,1]
	v_pk_fma_f32 v[8:9], v[64:65], s[28:29], v[6:7] neg_lo:[0,0,1] neg_hi:[0,0,1]
	v_pk_fma_f32 v[6:7], v[64:65], s[28:29], v[6:7] op_sel_hi:[0,1,1]
	v_mov_b32_e32 v9, v7
	s_waitcnt vmcnt(0)
	v_pk_add_f32 v[4:5], v[4:5], v[8:9]
	global_store_dwordx2 v[2:3], v[4:5], off
.LBB87_53:                              ;   in Loop: Header=BB87_4 Depth=1
	s_or_b64 exec, exec, s[4:5]
	s_and_b64 s[6:7], s[18:19], s[6:7]
	s_and_saveexec_b64 s[4:5], s[6:7]
	s_cbranch_execz .LBB87_55
; %bb.54:                               ;   in Loop: Header=BB87_4 Depth=1
	v_lshl_add_u64 v[0:1], v[22:23], 3, v[0:1]
	global_load_dwordx2 v[2:3], v[0:1], off
	v_pk_mul_f32 v[4:5], v[62:63], s[24:25] op_sel_hi:[0,1]
	v_pk_fma_f32 v[6:7], v[60:61], s[28:29], v[4:5] neg_lo:[0,0,1] neg_hi:[0,0,1]
	v_pk_fma_f32 v[4:5], v[60:61], s[28:29], v[4:5] op_sel_hi:[0,1,1]
	v_mov_b32_e32 v7, v5
	s_waitcnt vmcnt(0)
	v_pk_add_f32 v[2:3], v[2:3], v[6:7]
	global_store_dwordx2 v[0:1], v[2:3], off
.LBB87_55:                              ;   in Loop: Header=BB87_4 Depth=1
	s_or_b64 exec, exec, s[4:5]
	v_add_u32_e32 v0, 16, v36
	v_ashrrev_i32_e32 v1, 31, v0
	v_cmp_gt_i32_e64 s[6:7], s26, v0
	v_mul_lo_u32 v2, s20, v1
	v_mul_lo_u32 v3, s21, v0
	v_mad_u64_u32 v[0:1], s[4:5], s20, v0, 0
	v_add3_u32 v1, v1, v2, v3
	v_lshl_add_u64 v[0:1], v[0:1], 3, s[22:23]
	s_and_b64 s[8:9], s[16:17], s[6:7]
	s_and_saveexec_b64 s[4:5], s[8:9]
	s_cbranch_execz .LBB87_57
; %bb.56:                               ;   in Loop: Header=BB87_4 Depth=1
	v_lshl_add_u64 v[2:3], v[16:17], 3, v[0:1]
	global_load_dwordx2 v[4:5], v[2:3], off
	v_pk_mul_f32 v[6:7], v[58:59], s[24:25] op_sel_hi:[0,1]
	v_pk_fma_f32 v[8:9], v[56:57], s[28:29], v[6:7] neg_lo:[0,0,1] neg_hi:[0,0,1]
	v_pk_fma_f32 v[6:7], v[56:57], s[28:29], v[6:7] op_sel_hi:[0,1,1]
	v_mov_b32_e32 v9, v7
	s_waitcnt vmcnt(0)
	v_pk_add_f32 v[4:5], v[4:5], v[8:9]
	global_store_dwordx2 v[2:3], v[4:5], off
.LBB87_57:                              ;   in Loop: Header=BB87_4 Depth=1
	s_or_b64 exec, exec, s[4:5]
	s_and_b64 s[6:7], s[18:19], s[6:7]
	s_and_saveexec_b64 s[4:5], s[6:7]
	s_cbranch_execz .LBB87_3
; %bb.58:                               ;   in Loop: Header=BB87_4 Depth=1
	v_lshl_add_u64 v[0:1], v[22:23], 3, v[0:1]
	global_load_dwordx2 v[2:3], v[0:1], off
	v_pk_mul_f32 v[4:5], v[52:53], s[24:25] op_sel_hi:[0,1]
	v_pk_fma_f32 v[6:7], v[54:55], s[28:29], v[4:5] neg_lo:[0,0,1] neg_hi:[0,0,1]
	v_pk_fma_f32 v[4:5], v[54:55], s[28:29], v[4:5] op_sel_hi:[0,1,1]
	v_mov_b32_e32 v7, v5
	s_waitcnt vmcnt(0)
	v_pk_add_f32 v[2:3], v[2:3], v[6:7]
	global_store_dwordx2 v[0:1], v[2:3], off
	s_branch .LBB87_3
.LBB87_59:
	s_endpgm
	.section	.rodata,"a",@progbits
	.p2align	6, 0x0
	.amdhsa_kernel _ZL30rocblas_trmm_outofplace_kernelI19rocblas_complex_numIfELi32ELi2ELb0ELb1ELb0ELb0ES1_KS1_S1_Ev17rocblas_diagonal_iiT6_lPT7_lllS6_lllPT8_llli
		.amdhsa_group_segment_fixed_size 16384
		.amdhsa_private_segment_fixed_size 0
		.amdhsa_kernarg_size 392
		.amdhsa_user_sgpr_count 2
		.amdhsa_user_sgpr_dispatch_ptr 0
		.amdhsa_user_sgpr_queue_ptr 0
		.amdhsa_user_sgpr_kernarg_segment_ptr 1
		.amdhsa_user_sgpr_dispatch_id 0
		.amdhsa_user_sgpr_kernarg_preload_length 0
		.amdhsa_user_sgpr_kernarg_preload_offset 0
		.amdhsa_user_sgpr_private_segment_size 0
		.amdhsa_uses_dynamic_stack 0
		.amdhsa_enable_private_segment 0
		.amdhsa_system_sgpr_workgroup_id_x 1
		.amdhsa_system_sgpr_workgroup_id_y 1
		.amdhsa_system_sgpr_workgroup_id_z 1
		.amdhsa_system_sgpr_workgroup_info 0
		.amdhsa_system_vgpr_workitem_id 1
		.amdhsa_next_free_vgpr 90
		.amdhsa_next_free_sgpr 60
		.amdhsa_accum_offset 92
		.amdhsa_reserve_vcc 1
		.amdhsa_float_round_mode_32 0
		.amdhsa_float_round_mode_16_64 0
		.amdhsa_float_denorm_mode_32 3
		.amdhsa_float_denorm_mode_16_64 3
		.amdhsa_dx10_clamp 1
		.amdhsa_ieee_mode 1
		.amdhsa_fp16_overflow 0
		.amdhsa_tg_split 0
		.amdhsa_exception_fp_ieee_invalid_op 0
		.amdhsa_exception_fp_denorm_src 0
		.amdhsa_exception_fp_ieee_div_zero 0
		.amdhsa_exception_fp_ieee_overflow 0
		.amdhsa_exception_fp_ieee_underflow 0
		.amdhsa_exception_fp_ieee_inexact 0
		.amdhsa_exception_int_div_zero 0
	.end_amdhsa_kernel
	.section	.text._ZL30rocblas_trmm_outofplace_kernelI19rocblas_complex_numIfELi32ELi2ELb0ELb1ELb0ELb0ES1_KS1_S1_Ev17rocblas_diagonal_iiT6_lPT7_lllS6_lllPT8_llli,"axG",@progbits,_ZL30rocblas_trmm_outofplace_kernelI19rocblas_complex_numIfELi32ELi2ELb0ELb1ELb0ELb0ES1_KS1_S1_Ev17rocblas_diagonal_iiT6_lPT7_lllS6_lllPT8_llli,comdat
.Lfunc_end87:
	.size	_ZL30rocblas_trmm_outofplace_kernelI19rocblas_complex_numIfELi32ELi2ELb0ELb1ELb0ELb0ES1_KS1_S1_Ev17rocblas_diagonal_iiT6_lPT7_lllS6_lllPT8_llli, .Lfunc_end87-_ZL30rocblas_trmm_outofplace_kernelI19rocblas_complex_numIfELi32ELi2ELb0ELb1ELb0ELb0ES1_KS1_S1_Ev17rocblas_diagonal_iiT6_lPT7_lllS6_lllPT8_llli
                                        ; -- End function
	.set _ZL30rocblas_trmm_outofplace_kernelI19rocblas_complex_numIfELi32ELi2ELb0ELb1ELb0ELb0ES1_KS1_S1_Ev17rocblas_diagonal_iiT6_lPT7_lllS6_lllPT8_llli.num_vgpr, 90
	.set _ZL30rocblas_trmm_outofplace_kernelI19rocblas_complex_numIfELi32ELi2ELb0ELb1ELb0ELb0ES1_KS1_S1_Ev17rocblas_diagonal_iiT6_lPT7_lllS6_lllPT8_llli.num_agpr, 0
	.set _ZL30rocblas_trmm_outofplace_kernelI19rocblas_complex_numIfELi32ELi2ELb0ELb1ELb0ELb0ES1_KS1_S1_Ev17rocblas_diagonal_iiT6_lPT7_lllS6_lllPT8_llli.numbered_sgpr, 60
	.set _ZL30rocblas_trmm_outofplace_kernelI19rocblas_complex_numIfELi32ELi2ELb0ELb1ELb0ELb0ES1_KS1_S1_Ev17rocblas_diagonal_iiT6_lPT7_lllS6_lllPT8_llli.num_named_barrier, 0
	.set _ZL30rocblas_trmm_outofplace_kernelI19rocblas_complex_numIfELi32ELi2ELb0ELb1ELb0ELb0ES1_KS1_S1_Ev17rocblas_diagonal_iiT6_lPT7_lllS6_lllPT8_llli.private_seg_size, 0
	.set _ZL30rocblas_trmm_outofplace_kernelI19rocblas_complex_numIfELi32ELi2ELb0ELb1ELb0ELb0ES1_KS1_S1_Ev17rocblas_diagonal_iiT6_lPT7_lllS6_lllPT8_llli.uses_vcc, 1
	.set _ZL30rocblas_trmm_outofplace_kernelI19rocblas_complex_numIfELi32ELi2ELb0ELb1ELb0ELb0ES1_KS1_S1_Ev17rocblas_diagonal_iiT6_lPT7_lllS6_lllPT8_llli.uses_flat_scratch, 0
	.set _ZL30rocblas_trmm_outofplace_kernelI19rocblas_complex_numIfELi32ELi2ELb0ELb1ELb0ELb0ES1_KS1_S1_Ev17rocblas_diagonal_iiT6_lPT7_lllS6_lllPT8_llli.has_dyn_sized_stack, 0
	.set _ZL30rocblas_trmm_outofplace_kernelI19rocblas_complex_numIfELi32ELi2ELb0ELb1ELb0ELb0ES1_KS1_S1_Ev17rocblas_diagonal_iiT6_lPT7_lllS6_lllPT8_llli.has_recursion, 0
	.set _ZL30rocblas_trmm_outofplace_kernelI19rocblas_complex_numIfELi32ELi2ELb0ELb1ELb0ELb0ES1_KS1_S1_Ev17rocblas_diagonal_iiT6_lPT7_lllS6_lllPT8_llli.has_indirect_call, 0
	.section	.AMDGPU.csdata,"",@progbits
; Kernel info:
; codeLenInByte = 6260
; TotalNumSgprs: 66
; NumVgprs: 90
; NumAgprs: 0
; TotalNumVgprs: 90
; ScratchSize: 0
; MemoryBound: 1
; FloatMode: 240
; IeeeMode: 1
; LDSByteSize: 16384 bytes/workgroup (compile time only)
; SGPRBlocks: 8
; VGPRBlocks: 11
; NumSGPRsForWavesPerEU: 66
; NumVGPRsForWavesPerEU: 90
; AccumOffset: 92
; Occupancy: 5
; WaveLimiterHint : 0
; COMPUTE_PGM_RSRC2:SCRATCH_EN: 0
; COMPUTE_PGM_RSRC2:USER_SGPR: 2
; COMPUTE_PGM_RSRC2:TRAP_HANDLER: 0
; COMPUTE_PGM_RSRC2:TGID_X_EN: 1
; COMPUTE_PGM_RSRC2:TGID_Y_EN: 1
; COMPUTE_PGM_RSRC2:TGID_Z_EN: 1
; COMPUTE_PGM_RSRC2:TIDIG_COMP_CNT: 1
; COMPUTE_PGM_RSRC3_GFX90A:ACCUM_OFFSET: 22
; COMPUTE_PGM_RSRC3_GFX90A:TG_SPLIT: 0
	.section	.text._ZL30rocblas_trmm_outofplace_kernelI19rocblas_complex_numIfELi32ELi2ELb0ELb0ELb1ELb0EPKS1_S2_S1_Ev17rocblas_diagonal_iiT6_lPT7_lllS7_lllPT8_llli,"axG",@progbits,_ZL30rocblas_trmm_outofplace_kernelI19rocblas_complex_numIfELi32ELi2ELb0ELb0ELb1ELb0EPKS1_S2_S1_Ev17rocblas_diagonal_iiT6_lPT7_lllS7_lllPT8_llli,comdat
	.globl	_ZL30rocblas_trmm_outofplace_kernelI19rocblas_complex_numIfELi32ELi2ELb0ELb0ELb1ELb0EPKS1_S2_S1_Ev17rocblas_diagonal_iiT6_lPT7_lllS7_lllPT8_llli ; -- Begin function _ZL30rocblas_trmm_outofplace_kernelI19rocblas_complex_numIfELi32ELi2ELb0ELb0ELb1ELb0EPKS1_S2_S1_Ev17rocblas_diagonal_iiT6_lPT7_lllS7_lllPT8_llli
	.p2align	8
	.type	_ZL30rocblas_trmm_outofplace_kernelI19rocblas_complex_numIfELi32ELi2ELb0ELb0ELb1ELb0EPKS1_S2_S1_Ev17rocblas_diagonal_iiT6_lPT7_lllS7_lllPT8_llli,@function
_ZL30rocblas_trmm_outofplace_kernelI19rocblas_complex_numIfELi32ELi2ELb0ELb0ELb1ELb0EPKS1_S2_S1_Ev17rocblas_diagonal_iiT6_lPT7_lllS7_lllPT8_llli: ; @_ZL30rocblas_trmm_outofplace_kernelI19rocblas_complex_numIfELi32ELi2ELb0ELb0ELb1ELb0EPKS1_S2_S1_Ev17rocblas_diagonal_iiT6_lPT7_lllS7_lllPT8_llli
; %bb.0:
	s_load_dwordx16 s[16:31], s[0:1], 0x10
	s_waitcnt lgkmcnt(0)
	s_mul_i32 s5, s19, s4
	s_mul_hi_u32 s6, s18, s4
	s_add_i32 s7, s6, s5
	s_mul_i32 s6, s18, s4
	s_lshl_b64 s[6:7], s[6:7], 3
	s_add_u32 s6, s16, s6
	s_addc_u32 s7, s17, s7
	s_load_dwordx2 s[34:35], s[6:7], 0x0
	s_waitcnt lgkmcnt(0)
	s_or_b32 s5, s34, s35
	s_bitset0_b32 s5, 31
	s_cmp_eq_u32 s5, 0
	s_cbranch_scc1 .LBB88_59
; %bb.1:
	s_load_dwordx4 s[36:39], s[0:1], 0x0
	s_waitcnt lgkmcnt(0)
	s_add_i32 s5, s38, -1
	s_ashr_i32 s6, s5, 31
	s_lshr_b32 s6, s6, 27
	s_add_i32 s5, s5, s6
	s_ashr_i32 s33, s5, 5
	s_cmp_gt_i32 s3, s33
	s_cbranch_scc1 .LBB88_59
; %bb.2:
	s_mul_i32 s5, s27, s4
	s_mul_hi_u32 s6, s26, s4
	s_load_dwordx8 s[8:15], s[0:1], 0x50
	s_load_dwordx4 s[40:43], s[0:1], 0x70
	s_add_i32 s7, s6, s5
	s_mul_i32 s6, s26, s4
	s_lshl_b64 s[18:19], s[6:7], 3
	s_add_u32 s5, s20, s18
	s_addc_u32 s7, s21, s19
	s_lshl_b64 s[44:45], s[22:23], 3
	s_add_u32 s6, s5, s44
	s_waitcnt lgkmcnt(0)
	s_mul_i32 s5, s11, s4
	s_mul_hi_u32 s11, s10, s4
	s_addc_u32 s7, s7, s45
	s_add_i32 s11, s11, s5
	s_mul_i32 s10, s10, s4
	s_lshl_b64 s[10:11], s[10:11], 3
	s_add_u32 s5, s28, s10
	s_addc_u32 s16, s29, s11
	s_lshl_b64 s[10:11], s[30:31], 3
	s_add_u32 s10, s5, s10
	s_load_dword s48, s[0:1], 0x8c
	s_mul_i32 s0, s43, s4
	s_mul_hi_u32 s1, s42, s4
	s_addc_u32 s11, s16, s11
	s_add_i32 s1, s1, s0
	s_mul_i32 s0, s42, s4
	s_lshl_b64 s[0:1], s[0:1], 3
	s_add_u32 s4, s12, s0
	s_addc_u32 s5, s13, s1
	s_lshl_b64 s[0:1], s[14:15], 3
	s_add_u32 s22, s4, s0
	v_and_b32_e32 v14, 0x3ff, v0
	v_bfe_u32 v12, v0, 10, 10
	s_addc_u32 s23, s5, s1
	v_mad_u64_u32 v[0:1], s[0:1], s24, v14, 0
	v_mov_b32_e32 v2, v1
	v_mad_u64_u32 v[2:3], s[0:1], s25, v14, v[2:3]
	s_cmpk_eq_i32 s36, 0x84
	v_lshl_add_u32 v16, s2, 5, v14
	v_mov_b32_e32 v1, v2
	s_cselect_b64 s[26:27], -1, 0
	s_ashr_i32 s0, s37, 31
	v_ashrrev_i32_e32 v17, 31, v16
	v_lshl_add_u64 v[18:19], v[0:1], 3, s[6:7]
	v_mov_b32_e32 v1, s0
	v_sub_co_u32_e32 v0, vcc, s37, v16
	v_sub_co_u32_e64 v24, s[6:7], 0, v14
	s_nop 0
	v_subb_co_u32_e32 v1, vcc, v1, v17, vcc
	s_ashr_i32 s39, s38, 31
	s_lshl_b64 s[28:29], s[24:25], 8
	s_lshl_b64 s[30:31], s[8:9], 8
	v_cmp_gt_i64_e32 vcc, 1, v[0:1]
	v_cmp_gt_i64_e64 s[0:1], 17, v[0:1]
	v_subb_co_u32_e64 v25, s[6:7], 0, 0, s[6:7]
	v_mad_u64_u32 v[0:1], s[6:7], s8, v12, 0
	s_add_u32 s42, s38, -16
	v_mov_b32_e32 v2, v1
	s_addc_u32 s43, s39, -1
	s_waitcnt lgkmcnt(0)
	s_lshl_b32 s2, s48, 5
	v_mad_u64_u32 v[2:3], s[6:7], s9, v12, v[2:3]
	s_add_u32 s6, s20, s44
	s_addc_u32 s7, s21, s45
	s_add_u32 s6, s6, s18
	v_lshlrev_b32_e32 v4, 3, v14
	v_mov_b32_e32 v1, v2
	v_mov_b64_e32 v[2:3], 0x80
	s_addc_u32 s7, s7, s19
	v_lshl_add_u64 v[28:29], v[0:1], 3, v[2:3]
	v_add_u32_e32 v2, 0x80, v4
	v_mov_b64_e32 v[0:1], s[6:7]
	v_mad_u64_u32 v[30:31], s[6:7], s24, v2, v[0:1]
	v_mov_b32_e32 v0, v31
	v_mad_u64_u32 v[0:1], s[6:7], s25, v2, v[0:1]
	v_mov_b32_e32 v31, v0
	v_mov_b32_e32 v0, 0x80
	v_lshl_add_u32 v1, v12, 3, v0
	v_mad_u64_u32 v[32:33], s[6:7], s8, v1, 0
	v_mov_b32_e32 v0, v33
	v_mov_b32_e32 v15, 0
	v_lshlrev_b32_e32 v55, 8, v12
	v_or_b32_e32 v59, 0x2000, v4
	v_add_u32_e32 v22, 16, v16
	v_mad_u64_u32 v[0:1], s[6:7], s9, v1, v[0:1]
	v_mov_b32_e32 v13, v15
	v_lshl_add_u64 v[20:21], v[16:17], 3, s[10:11]
	v_add_u32_e32 v57, v55, v4
	v_add_u32_e32 v61, v59, v55
	v_cmp_gt_i32_e64 s[16:17], s37, v16
	v_cmp_gt_i32_e64 s[4:5], s37, v22
	v_ashrrev_i32_e32 v23, 31, v22
	s_mov_b32 s36, s35
	s_mov_b32 s37, s34
	v_lshl_add_u32 v26, s3, 5, v12
	v_mov_b32_e32 v33, v0
	v_mov_b32_e32 v70, v15
	;; [unrolled: 1-line block ×3, first 2 shown]
	v_mov_b32_e32 v34, 1.0
	v_mov_b32_e32 v35, v15
	v_add_u32_e32 v63, 0x800, v59
	v_add_u32_e32 v65, 0x1000, v59
	;; [unrolled: 1-line block ×3, first 2 shown]
	s_branch .LBB88_4
.LBB88_3:                               ;   in Loop: Header=BB88_4 Depth=1
	s_or_b64 exec, exec, s[6:7]
	s_add_i32 s3, s48, s3
	s_cmp_le_i32 s3, s33
	v_add_u32_e32 v26, s2, v26
	s_cbranch_scc0 .LBB88_59
.LBB88_4:                               ; =>This Loop Header: Depth=1
                                        ;     Child Loop BB88_7 Depth 2
	s_lshl_b32 s49, s3, 5
	v_add_u32_e32 v36, s49, v12
	v_ashrrev_i32_e32 v37, 31, v36
	s_cmp_lt_i32 s3, 0
	v_mov_b32_e32 v66, 0
	v_mov_b32_e32 v68, 0
	;; [unrolled: 1-line block ×8, first 2 shown]
	s_cbranch_scc1 .LBB88_51
; %bb.5:                                ;   in Loop: Header=BB88_4 Depth=1
	v_ashrrev_i32_e32 v27, 31, v26
	v_lshl_add_u64 v[38:39], v[24:25], 0, v[26:27]
	v_lshl_add_u64 v[42:43], v[36:37], 0, 16
	v_lshlrev_b64 v[40:41], 3, v[26:27]
	v_cmp_le_i32_e64 s[6:7], s38, v36
	v_cmp_le_i64_e64 s[8:9], s[38:39], v[42:43]
	v_lshl_add_u64 v[44:45], v[38:39], 0, 16
	v_lshl_add_u64 v[46:47], v[38:39], 0, -16
	v_mov_b32_e32 v54, 0
	s_mov_b64 s[20:21], 0
	v_mov_b64_e32 v[48:49], v[18:19]
	v_mov_b64_e32 v[50:51], v[30:31]
	;; [unrolled: 1-line block ×3, first 2 shown]
	v_mov_b32_e32 v56, 0
	v_mov_b32_e32 v60, 0
	;; [unrolled: 1-line block ×7, first 2 shown]
	s_branch .LBB88_7
.LBB88_6:                               ;   in Loop: Header=BB88_7 Depth=2
	s_or_b64 exec, exec, s[10:11]
	s_waitcnt lgkmcnt(0)
	s_barrier
	ds_read2_b64 v[72:75], v59 offset1:16
	ds_read_b128 v[76:79], v55
	ds_read_b128 v[8:11], v55 offset:16
	ds_read_b128 v[4:7], v55 offset:32
	;; [unrolled: 1-line block ×5, first 2 shown]
	s_waitcnt lgkmcnt(5)
	v_mul_f32_e32 v27, v77, v73
	v_mul_f32_e32 v69, v76, v73
	v_fma_f32 v27, v76, v72, -v27
	v_fmac_f32_e32 v69, v77, v72
	v_add_f32_e32 v27, v66, v27
	v_add_f32_e32 v66, v68, v69
	v_mul_f32_e32 v68, v77, v75
	v_fma_f32 v68, v76, v74, -v68
	ds_read2_b64 v[88:91], v59 offset0:32 offset1:48
	v_add_f32_e32 v62, v62, v68
	s_waitcnt lgkmcnt(2)
	v_mul_f32_e32 v68, v81, v73
	v_mul_f32_e32 v69, v76, v75
	v_fma_f32 v68, v80, v72, -v68
	v_fmac_f32_e32 v69, v77, v74
	v_add_f32_e32 v58, v58, v68
	v_mul_f32_e32 v68, v81, v75
	v_add_f32_e32 v64, v64, v69
	v_mul_f32_e32 v69, v80, v73
	v_fma_f32 v68, v80, v74, -v68
	v_fmac_f32_e32 v69, v81, v72
	v_add_f32_e32 v56, v56, v68
	s_waitcnt lgkmcnt(0)
	v_mul_f32_e32 v68, v79, v89
	v_add_f32_e32 v60, v60, v69
	v_mul_f32_e32 v69, v80, v75
	v_fma_f32 v68, v78, v88, -v68
	v_fmac_f32_e32 v69, v81, v74
	v_add_f32_e32 v27, v27, v68
	v_mul_f32_e32 v68, v79, v91
	v_add_f32_e32 v54, v54, v69
	v_mul_f32_e32 v69, v78, v89
	v_fma_f32 v68, v78, v90, -v68
	ds_read2_b64 v[72:75], v59 offset0:64 offset1:80
	v_fmac_f32_e32 v69, v79, v88
	v_add_f32_e32 v62, v62, v68
	v_mul_f32_e32 v68, v83, v89
	v_add_f32_e32 v66, v66, v69
	v_mul_f32_e32 v69, v78, v91
	v_fma_f32 v68, v82, v88, -v68
	v_fmac_f32_e32 v69, v79, v90
	v_add_f32_e32 v58, v58, v68
	v_mul_f32_e32 v68, v83, v91
	v_add_f32_e32 v64, v64, v69
	v_mul_f32_e32 v69, v82, v89
	v_fma_f32 v68, v82, v90, -v68
	v_fmac_f32_e32 v69, v83, v88
	v_add_f32_e32 v56, v56, v68
	s_waitcnt lgkmcnt(0)
	v_mul_f32_e32 v68, v9, v73
	v_add_f32_e32 v60, v60, v69
	v_mul_f32_e32 v69, v82, v91
	v_fma_f32 v68, v8, v72, -v68
	v_fmac_f32_e32 v69, v83, v90
	v_add_f32_e32 v27, v27, v68
	v_mul_f32_e32 v68, v9, v75
	v_add_f32_e32 v54, v54, v69
	v_mul_f32_e32 v69, v8, v73
	v_fma_f32 v68, v8, v74, -v68
	v_mul_f32_e32 v8, v8, v75
	v_fmac_f32_e32 v8, v9, v74
	ds_read2_b64 v[76:79], v59 offset0:96 offset1:112
	v_fmac_f32_e32 v69, v9, v72
	v_add_f32_e32 v9, v62, v68
	v_add_f32_e32 v8, v64, v8
	v_mul_f32_e32 v62, v85, v73
	v_mul_f32_e32 v64, v84, v73
	v_fma_f32 v62, v84, v72, -v62
	v_fmac_f32_e32 v64, v85, v72
	v_add_f32_e32 v58, v58, v62
	v_add_f32_e32 v60, v60, v64
	v_mul_f32_e32 v62, v85, v75
	v_mul_f32_e32 v64, v84, v75
	v_fma_f32 v62, v84, v74, -v62
	v_fmac_f32_e32 v64, v85, v74
	v_add_f32_e32 v56, v56, v62
	v_add_f32_e32 v54, v54, v64
	s_waitcnt lgkmcnt(0)
	v_mul_f32_e32 v62, v11, v77
	v_mul_f32_e32 v64, v10, v77
	v_add_f32_e32 v66, v66, v69
	v_fma_f32 v62, v10, v76, -v62
	v_fmac_f32_e32 v64, v11, v76
	v_add_f32_e32 v27, v27, v62
	v_add_f32_e32 v62, v66, v64
	v_mul_f32_e32 v64, v11, v79
	v_fma_f32 v64, v10, v78, -v64
	v_mul_f32_e32 v10, v10, v79
	v_fmac_f32_e32 v10, v11, v78
	v_add_f32_e32 v66, v8, v10
	v_mul_f32_e32 v8, v87, v77
	v_add_f32_e32 v64, v9, v64
	v_fma_f32 v8, v86, v76, -v8
	v_mul_f32_e32 v9, v86, v77
	v_fmac_f32_e32 v9, v87, v76
	v_add_f32_e32 v58, v58, v8
	v_mul_f32_e32 v8, v87, v79
	v_add_f32_e32 v60, v60, v9
	v_fma_f32 v68, v86, v78, -v8
	ds_read2_b64 v[8:11], v59 offset0:128 offset1:144
	ds_read_b128 v[72:75], v55 offset:4128
	v_add_f32_e32 v56, v56, v68
	v_mul_f32_e32 v69, v86, v79
	v_fmac_f32_e32 v69, v87, v78
	s_waitcnt lgkmcnt(1)
	v_mul_f32_e32 v68, v5, v9
	v_fma_f32 v68, v4, v8, -v68
	v_add_f32_e32 v27, v27, v68
	v_mul_f32_e32 v68, v5, v11
	v_add_f32_e32 v54, v54, v69
	v_mul_f32_e32 v69, v4, v9
	v_fma_f32 v68, v4, v10, -v68
	v_mul_f32_e32 v4, v4, v11
	ds_read2_b64 v[80:83], v59 offset0:160 offset1:176
	v_fmac_f32_e32 v69, v5, v8
	v_fmac_f32_e32 v4, v5, v10
	v_add_f32_e32 v5, v64, v68
	ds_read_b128 v[76:79], v55 offset:4144
	s_waitcnt lgkmcnt(2)
	v_mul_f32_e32 v64, v73, v9
	v_fma_f32 v64, v72, v8, -v64
	v_mul_f32_e32 v9, v72, v9
	v_fmac_f32_e32 v9, v73, v8
	v_add_f32_e32 v8, v58, v64
	v_mul_f32_e32 v58, v73, v11
	v_mul_f32_e32 v11, v72, v11
	v_fma_f32 v58, v72, v10, -v58
	v_fmac_f32_e32 v11, v73, v10
	v_add_f32_e32 v10, v56, v58
	v_add_f32_e32 v11, v54, v11
	s_waitcnt lgkmcnt(1)
	v_mul_f32_e32 v54, v7, v81
	v_mul_f32_e32 v56, v6, v81
	v_add_f32_e32 v62, v62, v69
	v_fma_f32 v54, v6, v80, -v54
	v_fmac_f32_e32 v56, v7, v80
	v_add_f32_e32 v27, v27, v54
	v_add_f32_e32 v54, v62, v56
	v_mul_f32_e32 v56, v7, v83
	v_fma_f32 v56, v6, v82, -v56
	v_mul_f32_e32 v6, v6, v83
	v_add_f32_e32 v4, v66, v4
	v_fmac_f32_e32 v6, v7, v82
	v_add_f32_e32 v58, v4, v6
	v_mul_f32_e32 v4, v75, v81
	v_add_f32_e32 v56, v5, v56
	v_fma_f32 v4, v74, v80, -v4
	v_mul_f32_e32 v5, v74, v81
	v_add_f32_e32 v9, v60, v9
	v_fmac_f32_e32 v5, v75, v80
	v_add_f32_e32 v8, v8, v4
	v_mul_f32_e32 v4, v75, v83
	v_add_f32_e32 v9, v9, v5
	v_fma_f32 v60, v74, v82, -v4
	ds_read2_b64 v[4:7], v59 offset0:192 offset1:208
	v_add_f32_e32 v60, v10, v60
	v_mul_f32_e32 v62, v74, v83
	v_fmac_f32_e32 v62, v75, v82
	v_add_f32_e32 v62, v11, v62
	s_waitcnt lgkmcnt(0)
	v_mul_f32_e32 v10, v1, v5
	v_fma_f32 v10, v0, v4, -v10
	v_add_f32_e32 v27, v27, v10
	v_mul_f32_e32 v10, v1, v7
	v_mul_f32_e32 v11, v0, v5
	v_fma_f32 v10, v0, v6, -v10
	v_mul_f32_e32 v0, v0, v7
	v_fmac_f32_e32 v11, v1, v4
	v_fmac_f32_e32 v0, v1, v6
	v_add_f32_e32 v1, v56, v10
	v_mul_f32_e32 v10, v77, v5
	v_fma_f32 v10, v76, v4, -v10
	v_mul_f32_e32 v5, v76, v5
	v_fmac_f32_e32 v5, v77, v4
	v_add_f32_e32 v4, v8, v10
	v_mul_f32_e32 v8, v77, v7
	v_add_f32_e32 v54, v54, v11
	v_add_f32_e32 v5, v9, v5
	v_fma_f32 v56, v76, v6, -v8
	ds_read2_b64 v[8:11], v59 offset0:224 offset1:240
	v_mul_f32_e32 v7, v76, v7
	v_fmac_f32_e32 v7, v77, v6
	v_add_f32_e32 v0, v58, v0
	v_add_f32_e32 v58, v62, v7
	s_waitcnt lgkmcnt(0)
	v_mul_f32_e32 v6, v3, v9
	v_fma_f32 v6, v2, v8, -v6
	v_add_f32_e32 v27, v27, v6
	v_mul_f32_e32 v6, v3, v11
	v_mul_f32_e32 v7, v2, v9
	v_fma_f32 v6, v2, v10, -v6
	v_mul_f32_e32 v2, v2, v11
	v_fmac_f32_e32 v2, v3, v10
	v_add_f32_e32 v62, v0, v2
	v_mul_f32_e32 v0, v79, v9
	v_add_f32_e32 v56, v60, v56
	v_add_f32_e32 v60, v1, v6
	v_fma_f32 v0, v78, v8, -v0
	v_mul_f32_e32 v1, v78, v9
	v_fmac_f32_e32 v7, v3, v8
	v_fmac_f32_e32 v1, v79, v8
	v_add_f32_e32 v64, v4, v0
	v_mul_f32_e32 v0, v79, v11
	v_add_f32_e32 v54, v54, v7
	v_add_f32_e32 v66, v5, v1
	v_fma_f32 v8, v78, v10, -v0
	ds_read_b128 v[0:3], v55 offset:64
	ds_read2_b64 v[4:7], v63 offset1:16
	v_mul_f32_e32 v9, v78, v11
	v_fmac_f32_e32 v9, v79, v10
	v_add_f32_e32 v56, v56, v8
	v_add_f32_e32 v58, v58, v9
	ds_read_b128 v[8:11], v55 offset:80
	ds_read_b128 v[72:75], v55 offset:4160
	s_waitcnt lgkmcnt(2)
	v_mul_f32_e32 v68, v1, v5
	v_fma_f32 v68, v0, v4, -v68
	v_add_f32_e32 v27, v27, v68
	v_mul_f32_e32 v68, v1, v7
	v_mul_f32_e32 v69, v0, v5
	v_fma_f32 v68, v0, v6, -v68
	v_mul_f32_e32 v0, v0, v7
	ds_read2_b64 v[80:83], v63 offset0:32 offset1:48
	v_fmac_f32_e32 v69, v1, v4
	v_fmac_f32_e32 v0, v1, v6
	v_add_f32_e32 v1, v60, v68
	s_waitcnt lgkmcnt(1)
	v_mul_f32_e32 v60, v73, v5
	v_fma_f32 v60, v72, v4, -v60
	v_mul_f32_e32 v5, v72, v5
	v_fmac_f32_e32 v5, v73, v4
	v_add_f32_e32 v4, v64, v60
	v_mul_f32_e32 v60, v73, v7
	v_fma_f32 v60, v72, v6, -v60
	v_mul_f32_e32 v7, v72, v7
	v_fmac_f32_e32 v7, v73, v6
	v_add_f32_e32 v6, v56, v60
	s_waitcnt lgkmcnt(0)
	v_mul_f32_e32 v56, v3, v81
	v_fma_f32 v56, v2, v80, -v56
	v_add_f32_e32 v27, v27, v56
	v_mul_f32_e32 v56, v3, v83
	v_add_f32_e32 v7, v58, v7
	v_mul_f32_e32 v58, v2, v81
	v_fma_f32 v56, v2, v82, -v56
	v_mul_f32_e32 v2, v2, v83
	v_add_f32_e32 v54, v54, v69
	v_add_f32_e32 v0, v62, v0
	v_fmac_f32_e32 v58, v3, v80
	v_fmac_f32_e32 v2, v3, v82
	v_add_f32_e32 v54, v54, v58
	v_add_f32_e32 v58, v0, v2
	v_mul_f32_e32 v0, v75, v81
	v_add_f32_e32 v56, v1, v56
	v_fma_f32 v0, v74, v80, -v0
	v_mul_f32_e32 v1, v74, v81
	v_add_f32_e32 v5, v66, v5
	v_fmac_f32_e32 v1, v75, v80
	v_add_f32_e32 v4, v4, v0
	v_mul_f32_e32 v0, v75, v83
	v_add_f32_e32 v5, v5, v1
	v_fma_f32 v60, v74, v82, -v0
	ds_read2_b64 v[0:3], v63 offset0:64 offset1:80
	ds_read_b128 v[76:79], v55 offset:4176
	v_mul_f32_e32 v62, v74, v83
	v_add_f32_e32 v60, v6, v60
	v_fmac_f32_e32 v62, v75, v82
	s_waitcnt lgkmcnt(1)
	v_mul_f32_e32 v6, v9, v1
	v_fma_f32 v6, v8, v0, -v6
	v_add_f32_e32 v62, v7, v62
	v_mul_f32_e32 v7, v8, v1
	v_add_f32_e32 v27, v27, v6
	v_mul_f32_e32 v6, v9, v3
	v_fmac_f32_e32 v7, v9, v0
	v_fma_f32 v6, v8, v2, -v6
	v_add_f32_e32 v54, v54, v7
	v_mul_f32_e32 v7, v8, v3
	v_add_f32_e32 v8, v56, v6
	s_waitcnt lgkmcnt(0)
	v_mul_f32_e32 v6, v77, v1
	v_fma_f32 v6, v76, v0, -v6
	v_mul_f32_e32 v1, v76, v1
	v_fmac_f32_e32 v7, v9, v2
	v_fmac_f32_e32 v1, v77, v0
	v_add_f32_e32 v0, v4, v6
	v_mul_f32_e32 v4, v77, v3
	v_add_f32_e32 v9, v58, v7
	v_add_f32_e32 v1, v5, v1
	v_fma_f32 v56, v76, v2, -v4
	ds_read2_b64 v[4:7], v63 offset0:96 offset1:112
	v_mul_f32_e32 v3, v76, v3
	v_fmac_f32_e32 v3, v77, v2
	v_add_f32_e32 v58, v62, v3
	v_add_f32_e32 v56, v60, v56
	s_waitcnt lgkmcnt(0)
	v_mul_f32_e32 v2, v11, v5
	v_fma_f32 v2, v10, v4, -v2
	v_mul_f32_e32 v3, v10, v5
	v_fmac_f32_e32 v3, v11, v4
	v_add_f32_e32 v27, v27, v2
	v_mul_f32_e32 v2, v11, v7
	v_add_f32_e32 v54, v54, v3
	v_fma_f32 v2, v10, v6, -v2
	v_mul_f32_e32 v3, v10, v7
	v_fmac_f32_e32 v3, v11, v6
	v_add_f32_e32 v60, v8, v2
	v_mul_f32_e32 v2, v79, v5
	v_add_f32_e32 v62, v9, v3
	;; [unrolled: 6-line block ×3, first 2 shown]
	v_fma_f32 v4, v78, v6, -v0
	ds_read_b128 v[0:3], v55 offset:96
	ds_read2_b64 v[8:11], v63 offset0:128 offset1:144
	v_mul_f32_e32 v5, v78, v7
	v_fmac_f32_e32 v5, v79, v6
	v_add_f32_e32 v56, v56, v4
	v_add_f32_e32 v58, v58, v5
	ds_read_b128 v[4:7], v55 offset:112
	ds_read_b128 v[72:75], v55 offset:4192
	s_waitcnt lgkmcnt(2)
	v_mul_f32_e32 v68, v1, v9
	v_fma_f32 v68, v0, v8, -v68
	v_add_f32_e32 v27, v27, v68
	v_mul_f32_e32 v68, v1, v11
	v_mul_f32_e32 v69, v0, v9
	v_fma_f32 v68, v0, v10, -v68
	v_mul_f32_e32 v0, v0, v11
	ds_read2_b64 v[80:83], v63 offset0:160 offset1:176
	v_fmac_f32_e32 v69, v1, v8
	v_fmac_f32_e32 v0, v1, v10
	v_add_f32_e32 v1, v60, v68
	s_waitcnt lgkmcnt(1)
	v_mul_f32_e32 v60, v73, v9
	v_fma_f32 v60, v72, v8, -v60
	v_mul_f32_e32 v9, v72, v9
	v_fmac_f32_e32 v9, v73, v8
	v_add_f32_e32 v8, v64, v60
	v_mul_f32_e32 v60, v73, v11
	v_fma_f32 v60, v72, v10, -v60
	v_mul_f32_e32 v11, v72, v11
	v_fmac_f32_e32 v11, v73, v10
	v_add_f32_e32 v10, v56, v60
	s_waitcnt lgkmcnt(0)
	v_mul_f32_e32 v56, v3, v81
	v_fma_f32 v56, v2, v80, -v56
	v_add_f32_e32 v27, v27, v56
	v_mul_f32_e32 v56, v3, v83
	v_add_f32_e32 v11, v58, v11
	v_mul_f32_e32 v58, v2, v81
	v_fma_f32 v56, v2, v82, -v56
	v_mul_f32_e32 v2, v2, v83
	v_add_f32_e32 v54, v54, v69
	v_add_f32_e32 v0, v62, v0
	v_fmac_f32_e32 v58, v3, v80
	v_fmac_f32_e32 v2, v3, v82
	v_add_f32_e32 v54, v54, v58
	v_add_f32_e32 v58, v0, v2
	v_mul_f32_e32 v0, v75, v81
	v_add_f32_e32 v56, v1, v56
	v_fma_f32 v0, v74, v80, -v0
	v_mul_f32_e32 v1, v74, v81
	v_add_f32_e32 v9, v66, v9
	v_fmac_f32_e32 v1, v75, v80
	v_add_f32_e32 v8, v8, v0
	v_mul_f32_e32 v0, v75, v83
	v_add_f32_e32 v9, v9, v1
	v_fma_f32 v60, v74, v82, -v0
	ds_read2_b64 v[0:3], v63 offset0:192 offset1:208
	ds_read_b128 v[76:79], v55 offset:4208
	v_add_f32_e32 v60, v10, v60
	v_mul_f32_e32 v62, v74, v83
	v_fmac_f32_e32 v62, v75, v82
	s_waitcnt lgkmcnt(1)
	v_mul_f32_e32 v10, v5, v1
	v_fma_f32 v10, v4, v0, -v10
	v_add_f32_e32 v27, v27, v10
	v_mul_f32_e32 v10, v5, v3
	v_add_f32_e32 v62, v11, v62
	v_mul_f32_e32 v11, v4, v1
	v_fma_f32 v10, v4, v2, -v10
	v_mul_f32_e32 v4, v4, v3
	v_fmac_f32_e32 v11, v5, v0
	v_fmac_f32_e32 v4, v5, v2
	v_add_f32_e32 v5, v56, v10
	s_waitcnt lgkmcnt(0)
	v_mul_f32_e32 v10, v77, v1
	v_fma_f32 v10, v76, v0, -v10
	v_mul_f32_e32 v1, v76, v1
	v_fmac_f32_e32 v1, v77, v0
	v_add_f32_e32 v0, v8, v10
	v_mul_f32_e32 v8, v77, v3
	v_add_f32_e32 v54, v54, v11
	v_add_f32_e32 v1, v9, v1
	v_fma_f32 v56, v76, v2, -v8
	ds_read2_b64 v[8:11], v63 offset0:224 offset1:240
	v_mul_f32_e32 v3, v76, v3
	v_fmac_f32_e32 v3, v77, v2
	v_add_f32_e32 v4, v58, v4
	v_add_f32_e32 v58, v62, v3
	s_waitcnt lgkmcnt(0)
	v_mul_f32_e32 v2, v7, v9
	v_fma_f32 v2, v6, v8, -v2
	v_mul_f32_e32 v3, v6, v9
	v_fmac_f32_e32 v3, v7, v8
	v_add_f32_e32 v27, v27, v2
	v_mul_f32_e32 v2, v7, v11
	v_add_f32_e32 v54, v54, v3
	v_fma_f32 v2, v6, v10, -v2
	v_mul_f32_e32 v3, v6, v11
	v_add_f32_e32 v56, v60, v56
	v_fmac_f32_e32 v3, v7, v10
	v_add_f32_e32 v60, v5, v2
	v_mul_f32_e32 v2, v79, v9
	v_add_f32_e32 v62, v4, v3
	v_fma_f32 v2, v78, v8, -v2
	v_mul_f32_e32 v3, v78, v9
	v_fmac_f32_e32 v3, v79, v8
	v_add_f32_e32 v64, v0, v2
	v_mul_f32_e32 v0, v79, v11
	v_add_f32_e32 v66, v1, v3
	v_fma_f32 v8, v78, v10, -v0
	ds_read_b128 v[0:3], v55 offset:128
	ds_read2_b64 v[4:7], v65 offset1:16
	v_mul_f32_e32 v9, v78, v11
	v_fmac_f32_e32 v9, v79, v10
	v_add_f32_e32 v56, v56, v8
	v_add_f32_e32 v58, v58, v9
	ds_read_b128 v[8:11], v55 offset:144
	ds_read_b128 v[72:75], v55 offset:4224
	s_waitcnt lgkmcnt(2)
	v_mul_f32_e32 v68, v1, v5
	v_fma_f32 v68, v0, v4, -v68
	v_add_f32_e32 v27, v27, v68
	v_mul_f32_e32 v68, v1, v7
	v_mul_f32_e32 v69, v0, v5
	v_fma_f32 v68, v0, v6, -v68
	v_mul_f32_e32 v0, v0, v7
	ds_read2_b64 v[80:83], v65 offset0:32 offset1:48
	v_fmac_f32_e32 v69, v1, v4
	v_fmac_f32_e32 v0, v1, v6
	v_add_f32_e32 v1, v60, v68
	s_waitcnt lgkmcnt(1)
	v_mul_f32_e32 v60, v73, v5
	v_fma_f32 v60, v72, v4, -v60
	v_mul_f32_e32 v5, v72, v5
	v_fmac_f32_e32 v5, v73, v4
	v_add_f32_e32 v4, v64, v60
	v_mul_f32_e32 v60, v73, v7
	v_fma_f32 v60, v72, v6, -v60
	v_mul_f32_e32 v7, v72, v7
	v_fmac_f32_e32 v7, v73, v6
	v_add_f32_e32 v6, v56, v60
	s_waitcnt lgkmcnt(0)
	v_mul_f32_e32 v56, v3, v81
	v_fma_f32 v56, v2, v80, -v56
	v_add_f32_e32 v27, v27, v56
	v_mul_f32_e32 v56, v3, v83
	v_add_f32_e32 v7, v58, v7
	v_mul_f32_e32 v58, v2, v81
	v_fma_f32 v56, v2, v82, -v56
	v_mul_f32_e32 v2, v2, v83
	v_add_f32_e32 v54, v54, v69
	v_add_f32_e32 v0, v62, v0
	v_fmac_f32_e32 v58, v3, v80
	v_fmac_f32_e32 v2, v3, v82
	v_add_f32_e32 v54, v54, v58
	v_add_f32_e32 v58, v0, v2
	v_mul_f32_e32 v0, v75, v81
	v_add_f32_e32 v56, v1, v56
	v_fma_f32 v0, v74, v80, -v0
	v_mul_f32_e32 v1, v74, v81
	v_add_f32_e32 v5, v66, v5
	v_fmac_f32_e32 v1, v75, v80
	v_add_f32_e32 v4, v4, v0
	v_mul_f32_e32 v0, v75, v83
	v_add_f32_e32 v5, v5, v1
	v_fma_f32 v60, v74, v82, -v0
	ds_read2_b64 v[0:3], v65 offset0:64 offset1:80
	ds_read_b128 v[76:79], v55 offset:4240
	v_mul_f32_e32 v62, v74, v83
	v_add_f32_e32 v60, v6, v60
	v_fmac_f32_e32 v62, v75, v82
	s_waitcnt lgkmcnt(1)
	v_mul_f32_e32 v6, v9, v1
	v_fma_f32 v6, v8, v0, -v6
	v_add_f32_e32 v62, v7, v62
	v_mul_f32_e32 v7, v8, v1
	v_add_f32_e32 v27, v27, v6
	v_mul_f32_e32 v6, v9, v3
	v_fmac_f32_e32 v7, v9, v0
	v_fma_f32 v6, v8, v2, -v6
	v_add_f32_e32 v54, v54, v7
	v_mul_f32_e32 v7, v8, v3
	v_add_f32_e32 v8, v56, v6
	s_waitcnt lgkmcnt(0)
	v_mul_f32_e32 v6, v77, v1
	v_fma_f32 v6, v76, v0, -v6
	v_mul_f32_e32 v1, v76, v1
	v_fmac_f32_e32 v7, v9, v2
	v_fmac_f32_e32 v1, v77, v0
	v_add_f32_e32 v0, v4, v6
	v_mul_f32_e32 v4, v77, v3
	v_add_f32_e32 v9, v58, v7
	v_add_f32_e32 v1, v5, v1
	v_fma_f32 v56, v76, v2, -v4
	ds_read2_b64 v[4:7], v65 offset0:96 offset1:112
	v_mul_f32_e32 v3, v76, v3
	v_fmac_f32_e32 v3, v77, v2
	v_add_f32_e32 v58, v62, v3
	v_add_f32_e32 v56, v60, v56
	s_waitcnt lgkmcnt(0)
	v_mul_f32_e32 v2, v11, v5
	v_fma_f32 v2, v10, v4, -v2
	v_mul_f32_e32 v3, v10, v5
	v_fmac_f32_e32 v3, v11, v4
	v_add_f32_e32 v27, v27, v2
	v_mul_f32_e32 v2, v11, v7
	v_add_f32_e32 v54, v54, v3
	v_fma_f32 v2, v10, v6, -v2
	v_mul_f32_e32 v3, v10, v7
	v_fmac_f32_e32 v3, v11, v6
	v_add_f32_e32 v60, v8, v2
	v_mul_f32_e32 v2, v79, v5
	v_add_f32_e32 v62, v9, v3
	;; [unrolled: 6-line block ×3, first 2 shown]
	v_fma_f32 v4, v78, v6, -v0
	ds_read_b128 v[0:3], v55 offset:160
	ds_read2_b64 v[8:11], v65 offset0:128 offset1:144
	v_mul_f32_e32 v5, v78, v7
	v_fmac_f32_e32 v5, v79, v6
	v_add_f32_e32 v56, v56, v4
	v_add_f32_e32 v58, v58, v5
	ds_read_b128 v[4:7], v55 offset:176
	ds_read_b128 v[72:75], v55 offset:4256
	s_waitcnt lgkmcnt(2)
	v_mul_f32_e32 v68, v1, v9
	v_fma_f32 v68, v0, v8, -v68
	v_add_f32_e32 v27, v27, v68
	v_mul_f32_e32 v68, v1, v11
	v_mul_f32_e32 v69, v0, v9
	v_fma_f32 v68, v0, v10, -v68
	v_mul_f32_e32 v0, v0, v11
	ds_read2_b64 v[80:83], v65 offset0:160 offset1:176
	v_fmac_f32_e32 v69, v1, v8
	v_fmac_f32_e32 v0, v1, v10
	v_add_f32_e32 v1, v60, v68
	s_waitcnt lgkmcnt(1)
	v_mul_f32_e32 v60, v73, v9
	v_fma_f32 v60, v72, v8, -v60
	v_mul_f32_e32 v9, v72, v9
	v_fmac_f32_e32 v9, v73, v8
	v_add_f32_e32 v8, v64, v60
	v_mul_f32_e32 v60, v73, v11
	v_fma_f32 v60, v72, v10, -v60
	v_mul_f32_e32 v11, v72, v11
	v_fmac_f32_e32 v11, v73, v10
	v_add_f32_e32 v10, v56, v60
	s_waitcnt lgkmcnt(0)
	v_mul_f32_e32 v56, v3, v81
	v_fma_f32 v56, v2, v80, -v56
	v_add_f32_e32 v27, v27, v56
	v_mul_f32_e32 v56, v3, v83
	v_add_f32_e32 v11, v58, v11
	v_mul_f32_e32 v58, v2, v81
	v_fma_f32 v56, v2, v82, -v56
	v_mul_f32_e32 v2, v2, v83
	v_add_f32_e32 v54, v54, v69
	v_add_f32_e32 v0, v62, v0
	v_fmac_f32_e32 v58, v3, v80
	v_fmac_f32_e32 v2, v3, v82
	v_add_f32_e32 v54, v54, v58
	v_add_f32_e32 v58, v0, v2
	v_mul_f32_e32 v0, v75, v81
	v_add_f32_e32 v56, v1, v56
	v_fma_f32 v0, v74, v80, -v0
	v_mul_f32_e32 v1, v74, v81
	v_add_f32_e32 v9, v66, v9
	v_fmac_f32_e32 v1, v75, v80
	v_add_f32_e32 v8, v8, v0
	v_mul_f32_e32 v0, v75, v83
	v_add_f32_e32 v9, v9, v1
	v_fma_f32 v60, v74, v82, -v0
	ds_read2_b64 v[0:3], v65 offset0:192 offset1:208
	ds_read_b128 v[76:79], v55 offset:4272
	v_add_f32_e32 v60, v10, v60
	v_mul_f32_e32 v62, v74, v83
	v_fmac_f32_e32 v62, v75, v82
	s_waitcnt lgkmcnt(1)
	v_mul_f32_e32 v10, v5, v1
	v_fma_f32 v10, v4, v0, -v10
	v_add_f32_e32 v27, v27, v10
	v_mul_f32_e32 v10, v5, v3
	v_add_f32_e32 v62, v11, v62
	v_mul_f32_e32 v11, v4, v1
	v_fma_f32 v10, v4, v2, -v10
	v_mul_f32_e32 v4, v4, v3
	v_fmac_f32_e32 v11, v5, v0
	v_fmac_f32_e32 v4, v5, v2
	v_add_f32_e32 v5, v56, v10
	s_waitcnt lgkmcnt(0)
	v_mul_f32_e32 v10, v77, v1
	v_fma_f32 v10, v76, v0, -v10
	v_mul_f32_e32 v1, v76, v1
	v_fmac_f32_e32 v1, v77, v0
	v_add_f32_e32 v0, v8, v10
	v_mul_f32_e32 v8, v77, v3
	v_add_f32_e32 v54, v54, v11
	v_add_f32_e32 v1, v9, v1
	v_fma_f32 v56, v76, v2, -v8
	ds_read2_b64 v[8:11], v65 offset0:224 offset1:240
	v_mul_f32_e32 v3, v76, v3
	v_fmac_f32_e32 v3, v77, v2
	v_add_f32_e32 v4, v58, v4
	v_add_f32_e32 v58, v62, v3
	s_waitcnt lgkmcnt(0)
	v_mul_f32_e32 v2, v7, v9
	v_fma_f32 v2, v6, v8, -v2
	v_mul_f32_e32 v3, v6, v9
	v_fmac_f32_e32 v3, v7, v8
	v_add_f32_e32 v27, v27, v2
	v_mul_f32_e32 v2, v7, v11
	v_add_f32_e32 v54, v54, v3
	v_fma_f32 v2, v6, v10, -v2
	v_mul_f32_e32 v3, v6, v11
	v_add_f32_e32 v56, v60, v56
	v_fmac_f32_e32 v3, v7, v10
	v_add_f32_e32 v60, v5, v2
	v_mul_f32_e32 v2, v79, v9
	v_add_f32_e32 v62, v4, v3
	v_fma_f32 v2, v78, v8, -v2
	v_mul_f32_e32 v3, v78, v9
	v_fmac_f32_e32 v3, v79, v8
	v_add_f32_e32 v64, v0, v2
	v_mul_f32_e32 v0, v79, v11
	v_add_f32_e32 v66, v1, v3
	v_fma_f32 v8, v78, v10, -v0
	ds_read_b128 v[0:3], v55 offset:192
	ds_read2_b64 v[4:7], v67 offset1:16
	v_mul_f32_e32 v9, v78, v11
	v_fmac_f32_e32 v9, v79, v10
	v_add_f32_e32 v56, v56, v8
	v_add_f32_e32 v58, v58, v9
	ds_read_b128 v[8:11], v55 offset:208
	ds_read_b128 v[72:75], v55 offset:4288
	s_waitcnt lgkmcnt(2)
	v_mul_f32_e32 v68, v1, v5
	v_fma_f32 v68, v0, v4, -v68
	v_add_f32_e32 v27, v27, v68
	v_mul_f32_e32 v68, v1, v7
	v_mul_f32_e32 v69, v0, v5
	v_fma_f32 v68, v0, v6, -v68
	v_mul_f32_e32 v0, v0, v7
	ds_read2_b64 v[80:83], v67 offset0:32 offset1:48
	v_fmac_f32_e32 v69, v1, v4
	v_fmac_f32_e32 v0, v1, v6
	v_add_f32_e32 v1, v60, v68
	s_waitcnt lgkmcnt(1)
	v_mul_f32_e32 v60, v73, v5
	v_fma_f32 v60, v72, v4, -v60
	v_mul_f32_e32 v5, v72, v5
	v_fmac_f32_e32 v5, v73, v4
	v_add_f32_e32 v4, v64, v60
	v_mul_f32_e32 v60, v73, v7
	v_fma_f32 v60, v72, v6, -v60
	v_mul_f32_e32 v7, v72, v7
	v_fmac_f32_e32 v7, v73, v6
	v_add_f32_e32 v6, v56, v60
	s_waitcnt lgkmcnt(0)
	v_mul_f32_e32 v56, v3, v81
	v_fma_f32 v56, v2, v80, -v56
	v_add_f32_e32 v27, v27, v56
	v_mul_f32_e32 v56, v3, v83
	v_add_f32_e32 v7, v58, v7
	v_mul_f32_e32 v58, v2, v81
	v_fma_f32 v56, v2, v82, -v56
	v_mul_f32_e32 v2, v2, v83
	v_add_f32_e32 v54, v54, v69
	v_add_f32_e32 v0, v62, v0
	v_fmac_f32_e32 v58, v3, v80
	v_fmac_f32_e32 v2, v3, v82
	v_add_f32_e32 v54, v54, v58
	v_add_f32_e32 v58, v0, v2
	v_mul_f32_e32 v0, v75, v81
	v_add_f32_e32 v56, v1, v56
	v_fma_f32 v0, v74, v80, -v0
	v_mul_f32_e32 v1, v74, v81
	v_add_f32_e32 v5, v66, v5
	v_fmac_f32_e32 v1, v75, v80
	v_add_f32_e32 v4, v4, v0
	v_mul_f32_e32 v0, v75, v83
	v_add_f32_e32 v5, v5, v1
	v_fma_f32 v60, v74, v82, -v0
	ds_read2_b64 v[0:3], v67 offset0:64 offset1:80
	ds_read_b128 v[76:79], v55 offset:4304
	v_mul_f32_e32 v62, v74, v83
	v_add_f32_e32 v60, v6, v60
	v_fmac_f32_e32 v62, v75, v82
	s_waitcnt lgkmcnt(1)
	v_mul_f32_e32 v6, v9, v1
	v_fma_f32 v6, v8, v0, -v6
	v_add_f32_e32 v62, v7, v62
	v_mul_f32_e32 v7, v8, v1
	v_add_f32_e32 v27, v27, v6
	v_mul_f32_e32 v6, v9, v3
	v_fmac_f32_e32 v7, v9, v0
	v_fma_f32 v6, v8, v2, -v6
	v_add_f32_e32 v54, v54, v7
	v_mul_f32_e32 v7, v8, v3
	v_add_f32_e32 v8, v56, v6
	s_waitcnt lgkmcnt(0)
	v_mul_f32_e32 v6, v77, v1
	v_fma_f32 v6, v76, v0, -v6
	v_mul_f32_e32 v1, v76, v1
	v_fmac_f32_e32 v7, v9, v2
	v_fmac_f32_e32 v1, v77, v0
	v_add_f32_e32 v0, v4, v6
	v_mul_f32_e32 v4, v77, v3
	v_add_f32_e32 v9, v58, v7
	v_add_f32_e32 v1, v5, v1
	v_fma_f32 v56, v76, v2, -v4
	ds_read2_b64 v[4:7], v67 offset0:96 offset1:112
	v_mul_f32_e32 v3, v76, v3
	v_fmac_f32_e32 v3, v77, v2
	v_add_f32_e32 v58, v62, v3
	v_add_f32_e32 v56, v60, v56
	s_waitcnt lgkmcnt(0)
	v_mul_f32_e32 v2, v11, v5
	v_fma_f32 v2, v10, v4, -v2
	v_mul_f32_e32 v3, v10, v5
	v_fmac_f32_e32 v3, v11, v4
	v_add_f32_e32 v27, v27, v2
	v_mul_f32_e32 v2, v11, v7
	v_add_f32_e32 v54, v54, v3
	v_fma_f32 v2, v10, v6, -v2
	v_mul_f32_e32 v3, v10, v7
	v_fmac_f32_e32 v3, v11, v6
	v_add_f32_e32 v60, v8, v2
	v_mul_f32_e32 v2, v79, v5
	v_add_f32_e32 v62, v9, v3
	v_fma_f32 v2, v78, v4, -v2
	v_mul_f32_e32 v3, v78, v5
	v_fmac_f32_e32 v3, v79, v4
	v_add_f32_e32 v64, v0, v2
	v_mul_f32_e32 v0, v79, v7
	v_add_f32_e32 v66, v1, v3
	v_fma_f32 v4, v78, v6, -v0
	ds_read_b128 v[0:3], v55 offset:224
	ds_read2_b64 v[8:11], v67 offset0:128 offset1:144
	v_mul_f32_e32 v5, v78, v7
	v_fmac_f32_e32 v5, v79, v6
	v_add_f32_e32 v56, v56, v4
	v_add_f32_e32 v58, v58, v5
	ds_read_b128 v[4:7], v55 offset:240
	ds_read_b128 v[72:75], v55 offset:4320
	s_waitcnt lgkmcnt(2)
	v_mul_f32_e32 v68, v1, v9
	v_fma_f32 v68, v0, v8, -v68
	v_add_f32_e32 v27, v27, v68
	v_mul_f32_e32 v68, v1, v11
	v_mul_f32_e32 v69, v0, v9
	v_fma_f32 v68, v0, v10, -v68
	v_mul_f32_e32 v0, v0, v11
	ds_read2_b64 v[80:83], v67 offset0:160 offset1:176
	v_fmac_f32_e32 v69, v1, v8
	v_fmac_f32_e32 v0, v1, v10
	v_add_f32_e32 v1, v60, v68
	s_waitcnt lgkmcnt(1)
	v_mul_f32_e32 v60, v73, v9
	v_fma_f32 v60, v72, v8, -v60
	v_mul_f32_e32 v9, v72, v9
	v_fmac_f32_e32 v9, v73, v8
	v_add_f32_e32 v8, v64, v60
	v_mul_f32_e32 v60, v73, v11
	v_fma_f32 v60, v72, v10, -v60
	v_mul_f32_e32 v11, v72, v11
	v_fmac_f32_e32 v11, v73, v10
	v_add_f32_e32 v10, v56, v60
	s_waitcnt lgkmcnt(0)
	v_mul_f32_e32 v56, v3, v81
	v_fma_f32 v56, v2, v80, -v56
	v_add_f32_e32 v27, v27, v56
	v_mul_f32_e32 v56, v3, v83
	v_add_f32_e32 v11, v58, v11
	v_mul_f32_e32 v58, v2, v81
	v_fma_f32 v56, v2, v82, -v56
	v_mul_f32_e32 v2, v2, v83
	v_add_f32_e32 v54, v54, v69
	v_add_f32_e32 v0, v62, v0
	v_fmac_f32_e32 v58, v3, v80
	v_fmac_f32_e32 v2, v3, v82
	v_add_f32_e32 v54, v54, v58
	v_add_f32_e32 v58, v0, v2
	v_mul_f32_e32 v0, v75, v81
	v_add_f32_e32 v56, v1, v56
	v_fma_f32 v0, v74, v80, -v0
	v_mul_f32_e32 v1, v74, v81
	v_add_f32_e32 v9, v66, v9
	v_fmac_f32_e32 v1, v75, v80
	v_add_f32_e32 v8, v8, v0
	v_mul_f32_e32 v0, v75, v83
	v_add_f32_e32 v9, v9, v1
	v_fma_f32 v60, v74, v82, -v0
	ds_read2_b64 v[0:3], v67 offset0:192 offset1:208
	ds_read_b128 v[76:79], v55 offset:4336
	v_add_f32_e32 v60, v10, v60
	v_mul_f32_e32 v62, v74, v83
	v_fmac_f32_e32 v62, v75, v82
	s_waitcnt lgkmcnt(1)
	v_mul_f32_e32 v10, v5, v1
	v_fma_f32 v10, v4, v0, -v10
	v_add_f32_e32 v27, v27, v10
	v_mul_f32_e32 v10, v5, v3
	v_add_f32_e32 v62, v11, v62
	v_mul_f32_e32 v11, v4, v1
	v_fma_f32 v10, v4, v2, -v10
	v_mul_f32_e32 v4, v4, v3
	v_fmac_f32_e32 v11, v5, v0
	v_fmac_f32_e32 v4, v5, v2
	v_add_f32_e32 v5, v56, v10
	s_waitcnt lgkmcnt(0)
	v_mul_f32_e32 v10, v77, v1
	v_fma_f32 v10, v76, v0, -v10
	v_mul_f32_e32 v1, v76, v1
	v_fmac_f32_e32 v1, v77, v0
	v_add_f32_e32 v0, v8, v10
	v_mul_f32_e32 v8, v77, v3
	v_add_f32_e32 v54, v54, v11
	v_add_f32_e32 v1, v9, v1
	v_fma_f32 v56, v76, v2, -v8
	ds_read2_b64 v[8:11], v67 offset0:224 offset1:240
	v_mul_f32_e32 v3, v76, v3
	v_fmac_f32_e32 v3, v77, v2
	v_add_f32_e32 v2, v60, v56
	v_add_f32_e32 v4, v58, v4
	s_waitcnt lgkmcnt(0)
	v_mul_f32_e32 v56, v7, v9
	v_fma_f32 v56, v6, v8, -v56
	v_add_f32_e32 v66, v27, v56
	v_mul_f32_e32 v27, v7, v11
	v_mul_f32_e32 v58, v6, v9
	v_fma_f32 v27, v6, v10, -v27
	v_mul_f32_e32 v6, v6, v11
	v_fmac_f32_e32 v6, v7, v10
	v_add_f32_e32 v3, v62, v3
	v_add_f32_e32 v62, v5, v27
	;; [unrolled: 1-line block ×3, first 2 shown]
	v_mul_f32_e32 v4, v79, v9
	v_mul_f32_e32 v5, v78, v9
	v_fmac_f32_e32 v58, v7, v8
	v_fma_f32 v4, v78, v8, -v4
	v_fmac_f32_e32 v5, v79, v8
	v_add_f32_e32 v68, v54, v58
	v_add_f32_e32 v58, v0, v4
	;; [unrolled: 1-line block ×3, first 2 shown]
	v_mul_f32_e32 v0, v79, v11
	v_mul_f32_e32 v1, v78, v11
	s_add_u32 s20, s20, 32
	v_fma_f32 v0, v78, v10, -v0
	v_fmac_f32_e32 v1, v79, v10
	s_addc_u32 s21, s21, 0
	s_sub_i32 s10, s20, 32
	v_add_f32_e32 v56, v2, v0
	v_add_f32_e32 v54, v3, v1
	v_lshl_add_u64 v[52:53], v[52:53], 0, s[30:31]
	v_lshl_add_u64 v[50:51], v[50:51], 0, s[28:29]
	s_cmp_ge_i32 s10, s49
	v_lshl_add_u64 v[48:49], v[48:49], 0, s[28:29]
	s_barrier
	s_cbranch_scc1 .LBB88_51
.LBB88_7:                               ;   Parent Loop BB88_4 Depth=1
                                        ; =>  This Inner Loop Header: Depth=2
	v_lshl_add_u64 v[2:3], v[14:15], 0, s[20:21]
	v_cmp_eq_u64_e64 s[10:11], s[20:21], v[38:39]
	s_and_b64 s[44:45], s[26:27], s[10:11]
	v_cmp_gt_i64_e64 s[10:11], v[2:3], v[36:37]
	s_or_b64 s[14:15], s[6:7], s[10:11]
	v_cmp_le_i64_e64 s[12:13], s[38:39], v[2:3]
	s_or_b64 s[14:15], s[14:15], s[44:45]
	v_lshl_add_u64 v[0:1], v[48:49], 0, v[40:41]
	s_nor_b64 s[14:15], s[12:13], s[14:15]
	s_and_saveexec_b64 s[18:19], s[14:15]
	s_xor_b64 s[14:15], exec, s[18:19]
	s_cbranch_execz .LBB88_9
; %bb.8:                                ;   in Loop: Header=BB88_7 Depth=2
	global_load_dwordx2 v[4:5], v[0:1], off
	s_waitcnt vmcnt(0)
	ds_write_b64 v57, v[4:5]
.LBB88_9:                               ;   in Loop: Header=BB88_7 Depth=2
	s_or_saveexec_b64 s[14:15], s[14:15]
	s_xor_b64 s[24:25], s[44:45], -1
	s_xor_b64 exec, exec, s[14:15]
	s_cbranch_execz .LBB88_15
; %bb.10:                               ;   in Loop: Header=BB88_7 Depth=2
	s_and_saveexec_b64 s[18:19], s[24:25]
	s_xor_b64 s[18:19], exec, s[18:19]
; %bb.11:                               ;   in Loop: Header=BB88_7 Depth=2
	ds_write_b64 v57, v[70:71]
; %bb.12:                               ;   in Loop: Header=BB88_7 Depth=2
	s_andn2_saveexec_b64 s[18:19], s[18:19]
; %bb.13:                               ;   in Loop: Header=BB88_7 Depth=2
	ds_write_b64 v57, v[34:35]
; %bb.14:                               ;   in Loop: Header=BB88_7 Depth=2
	s_or_b64 exec, exec, s[18:19]
.LBB88_15:                              ;   in Loop: Header=BB88_7 Depth=2
	s_or_b64 exec, exec, s[14:15]
	v_lshl_add_u64 v[4:5], v[2:3], 0, 16
	v_cmp_eq_u64_e64 s[14:15], s[20:21], v[46:47]
	v_cmp_gt_i64_e64 s[18:19], v[4:5], v[36:37]
	s_and_b64 s[46:47], s[26:27], s[14:15]
	s_or_b64 s[18:19], s[6:7], s[18:19]
	v_cmp_le_i64_e64 s[14:15], s[38:39], v[4:5]
	s_or_b64 s[18:19], s[18:19], s[46:47]
	s_nor_b64 s[18:19], s[14:15], s[18:19]
	v_lshl_add_u64 v[4:5], v[50:51], 0, v[40:41]
	s_and_saveexec_b64 s[50:51], s[18:19]
	s_xor_b64 s[18:19], exec, s[50:51]
	s_cbranch_execz .LBB88_17
; %bb.16:                               ;   in Loop: Header=BB88_7 Depth=2
	global_load_dwordx2 v[6:7], v[4:5], off
	s_waitcnt vmcnt(0)
	ds_write_b64 v57, v[6:7] offset:128
.LBB88_17:                              ;   in Loop: Header=BB88_7 Depth=2
	s_andn2_saveexec_b64 s[18:19], s[18:19]
	s_cbranch_execz .LBB88_23
; %bb.18:                               ;   in Loop: Header=BB88_7 Depth=2
	s_xor_b64 s[46:47], s[46:47], -1
	s_and_saveexec_b64 s[50:51], s[46:47]
	s_xor_b64 s[46:47], exec, s[50:51]
; %bb.19:                               ;   in Loop: Header=BB88_7 Depth=2
	ds_write_b64 v57, v[70:71] offset:128
; %bb.20:                               ;   in Loop: Header=BB88_7 Depth=2
	s_andn2_saveexec_b64 s[46:47], s[46:47]
; %bb.21:                               ;   in Loop: Header=BB88_7 Depth=2
	ds_write_b64 v57, v[34:35] offset:128
; %bb.22:                               ;   in Loop: Header=BB88_7 Depth=2
	s_or_b64 exec, exec, s[46:47]
.LBB88_23:                              ;   in Loop: Header=BB88_7 Depth=2
	s_or_b64 exec, exec, s[18:19]
	v_cmp_eq_u64_e64 s[18:19], s[20:21], v[44:45]
	s_and_b64 s[46:47], s[26:27], s[18:19]
	v_cmp_gt_i64_e64 s[18:19], v[2:3], v[42:43]
	s_or_b64 s[18:19], s[8:9], s[18:19]
	s_or_b64 s[18:19], s[18:19], s[46:47]
	s_nor_b64 s[12:13], s[12:13], s[18:19]
	s_and_saveexec_b64 s[18:19], s[12:13]
	s_xor_b64 s[12:13], exec, s[18:19]
	s_cbranch_execz .LBB88_25
; %bb.24:                               ;   in Loop: Header=BB88_7 Depth=2
	global_load_dwordx2 v[0:1], v[0:1], off offset:128
	s_waitcnt vmcnt(0)
	ds_write_b64 v57, v[0:1] offset:4096
.LBB88_25:                              ;   in Loop: Header=BB88_7 Depth=2
	s_andn2_saveexec_b64 s[12:13], s[12:13]
	s_cbranch_execz .LBB88_31
; %bb.26:                               ;   in Loop: Header=BB88_7 Depth=2
	s_xor_b64 s[18:19], s[46:47], -1
	s_and_saveexec_b64 s[46:47], s[18:19]
	s_xor_b64 s[18:19], exec, s[46:47]
; %bb.27:                               ;   in Loop: Header=BB88_7 Depth=2
	ds_write_b64 v57, v[70:71] offset:4096
; %bb.28:                               ;   in Loop: Header=BB88_7 Depth=2
	s_andn2_saveexec_b64 s[18:19], s[18:19]
; %bb.29:                               ;   in Loop: Header=BB88_7 Depth=2
	ds_write_b64 v57, v[34:35] offset:4096
; %bb.30:                               ;   in Loop: Header=BB88_7 Depth=2
	s_or_b64 exec, exec, s[18:19]
.LBB88_31:                              ;   in Loop: Header=BB88_7 Depth=2
	s_or_b64 exec, exec, s[12:13]
	s_or_b64 s[10:11], s[8:9], s[10:11]
	s_or_b64 s[10:11], s[10:11], s[44:45]
	s_nor_b64 s[10:11], s[14:15], s[10:11]
	s_and_saveexec_b64 s[12:13], s[10:11]
	s_xor_b64 s[10:11], exec, s[12:13]
	s_cbranch_execz .LBB88_33
; %bb.32:                               ;   in Loop: Header=BB88_7 Depth=2
	global_load_dwordx2 v[0:1], v[4:5], off offset:128
	s_waitcnt vmcnt(0)
	ds_write_b64 v57, v[0:1] offset:4224
.LBB88_33:                              ;   in Loop: Header=BB88_7 Depth=2
	s_andn2_saveexec_b64 s[10:11], s[10:11]
	s_cbranch_execz .LBB88_39
; %bb.34:                               ;   in Loop: Header=BB88_7 Depth=2
	s_and_saveexec_b64 s[12:13], s[24:25]
	s_xor_b64 s[12:13], exec, s[12:13]
; %bb.35:                               ;   in Loop: Header=BB88_7 Depth=2
	ds_write_b64 v57, v[70:71] offset:4224
; %bb.36:                               ;   in Loop: Header=BB88_7 Depth=2
	s_andn2_saveexec_b64 s[12:13], s[12:13]
; %bb.37:                               ;   in Loop: Header=BB88_7 Depth=2
	ds_write_b64 v57, v[34:35] offset:4224
; %bb.38:                               ;   in Loop: Header=BB88_7 Depth=2
	s_or_b64 exec, exec, s[12:13]
.LBB88_39:                              ;   in Loop: Header=BB88_7 Depth=2
	s_or_b64 exec, exec, s[10:11]
	v_lshl_add_u64 v[0:1], v[12:13], 0, s[20:21]
	v_cmp_le_i64_e64 s[10:11], s[38:39], v[0:1]
	v_lshl_add_u64 v[2:3], v[52:53], 0, v[28:29]
	s_nor_b64 s[14:15], s[10:11], vcc
	v_mov_b64_e32 v[4:5], 0
	s_and_saveexec_b64 s[12:13], s[14:15]
	s_cbranch_execz .LBB88_41
; %bb.40:                               ;   in Loop: Header=BB88_7 Depth=2
	global_load_dwordx2 v[4:5], v[2:3], off offset:-128
.LBB88_41:                              ;   in Loop: Header=BB88_7 Depth=2
	s_or_b64 exec, exec, s[12:13]
	s_nor_b64 s[10:11], s[10:11], s[0:1]
	s_waitcnt vmcnt(0)
	ds_write_b64 v61, v[4:5]
	s_and_saveexec_b64 s[12:13], s[10:11]
	s_xor_b64 s[10:11], exec, s[12:13]
	s_cbranch_execz .LBB88_43
; %bb.42:                               ;   in Loop: Header=BB88_7 Depth=2
	global_load_dwordx2 v[2:3], v[2:3], off
	s_waitcnt vmcnt(0)
	ds_write_b64 v61, v[2:3] offset:128
.LBB88_43:                              ;   in Loop: Header=BB88_7 Depth=2
	s_andn2_saveexec_b64 s[10:11], s[10:11]
; %bb.44:                               ;   in Loop: Header=BB88_7 Depth=2
	ds_write_b64 v61, v[70:71] offset:128
; %bb.45:                               ;   in Loop: Header=BB88_7 Depth=2
	s_or_b64 exec, exec, s[10:11]
	v_cmp_le_i64_e64 s[10:11], s[42:43], v[0:1]
	v_lshl_add_u64 v[0:1], v[52:53], 0, v[32:33]
	s_nor_b64 s[14:15], s[10:11], vcc
	v_mov_b64_e32 v[2:3], 0
	s_and_saveexec_b64 s[12:13], s[14:15]
	s_cbranch_execz .LBB88_47
; %bb.46:                               ;   in Loop: Header=BB88_7 Depth=2
	global_load_dwordx2 v[2:3], v[0:1], off
.LBB88_47:                              ;   in Loop: Header=BB88_7 Depth=2
	s_or_b64 exec, exec, s[12:13]
	s_nor_b64 s[10:11], s[10:11], s[0:1]
	s_waitcnt vmcnt(0)
	ds_write_b64 v61, v[2:3] offset:4096
	s_and_saveexec_b64 s[12:13], s[10:11]
	s_xor_b64 s[10:11], exec, s[12:13]
	s_cbranch_execz .LBB88_49
; %bb.48:                               ;   in Loop: Header=BB88_7 Depth=2
	global_load_dwordx2 v[0:1], v[0:1], off offset:128
	s_waitcnt vmcnt(0)
	ds_write_b64 v61, v[0:1] offset:4224
.LBB88_49:                              ;   in Loop: Header=BB88_7 Depth=2
	s_andn2_saveexec_b64 s[10:11], s[10:11]
	s_cbranch_execz .LBB88_6
; %bb.50:                               ;   in Loop: Header=BB88_7 Depth=2
	ds_write_b64 v61, v[70:71] offset:4224
	s_branch .LBB88_6
.LBB88_51:                              ;   in Loop: Header=BB88_4 Depth=1
	v_mul_lo_u32 v2, s41, v36
	v_mul_lo_u32 v3, s40, v37
	v_mad_u64_u32 v[0:1], s[8:9], s40, v36, 0
	v_cmp_gt_i32_e64 s[6:7], s38, v36
	v_add3_u32 v1, v1, v3, v2
	v_lshl_add_u64 v[0:1], v[0:1], 3, s[22:23]
	s_and_b64 s[10:11], s[16:17], s[6:7]
	s_and_saveexec_b64 s[8:9], s[10:11]
	s_cbranch_execz .LBB88_53
; %bb.52:                               ;   in Loop: Header=BB88_4 Depth=1
	v_lshl_add_u64 v[2:3], v[16:17], 3, v[0:1]
	global_load_dwordx2 v[4:5], v[2:3], off
	v_pk_mul_f32 v[6:7], v[68:69], s[36:37] op_sel_hi:[0,1]
	v_pk_fma_f32 v[8:9], v[66:67], s[34:35], v[6:7] neg_lo:[0,0,1] neg_hi:[0,0,1]
	v_pk_fma_f32 v[6:7], v[66:67], s[34:35], v[6:7] op_sel_hi:[0,1,1]
	v_mov_b32_e32 v9, v7
	s_waitcnt vmcnt(0)
	v_pk_add_f32 v[4:5], v[4:5], v[8:9]
	global_store_dwordx2 v[2:3], v[4:5], off
.LBB88_53:                              ;   in Loop: Header=BB88_4 Depth=1
	s_or_b64 exec, exec, s[8:9]
	s_and_b64 s[8:9], s[4:5], s[6:7]
	s_and_saveexec_b64 s[6:7], s[8:9]
	s_cbranch_execz .LBB88_55
; %bb.54:                               ;   in Loop: Header=BB88_4 Depth=1
	v_lshl_add_u64 v[0:1], v[22:23], 3, v[0:1]
	global_load_dwordx2 v[2:3], v[0:1], off
	v_pk_mul_f32 v[4:5], v[64:65], s[36:37] op_sel_hi:[0,1]
	v_pk_fma_f32 v[6:7], v[62:63], s[34:35], v[4:5] neg_lo:[0,0,1] neg_hi:[0,0,1]
	v_pk_fma_f32 v[4:5], v[62:63], s[34:35], v[4:5] op_sel_hi:[0,1,1]
	v_mov_b32_e32 v7, v5
	s_waitcnt vmcnt(0)
	v_pk_add_f32 v[2:3], v[2:3], v[6:7]
	global_store_dwordx2 v[0:1], v[2:3], off
.LBB88_55:                              ;   in Loop: Header=BB88_4 Depth=1
	s_or_b64 exec, exec, s[6:7]
	v_add_u32_e32 v0, 16, v36
	v_ashrrev_i32_e32 v1, 31, v0
	v_cmp_gt_i32_e64 s[6:7], s38, v0
	v_mul_lo_u32 v2, s40, v1
	v_mul_lo_u32 v3, s41, v0
	v_mad_u64_u32 v[0:1], s[8:9], s40, v0, 0
	v_add3_u32 v1, v1, v2, v3
	v_lshl_add_u64 v[0:1], v[0:1], 3, s[22:23]
	s_and_b64 s[10:11], s[16:17], s[6:7]
	s_and_saveexec_b64 s[8:9], s[10:11]
	s_cbranch_execz .LBB88_57
; %bb.56:                               ;   in Loop: Header=BB88_4 Depth=1
	v_lshl_add_u64 v[2:3], v[16:17], 3, v[0:1]
	global_load_dwordx2 v[4:5], v[2:3], off
	v_pk_mul_f32 v[6:7], v[60:61], s[36:37] op_sel_hi:[0,1]
	v_pk_fma_f32 v[8:9], v[58:59], s[34:35], v[6:7] neg_lo:[0,0,1] neg_hi:[0,0,1]
	v_pk_fma_f32 v[6:7], v[58:59], s[34:35], v[6:7] op_sel_hi:[0,1,1]
	v_mov_b32_e32 v9, v7
	s_waitcnt vmcnt(0)
	v_pk_add_f32 v[4:5], v[4:5], v[8:9]
	global_store_dwordx2 v[2:3], v[4:5], off
.LBB88_57:                              ;   in Loop: Header=BB88_4 Depth=1
	s_or_b64 exec, exec, s[8:9]
	s_and_b64 s[8:9], s[4:5], s[6:7]
	s_and_saveexec_b64 s[6:7], s[8:9]
	s_cbranch_execz .LBB88_3
; %bb.58:                               ;   in Loop: Header=BB88_4 Depth=1
	v_lshl_add_u64 v[0:1], v[22:23], 3, v[0:1]
	global_load_dwordx2 v[2:3], v[0:1], off
	v_pk_mul_f32 v[4:5], v[54:55], s[36:37] op_sel_hi:[0,1]
	v_pk_fma_f32 v[6:7], v[56:57], s[34:35], v[4:5] neg_lo:[0,0,1] neg_hi:[0,0,1]
	v_pk_fma_f32 v[4:5], v[56:57], s[34:35], v[4:5] op_sel_hi:[0,1,1]
	v_mov_b32_e32 v7, v5
	s_waitcnt vmcnt(0)
	v_pk_add_f32 v[2:3], v[2:3], v[6:7]
	global_store_dwordx2 v[0:1], v[2:3], off
	s_branch .LBB88_3
.LBB88_59:
	s_endpgm
	.section	.rodata,"a",@progbits
	.p2align	6, 0x0
	.amdhsa_kernel _ZL30rocblas_trmm_outofplace_kernelI19rocblas_complex_numIfELi32ELi2ELb0ELb0ELb1ELb0EPKS1_S2_S1_Ev17rocblas_diagonal_iiT6_lPT7_lllS7_lllPT8_llli
		.amdhsa_group_segment_fixed_size 16384
		.amdhsa_private_segment_fixed_size 0
		.amdhsa_kernarg_size 392
		.amdhsa_user_sgpr_count 2
		.amdhsa_user_sgpr_dispatch_ptr 0
		.amdhsa_user_sgpr_queue_ptr 0
		.amdhsa_user_sgpr_kernarg_segment_ptr 1
		.amdhsa_user_sgpr_dispatch_id 0
		.amdhsa_user_sgpr_kernarg_preload_length 0
		.amdhsa_user_sgpr_kernarg_preload_offset 0
		.amdhsa_user_sgpr_private_segment_size 0
		.amdhsa_uses_dynamic_stack 0
		.amdhsa_enable_private_segment 0
		.amdhsa_system_sgpr_workgroup_id_x 1
		.amdhsa_system_sgpr_workgroup_id_y 1
		.amdhsa_system_sgpr_workgroup_id_z 1
		.amdhsa_system_sgpr_workgroup_info 0
		.amdhsa_system_vgpr_workitem_id 1
		.amdhsa_next_free_vgpr 92
		.amdhsa_next_free_sgpr 52
		.amdhsa_accum_offset 92
		.amdhsa_reserve_vcc 1
		.amdhsa_float_round_mode_32 0
		.amdhsa_float_round_mode_16_64 0
		.amdhsa_float_denorm_mode_32 3
		.amdhsa_float_denorm_mode_16_64 3
		.amdhsa_dx10_clamp 1
		.amdhsa_ieee_mode 1
		.amdhsa_fp16_overflow 0
		.amdhsa_tg_split 0
		.amdhsa_exception_fp_ieee_invalid_op 0
		.amdhsa_exception_fp_denorm_src 0
		.amdhsa_exception_fp_ieee_div_zero 0
		.amdhsa_exception_fp_ieee_overflow 0
		.amdhsa_exception_fp_ieee_underflow 0
		.amdhsa_exception_fp_ieee_inexact 0
		.amdhsa_exception_int_div_zero 0
	.end_amdhsa_kernel
	.section	.text._ZL30rocblas_trmm_outofplace_kernelI19rocblas_complex_numIfELi32ELi2ELb0ELb0ELb1ELb0EPKS1_S2_S1_Ev17rocblas_diagonal_iiT6_lPT7_lllS7_lllPT8_llli,"axG",@progbits,_ZL30rocblas_trmm_outofplace_kernelI19rocblas_complex_numIfELi32ELi2ELb0ELb0ELb1ELb0EPKS1_S2_S1_Ev17rocblas_diagonal_iiT6_lPT7_lllS7_lllPT8_llli,comdat
.Lfunc_end88:
	.size	_ZL30rocblas_trmm_outofplace_kernelI19rocblas_complex_numIfELi32ELi2ELb0ELb0ELb1ELb0EPKS1_S2_S1_Ev17rocblas_diagonal_iiT6_lPT7_lllS7_lllPT8_llli, .Lfunc_end88-_ZL30rocblas_trmm_outofplace_kernelI19rocblas_complex_numIfELi32ELi2ELb0ELb0ELb1ELb0EPKS1_S2_S1_Ev17rocblas_diagonal_iiT6_lPT7_lllS7_lllPT8_llli
                                        ; -- End function
	.set _ZL30rocblas_trmm_outofplace_kernelI19rocblas_complex_numIfELi32ELi2ELb0ELb0ELb1ELb0EPKS1_S2_S1_Ev17rocblas_diagonal_iiT6_lPT7_lllS7_lllPT8_llli.num_vgpr, 92
	.set _ZL30rocblas_trmm_outofplace_kernelI19rocblas_complex_numIfELi32ELi2ELb0ELb0ELb1ELb0EPKS1_S2_S1_Ev17rocblas_diagonal_iiT6_lPT7_lllS7_lllPT8_llli.num_agpr, 0
	.set _ZL30rocblas_trmm_outofplace_kernelI19rocblas_complex_numIfELi32ELi2ELb0ELb0ELb1ELb0EPKS1_S2_S1_Ev17rocblas_diagonal_iiT6_lPT7_lllS7_lllPT8_llli.numbered_sgpr, 52
	.set _ZL30rocblas_trmm_outofplace_kernelI19rocblas_complex_numIfELi32ELi2ELb0ELb0ELb1ELb0EPKS1_S2_S1_Ev17rocblas_diagonal_iiT6_lPT7_lllS7_lllPT8_llli.num_named_barrier, 0
	.set _ZL30rocblas_trmm_outofplace_kernelI19rocblas_complex_numIfELi32ELi2ELb0ELb0ELb1ELb0EPKS1_S2_S1_Ev17rocblas_diagonal_iiT6_lPT7_lllS7_lllPT8_llli.private_seg_size, 0
	.set _ZL30rocblas_trmm_outofplace_kernelI19rocblas_complex_numIfELi32ELi2ELb0ELb0ELb1ELb0EPKS1_S2_S1_Ev17rocblas_diagonal_iiT6_lPT7_lllS7_lllPT8_llli.uses_vcc, 1
	.set _ZL30rocblas_trmm_outofplace_kernelI19rocblas_complex_numIfELi32ELi2ELb0ELb0ELb1ELb0EPKS1_S2_S1_Ev17rocblas_diagonal_iiT6_lPT7_lllS7_lllPT8_llli.uses_flat_scratch, 0
	.set _ZL30rocblas_trmm_outofplace_kernelI19rocblas_complex_numIfELi32ELi2ELb0ELb0ELb1ELb0EPKS1_S2_S1_Ev17rocblas_diagonal_iiT6_lPT7_lllS7_lllPT8_llli.has_dyn_sized_stack, 0
	.set _ZL30rocblas_trmm_outofplace_kernelI19rocblas_complex_numIfELi32ELi2ELb0ELb0ELb1ELb0EPKS1_S2_S1_Ev17rocblas_diagonal_iiT6_lPT7_lllS7_lllPT8_llli.has_recursion, 0
	.set _ZL30rocblas_trmm_outofplace_kernelI19rocblas_complex_numIfELi32ELi2ELb0ELb0ELb1ELb0EPKS1_S2_S1_Ev17rocblas_diagonal_iiT6_lPT7_lllS7_lllPT8_llli.has_indirect_call, 0
	.section	.AMDGPU.csdata,"",@progbits
; Kernel info:
; codeLenInByte = 6312
; TotalNumSgprs: 58
; NumVgprs: 92
; NumAgprs: 0
; TotalNumVgprs: 92
; ScratchSize: 0
; MemoryBound: 1
; FloatMode: 240
; IeeeMode: 1
; LDSByteSize: 16384 bytes/workgroup (compile time only)
; SGPRBlocks: 7
; VGPRBlocks: 11
; NumSGPRsForWavesPerEU: 58
; NumVGPRsForWavesPerEU: 92
; AccumOffset: 92
; Occupancy: 5
; WaveLimiterHint : 0
; COMPUTE_PGM_RSRC2:SCRATCH_EN: 0
; COMPUTE_PGM_RSRC2:USER_SGPR: 2
; COMPUTE_PGM_RSRC2:TRAP_HANDLER: 0
; COMPUTE_PGM_RSRC2:TGID_X_EN: 1
; COMPUTE_PGM_RSRC2:TGID_Y_EN: 1
; COMPUTE_PGM_RSRC2:TGID_Z_EN: 1
; COMPUTE_PGM_RSRC2:TIDIG_COMP_CNT: 1
; COMPUTE_PGM_RSRC3_GFX90A:ACCUM_OFFSET: 22
; COMPUTE_PGM_RSRC3_GFX90A:TG_SPLIT: 0
	.section	.text._ZL30rocblas_trmm_outofplace_kernelI19rocblas_complex_numIfELi32ELi2ELb0ELb0ELb1ELb0ES1_KS1_S1_Ev17rocblas_diagonal_iiT6_lPT7_lllS6_lllPT8_llli,"axG",@progbits,_ZL30rocblas_trmm_outofplace_kernelI19rocblas_complex_numIfELi32ELi2ELb0ELb0ELb1ELb0ES1_KS1_S1_Ev17rocblas_diagonal_iiT6_lPT7_lllS6_lllPT8_llli,comdat
	.globl	_ZL30rocblas_trmm_outofplace_kernelI19rocblas_complex_numIfELi32ELi2ELb0ELb0ELb1ELb0ES1_KS1_S1_Ev17rocblas_diagonal_iiT6_lPT7_lllS6_lllPT8_llli ; -- Begin function _ZL30rocblas_trmm_outofplace_kernelI19rocblas_complex_numIfELi32ELi2ELb0ELb0ELb1ELb0ES1_KS1_S1_Ev17rocblas_diagonal_iiT6_lPT7_lllS6_lllPT8_llli
	.p2align	8
	.type	_ZL30rocblas_trmm_outofplace_kernelI19rocblas_complex_numIfELi32ELi2ELb0ELb0ELb1ELb0ES1_KS1_S1_Ev17rocblas_diagonal_iiT6_lPT7_lllS6_lllPT8_llli,@function
_ZL30rocblas_trmm_outofplace_kernelI19rocblas_complex_numIfELi32ELi2ELb0ELb0ELb1ELb0ES1_KS1_S1_Ev17rocblas_diagonal_iiT6_lPT7_lllS6_lllPT8_llli: ; @_ZL30rocblas_trmm_outofplace_kernelI19rocblas_complex_numIfELi32ELi2ELb0ELb0ELb1ELb0ES1_KS1_S1_Ev17rocblas_diagonal_iiT6_lPT7_lllS6_lllPT8_llli
; %bb.0:
	s_load_dwordx4 s[36:39], s[0:1], 0x0
	s_load_dword s35, s[0:1], 0x10
	s_waitcnt lgkmcnt(0)
	s_or_b32 s5, s39, s35
	s_bitset0_b32 s5, 31
	s_cmp_eq_u32 s5, 0
	s_cbranch_scc1 .LBB89_59
; %bb.1:
	s_add_i32 s5, s38, -1
	s_ashr_i32 s6, s5, 31
	s_lshr_b32 s6, s6, 27
	s_add_i32 s5, s5, s6
	s_ashr_i32 s33, s5, 5
	s_cmp_gt_i32 s3, s33
	s_cbranch_scc1 .LBB89_59
; %bb.2:
	s_load_dwordx16 s[8:23], s[0:1], 0x20
	s_load_dwordx8 s[24:31], s[0:1], 0x60
	v_and_b32_e32 v14, 0x3ff, v0
	v_bfe_u32 v12, v0, 10, 10
	v_lshl_add_u32 v16, s2, 5, v14
	s_waitcnt lgkmcnt(0)
	s_mul_i32 s5, s15, s4
	s_mul_hi_u32 s6, s14, s4
	s_add_i32 s7, s6, s5
	s_mul_i32 s6, s14, s4
	s_lshl_b64 s[14:15], s[6:7], 3
	s_add_u32 s5, s8, s14
	s_addc_u32 s7, s9, s15
	s_lshl_b64 s[10:11], s[10:11], 3
	s_add_u32 s6, s5, s10
	s_mul_i32 s5, s23, s4
	s_mul_hi_u32 s23, s22, s4
	s_addc_u32 s7, s7, s11
	s_add_i32 s23, s23, s5
	s_mul_i32 s22, s22, s4
	s_lshl_b64 s[22:23], s[22:23], 3
	s_add_u32 s5, s16, s22
	s_addc_u32 s22, s17, s23
	s_lshl_b64 s[16:17], s[18:19], 3
	s_add_u32 s16, s5, s16
	s_mul_i32 s5, s31, s4
	s_mul_hi_u32 s18, s30, s4
	s_addc_u32 s17, s22, s17
	s_add_i32 s5, s18, s5
	s_mul_i32 s4, s30, s4
	s_lshl_b64 s[4:5], s[4:5], 3
	s_add_u32 s18, s24, s4
	s_addc_u32 s19, s25, s5
	s_lshl_b64 s[4:5], s[26:27], 3
	s_add_u32 s22, s18, s4
	s_addc_u32 s23, s19, s5
	v_mad_u64_u32 v[0:1], s[4:5], s12, v14, 0
	v_mov_b32_e32 v2, v1
	v_mad_u64_u32 v[2:3], s[4:5], s13, v14, v[2:3]
	s_cmpk_eq_i32 s36, 0x84
	v_mov_b32_e32 v1, v2
	s_cselect_b64 s[24:25], -1, 0
	s_ashr_i32 s2, s37, 31
	v_lshl_add_u64 v[18:19], v[0:1], 3, s[6:7]
	v_mov_b32_e32 v1, s2
	s_load_dword s2, s[0:1], 0x8c
	v_ashrrev_i32_e32 v17, 31, v16
	v_sub_co_u32_e32 v0, vcc, s37, v16
	v_sub_co_u32_e64 v24, s[6:7], 0, v14
	s_nop 0
	v_subb_co_u32_e32 v1, vcc, v1, v17, vcc
	s_ashr_i32 s27, s38, 31
	s_lshl_b64 s[30:31], s[12:13], 8
	s_lshl_b64 s[40:41], s[20:21], 8
	v_cmp_gt_i64_e32 vcc, 1, v[0:1]
	v_cmp_gt_i64_e64 s[0:1], 17, v[0:1]
	v_subb_co_u32_e64 v25, s[6:7], 0, 0, s[6:7]
	v_mad_u64_u32 v[0:1], s[6:7], s20, v12, 0
	s_add_u32 s42, s38, -16
	v_add_u32_e32 v22, 16, v16
	v_mov_b32_e32 v2, v1
	s_mov_b32 s34, s39
	v_lshl_add_u64 v[20:21], v[16:17], 3, s[16:17]
	s_addc_u32 s43, s27, -1
	v_cmp_gt_i32_e64 s[16:17], s37, v16
	v_cmp_gt_i32_e64 s[4:5], s37, v22
	s_mov_b32 s37, s39
	s_waitcnt lgkmcnt(0)
	s_lshl_b32 s39, s2, 5
	v_mad_u64_u32 v[2:3], s[6:7], s21, v12, v[2:3]
	s_add_u32 s6, s8, s10
	s_addc_u32 s7, s9, s11
	s_add_u32 s6, s6, s14
	v_lshlrev_b32_e32 v4, 3, v14
	v_mov_b32_e32 v1, v2
	v_mov_b64_e32 v[2:3], 0x80
	s_addc_u32 s7, s7, s15
	v_lshl_add_u64 v[28:29], v[0:1], 3, v[2:3]
	v_add_u32_e32 v2, 0x80, v4
	v_mov_b64_e32 v[0:1], s[6:7]
	v_mad_u64_u32 v[30:31], s[6:7], s12, v2, v[0:1]
	v_mov_b32_e32 v0, v31
	v_mad_u64_u32 v[0:1], s[6:7], s13, v2, v[0:1]
	v_mov_b32_e32 v31, v0
	v_mov_b32_e32 v0, 0x80
	v_lshl_add_u32 v1, v12, 3, v0
	v_mad_u64_u32 v[32:33], s[6:7], s20, v1, 0
	v_mov_b32_e32 v0, v33
	v_mov_b32_e32 v15, 0
	v_lshlrev_b32_e32 v55, 8, v12
	v_or_b32_e32 v59, 0x2000, v4
	v_mad_u64_u32 v[0:1], s[6:7], s21, v1, v[0:1]
	v_mov_b32_e32 v13, v15
	s_mov_b32 s26, s38
	v_add_u32_e32 v57, v55, v4
	v_add_u32_e32 v61, v59, v55
	v_ashrrev_i32_e32 v23, 31, v22
	s_mov_b32 s36, s35
	v_lshl_add_u32 v26, s3, 5, v12
	v_mov_b32_e32 v33, v0
	v_mov_b32_e32 v70, v15
	;; [unrolled: 1-line block ×3, first 2 shown]
	v_mov_b32_e32 v34, 1.0
	v_mov_b32_e32 v35, v15
	v_add_u32_e32 v63, 0x800, v59
	v_add_u32_e32 v65, 0x1000, v59
	;; [unrolled: 1-line block ×3, first 2 shown]
	s_branch .LBB89_4
.LBB89_3:                               ;   in Loop: Header=BB89_4 Depth=1
	s_or_b64 exec, exec, s[6:7]
	s_add_i32 s3, s2, s3
	s_cmp_le_i32 s3, s33
	v_add_u32_e32 v26, s39, v26
	s_cbranch_scc0 .LBB89_59
.LBB89_4:                               ; =>This Loop Header: Depth=1
                                        ;     Child Loop BB89_7 Depth 2
	s_lshl_b32 s50, s3, 5
	v_add_u32_e32 v36, s50, v12
	v_ashrrev_i32_e32 v37, 31, v36
	s_cmp_lt_i32 s3, 0
	v_mov_b32_e32 v66, 0
	v_mov_b32_e32 v68, 0
	;; [unrolled: 1-line block ×8, first 2 shown]
	s_cbranch_scc1 .LBB89_51
; %bb.5:                                ;   in Loop: Header=BB89_4 Depth=1
	v_ashrrev_i32_e32 v27, 31, v26
	v_lshl_add_u64 v[38:39], v[24:25], 0, v[26:27]
	v_lshl_add_u64 v[42:43], v[36:37], 0, 16
	v_lshlrev_b64 v[40:41], 3, v[26:27]
	v_cmp_le_i32_e64 s[6:7], s38, v36
	v_cmp_le_i64_e64 s[8:9], s[26:27], v[42:43]
	v_lshl_add_u64 v[44:45], v[38:39], 0, 16
	v_lshl_add_u64 v[46:47], v[38:39], 0, -16
	v_mov_b32_e32 v54, 0
	s_mov_b64 s[20:21], 0
	v_mov_b64_e32 v[48:49], v[18:19]
	v_mov_b64_e32 v[50:51], v[30:31]
	;; [unrolled: 1-line block ×3, first 2 shown]
	v_mov_b32_e32 v56, 0
	v_mov_b32_e32 v60, 0
	;; [unrolled: 1-line block ×7, first 2 shown]
	s_branch .LBB89_7
.LBB89_6:                               ;   in Loop: Header=BB89_7 Depth=2
	s_or_b64 exec, exec, s[10:11]
	s_waitcnt lgkmcnt(0)
	s_barrier
	ds_read2_b64 v[72:75], v59 offset1:16
	ds_read_b128 v[76:79], v55
	ds_read_b128 v[8:11], v55 offset:16
	ds_read_b128 v[4:7], v55 offset:32
	;; [unrolled: 1-line block ×5, first 2 shown]
	s_waitcnt lgkmcnt(5)
	v_mul_f32_e32 v27, v77, v73
	v_mul_f32_e32 v69, v76, v73
	v_fma_f32 v27, v76, v72, -v27
	v_fmac_f32_e32 v69, v77, v72
	v_add_f32_e32 v27, v66, v27
	v_add_f32_e32 v66, v68, v69
	v_mul_f32_e32 v68, v77, v75
	v_fma_f32 v68, v76, v74, -v68
	ds_read2_b64 v[88:91], v59 offset0:32 offset1:48
	v_add_f32_e32 v62, v62, v68
	s_waitcnt lgkmcnt(2)
	v_mul_f32_e32 v68, v81, v73
	v_mul_f32_e32 v69, v76, v75
	v_fma_f32 v68, v80, v72, -v68
	v_fmac_f32_e32 v69, v77, v74
	v_add_f32_e32 v58, v58, v68
	v_mul_f32_e32 v68, v81, v75
	v_add_f32_e32 v64, v64, v69
	v_mul_f32_e32 v69, v80, v73
	v_fma_f32 v68, v80, v74, -v68
	v_fmac_f32_e32 v69, v81, v72
	v_add_f32_e32 v56, v56, v68
	s_waitcnt lgkmcnt(0)
	v_mul_f32_e32 v68, v79, v89
	v_add_f32_e32 v60, v60, v69
	v_mul_f32_e32 v69, v80, v75
	v_fma_f32 v68, v78, v88, -v68
	v_fmac_f32_e32 v69, v81, v74
	v_add_f32_e32 v27, v27, v68
	v_mul_f32_e32 v68, v79, v91
	v_add_f32_e32 v54, v54, v69
	v_mul_f32_e32 v69, v78, v89
	v_fma_f32 v68, v78, v90, -v68
	ds_read2_b64 v[72:75], v59 offset0:64 offset1:80
	v_fmac_f32_e32 v69, v79, v88
	v_add_f32_e32 v62, v62, v68
	v_mul_f32_e32 v68, v83, v89
	v_add_f32_e32 v66, v66, v69
	v_mul_f32_e32 v69, v78, v91
	v_fma_f32 v68, v82, v88, -v68
	v_fmac_f32_e32 v69, v79, v90
	v_add_f32_e32 v58, v58, v68
	v_mul_f32_e32 v68, v83, v91
	v_add_f32_e32 v64, v64, v69
	v_mul_f32_e32 v69, v82, v89
	v_fma_f32 v68, v82, v90, -v68
	v_fmac_f32_e32 v69, v83, v88
	v_add_f32_e32 v56, v56, v68
	s_waitcnt lgkmcnt(0)
	v_mul_f32_e32 v68, v9, v73
	v_add_f32_e32 v60, v60, v69
	v_mul_f32_e32 v69, v82, v91
	v_fma_f32 v68, v8, v72, -v68
	v_fmac_f32_e32 v69, v83, v90
	v_add_f32_e32 v27, v27, v68
	v_mul_f32_e32 v68, v9, v75
	v_add_f32_e32 v54, v54, v69
	v_mul_f32_e32 v69, v8, v73
	v_fma_f32 v68, v8, v74, -v68
	v_mul_f32_e32 v8, v8, v75
	v_fmac_f32_e32 v8, v9, v74
	ds_read2_b64 v[76:79], v59 offset0:96 offset1:112
	v_fmac_f32_e32 v69, v9, v72
	v_add_f32_e32 v9, v62, v68
	v_add_f32_e32 v8, v64, v8
	v_mul_f32_e32 v62, v85, v73
	v_mul_f32_e32 v64, v84, v73
	v_fma_f32 v62, v84, v72, -v62
	v_fmac_f32_e32 v64, v85, v72
	v_add_f32_e32 v58, v58, v62
	v_add_f32_e32 v60, v60, v64
	v_mul_f32_e32 v62, v85, v75
	v_mul_f32_e32 v64, v84, v75
	v_fma_f32 v62, v84, v74, -v62
	v_fmac_f32_e32 v64, v85, v74
	v_add_f32_e32 v56, v56, v62
	v_add_f32_e32 v54, v54, v64
	s_waitcnt lgkmcnt(0)
	v_mul_f32_e32 v62, v11, v77
	v_mul_f32_e32 v64, v10, v77
	v_add_f32_e32 v66, v66, v69
	v_fma_f32 v62, v10, v76, -v62
	v_fmac_f32_e32 v64, v11, v76
	v_add_f32_e32 v27, v27, v62
	v_add_f32_e32 v62, v66, v64
	v_mul_f32_e32 v64, v11, v79
	v_fma_f32 v64, v10, v78, -v64
	v_mul_f32_e32 v10, v10, v79
	v_fmac_f32_e32 v10, v11, v78
	v_add_f32_e32 v66, v8, v10
	v_mul_f32_e32 v8, v87, v77
	v_add_f32_e32 v64, v9, v64
	v_fma_f32 v8, v86, v76, -v8
	v_mul_f32_e32 v9, v86, v77
	v_fmac_f32_e32 v9, v87, v76
	v_add_f32_e32 v58, v58, v8
	v_mul_f32_e32 v8, v87, v79
	v_add_f32_e32 v60, v60, v9
	v_fma_f32 v68, v86, v78, -v8
	ds_read2_b64 v[8:11], v59 offset0:128 offset1:144
	ds_read_b128 v[72:75], v55 offset:4128
	v_add_f32_e32 v56, v56, v68
	v_mul_f32_e32 v69, v86, v79
	v_fmac_f32_e32 v69, v87, v78
	s_waitcnt lgkmcnt(1)
	v_mul_f32_e32 v68, v5, v9
	v_fma_f32 v68, v4, v8, -v68
	v_add_f32_e32 v27, v27, v68
	v_mul_f32_e32 v68, v5, v11
	v_add_f32_e32 v54, v54, v69
	v_mul_f32_e32 v69, v4, v9
	v_fma_f32 v68, v4, v10, -v68
	v_mul_f32_e32 v4, v4, v11
	ds_read2_b64 v[80:83], v59 offset0:160 offset1:176
	v_fmac_f32_e32 v69, v5, v8
	v_fmac_f32_e32 v4, v5, v10
	v_add_f32_e32 v5, v64, v68
	ds_read_b128 v[76:79], v55 offset:4144
	s_waitcnt lgkmcnt(2)
	v_mul_f32_e32 v64, v73, v9
	v_fma_f32 v64, v72, v8, -v64
	v_mul_f32_e32 v9, v72, v9
	v_fmac_f32_e32 v9, v73, v8
	v_add_f32_e32 v8, v58, v64
	v_mul_f32_e32 v58, v73, v11
	v_mul_f32_e32 v11, v72, v11
	v_fma_f32 v58, v72, v10, -v58
	v_fmac_f32_e32 v11, v73, v10
	v_add_f32_e32 v10, v56, v58
	v_add_f32_e32 v11, v54, v11
	s_waitcnt lgkmcnt(1)
	v_mul_f32_e32 v54, v7, v81
	v_mul_f32_e32 v56, v6, v81
	v_add_f32_e32 v62, v62, v69
	v_fma_f32 v54, v6, v80, -v54
	v_fmac_f32_e32 v56, v7, v80
	v_add_f32_e32 v27, v27, v54
	v_add_f32_e32 v54, v62, v56
	v_mul_f32_e32 v56, v7, v83
	v_fma_f32 v56, v6, v82, -v56
	v_mul_f32_e32 v6, v6, v83
	v_add_f32_e32 v4, v66, v4
	v_fmac_f32_e32 v6, v7, v82
	v_add_f32_e32 v58, v4, v6
	v_mul_f32_e32 v4, v75, v81
	v_add_f32_e32 v56, v5, v56
	v_fma_f32 v4, v74, v80, -v4
	v_mul_f32_e32 v5, v74, v81
	v_add_f32_e32 v9, v60, v9
	v_fmac_f32_e32 v5, v75, v80
	v_add_f32_e32 v8, v8, v4
	v_mul_f32_e32 v4, v75, v83
	v_add_f32_e32 v9, v9, v5
	v_fma_f32 v60, v74, v82, -v4
	ds_read2_b64 v[4:7], v59 offset0:192 offset1:208
	v_add_f32_e32 v60, v10, v60
	v_mul_f32_e32 v62, v74, v83
	v_fmac_f32_e32 v62, v75, v82
	v_add_f32_e32 v62, v11, v62
	s_waitcnt lgkmcnt(0)
	v_mul_f32_e32 v10, v1, v5
	v_fma_f32 v10, v0, v4, -v10
	v_add_f32_e32 v27, v27, v10
	v_mul_f32_e32 v10, v1, v7
	v_mul_f32_e32 v11, v0, v5
	v_fma_f32 v10, v0, v6, -v10
	v_mul_f32_e32 v0, v0, v7
	v_fmac_f32_e32 v11, v1, v4
	v_fmac_f32_e32 v0, v1, v6
	v_add_f32_e32 v1, v56, v10
	v_mul_f32_e32 v10, v77, v5
	v_fma_f32 v10, v76, v4, -v10
	v_mul_f32_e32 v5, v76, v5
	v_fmac_f32_e32 v5, v77, v4
	v_add_f32_e32 v4, v8, v10
	v_mul_f32_e32 v8, v77, v7
	v_add_f32_e32 v54, v54, v11
	v_add_f32_e32 v5, v9, v5
	v_fma_f32 v56, v76, v6, -v8
	ds_read2_b64 v[8:11], v59 offset0:224 offset1:240
	v_mul_f32_e32 v7, v76, v7
	v_fmac_f32_e32 v7, v77, v6
	v_add_f32_e32 v0, v58, v0
	v_add_f32_e32 v58, v62, v7
	s_waitcnt lgkmcnt(0)
	v_mul_f32_e32 v6, v3, v9
	v_fma_f32 v6, v2, v8, -v6
	v_add_f32_e32 v27, v27, v6
	v_mul_f32_e32 v6, v3, v11
	v_mul_f32_e32 v7, v2, v9
	v_fma_f32 v6, v2, v10, -v6
	v_mul_f32_e32 v2, v2, v11
	v_fmac_f32_e32 v2, v3, v10
	v_add_f32_e32 v62, v0, v2
	v_mul_f32_e32 v0, v79, v9
	v_add_f32_e32 v56, v60, v56
	v_add_f32_e32 v60, v1, v6
	v_fma_f32 v0, v78, v8, -v0
	v_mul_f32_e32 v1, v78, v9
	v_fmac_f32_e32 v7, v3, v8
	v_fmac_f32_e32 v1, v79, v8
	v_add_f32_e32 v64, v4, v0
	v_mul_f32_e32 v0, v79, v11
	v_add_f32_e32 v54, v54, v7
	v_add_f32_e32 v66, v5, v1
	v_fma_f32 v8, v78, v10, -v0
	ds_read_b128 v[0:3], v55 offset:64
	ds_read2_b64 v[4:7], v63 offset1:16
	v_mul_f32_e32 v9, v78, v11
	v_fmac_f32_e32 v9, v79, v10
	v_add_f32_e32 v56, v56, v8
	v_add_f32_e32 v58, v58, v9
	ds_read_b128 v[8:11], v55 offset:80
	ds_read_b128 v[72:75], v55 offset:4160
	s_waitcnt lgkmcnt(2)
	v_mul_f32_e32 v68, v1, v5
	v_fma_f32 v68, v0, v4, -v68
	v_add_f32_e32 v27, v27, v68
	v_mul_f32_e32 v68, v1, v7
	v_mul_f32_e32 v69, v0, v5
	v_fma_f32 v68, v0, v6, -v68
	v_mul_f32_e32 v0, v0, v7
	ds_read2_b64 v[80:83], v63 offset0:32 offset1:48
	v_fmac_f32_e32 v69, v1, v4
	v_fmac_f32_e32 v0, v1, v6
	v_add_f32_e32 v1, v60, v68
	s_waitcnt lgkmcnt(1)
	v_mul_f32_e32 v60, v73, v5
	v_fma_f32 v60, v72, v4, -v60
	v_mul_f32_e32 v5, v72, v5
	v_fmac_f32_e32 v5, v73, v4
	v_add_f32_e32 v4, v64, v60
	v_mul_f32_e32 v60, v73, v7
	v_fma_f32 v60, v72, v6, -v60
	v_mul_f32_e32 v7, v72, v7
	v_fmac_f32_e32 v7, v73, v6
	v_add_f32_e32 v6, v56, v60
	s_waitcnt lgkmcnt(0)
	v_mul_f32_e32 v56, v3, v81
	v_fma_f32 v56, v2, v80, -v56
	v_add_f32_e32 v27, v27, v56
	v_mul_f32_e32 v56, v3, v83
	v_add_f32_e32 v7, v58, v7
	v_mul_f32_e32 v58, v2, v81
	v_fma_f32 v56, v2, v82, -v56
	v_mul_f32_e32 v2, v2, v83
	v_add_f32_e32 v54, v54, v69
	v_add_f32_e32 v0, v62, v0
	v_fmac_f32_e32 v58, v3, v80
	v_fmac_f32_e32 v2, v3, v82
	v_add_f32_e32 v54, v54, v58
	v_add_f32_e32 v58, v0, v2
	v_mul_f32_e32 v0, v75, v81
	v_add_f32_e32 v56, v1, v56
	v_fma_f32 v0, v74, v80, -v0
	v_mul_f32_e32 v1, v74, v81
	v_add_f32_e32 v5, v66, v5
	v_fmac_f32_e32 v1, v75, v80
	v_add_f32_e32 v4, v4, v0
	v_mul_f32_e32 v0, v75, v83
	v_add_f32_e32 v5, v5, v1
	v_fma_f32 v60, v74, v82, -v0
	ds_read2_b64 v[0:3], v63 offset0:64 offset1:80
	ds_read_b128 v[76:79], v55 offset:4176
	v_mul_f32_e32 v62, v74, v83
	v_add_f32_e32 v60, v6, v60
	v_fmac_f32_e32 v62, v75, v82
	s_waitcnt lgkmcnt(1)
	v_mul_f32_e32 v6, v9, v1
	v_fma_f32 v6, v8, v0, -v6
	v_add_f32_e32 v62, v7, v62
	v_mul_f32_e32 v7, v8, v1
	v_add_f32_e32 v27, v27, v6
	v_mul_f32_e32 v6, v9, v3
	v_fmac_f32_e32 v7, v9, v0
	v_fma_f32 v6, v8, v2, -v6
	v_add_f32_e32 v54, v54, v7
	v_mul_f32_e32 v7, v8, v3
	v_add_f32_e32 v8, v56, v6
	s_waitcnt lgkmcnt(0)
	v_mul_f32_e32 v6, v77, v1
	v_fma_f32 v6, v76, v0, -v6
	v_mul_f32_e32 v1, v76, v1
	v_fmac_f32_e32 v7, v9, v2
	v_fmac_f32_e32 v1, v77, v0
	v_add_f32_e32 v0, v4, v6
	v_mul_f32_e32 v4, v77, v3
	v_add_f32_e32 v9, v58, v7
	v_add_f32_e32 v1, v5, v1
	v_fma_f32 v56, v76, v2, -v4
	ds_read2_b64 v[4:7], v63 offset0:96 offset1:112
	v_mul_f32_e32 v3, v76, v3
	v_fmac_f32_e32 v3, v77, v2
	v_add_f32_e32 v58, v62, v3
	v_add_f32_e32 v56, v60, v56
	s_waitcnt lgkmcnt(0)
	v_mul_f32_e32 v2, v11, v5
	v_fma_f32 v2, v10, v4, -v2
	v_mul_f32_e32 v3, v10, v5
	v_fmac_f32_e32 v3, v11, v4
	v_add_f32_e32 v27, v27, v2
	v_mul_f32_e32 v2, v11, v7
	v_add_f32_e32 v54, v54, v3
	v_fma_f32 v2, v10, v6, -v2
	v_mul_f32_e32 v3, v10, v7
	v_fmac_f32_e32 v3, v11, v6
	v_add_f32_e32 v60, v8, v2
	v_mul_f32_e32 v2, v79, v5
	v_add_f32_e32 v62, v9, v3
	;; [unrolled: 6-line block ×3, first 2 shown]
	v_fma_f32 v4, v78, v6, -v0
	ds_read_b128 v[0:3], v55 offset:96
	ds_read2_b64 v[8:11], v63 offset0:128 offset1:144
	v_mul_f32_e32 v5, v78, v7
	v_fmac_f32_e32 v5, v79, v6
	v_add_f32_e32 v56, v56, v4
	v_add_f32_e32 v58, v58, v5
	ds_read_b128 v[4:7], v55 offset:112
	ds_read_b128 v[72:75], v55 offset:4192
	s_waitcnt lgkmcnt(2)
	v_mul_f32_e32 v68, v1, v9
	v_fma_f32 v68, v0, v8, -v68
	v_add_f32_e32 v27, v27, v68
	v_mul_f32_e32 v68, v1, v11
	v_mul_f32_e32 v69, v0, v9
	v_fma_f32 v68, v0, v10, -v68
	v_mul_f32_e32 v0, v0, v11
	ds_read2_b64 v[80:83], v63 offset0:160 offset1:176
	v_fmac_f32_e32 v69, v1, v8
	v_fmac_f32_e32 v0, v1, v10
	v_add_f32_e32 v1, v60, v68
	s_waitcnt lgkmcnt(1)
	v_mul_f32_e32 v60, v73, v9
	v_fma_f32 v60, v72, v8, -v60
	v_mul_f32_e32 v9, v72, v9
	v_fmac_f32_e32 v9, v73, v8
	v_add_f32_e32 v8, v64, v60
	v_mul_f32_e32 v60, v73, v11
	v_fma_f32 v60, v72, v10, -v60
	v_mul_f32_e32 v11, v72, v11
	v_fmac_f32_e32 v11, v73, v10
	v_add_f32_e32 v10, v56, v60
	s_waitcnt lgkmcnt(0)
	v_mul_f32_e32 v56, v3, v81
	v_fma_f32 v56, v2, v80, -v56
	v_add_f32_e32 v27, v27, v56
	v_mul_f32_e32 v56, v3, v83
	v_add_f32_e32 v11, v58, v11
	v_mul_f32_e32 v58, v2, v81
	v_fma_f32 v56, v2, v82, -v56
	v_mul_f32_e32 v2, v2, v83
	v_add_f32_e32 v54, v54, v69
	v_add_f32_e32 v0, v62, v0
	v_fmac_f32_e32 v58, v3, v80
	v_fmac_f32_e32 v2, v3, v82
	v_add_f32_e32 v54, v54, v58
	v_add_f32_e32 v58, v0, v2
	v_mul_f32_e32 v0, v75, v81
	v_add_f32_e32 v56, v1, v56
	v_fma_f32 v0, v74, v80, -v0
	v_mul_f32_e32 v1, v74, v81
	v_add_f32_e32 v9, v66, v9
	v_fmac_f32_e32 v1, v75, v80
	v_add_f32_e32 v8, v8, v0
	v_mul_f32_e32 v0, v75, v83
	v_add_f32_e32 v9, v9, v1
	v_fma_f32 v60, v74, v82, -v0
	ds_read2_b64 v[0:3], v63 offset0:192 offset1:208
	ds_read_b128 v[76:79], v55 offset:4208
	v_add_f32_e32 v60, v10, v60
	v_mul_f32_e32 v62, v74, v83
	v_fmac_f32_e32 v62, v75, v82
	s_waitcnt lgkmcnt(1)
	v_mul_f32_e32 v10, v5, v1
	v_fma_f32 v10, v4, v0, -v10
	v_add_f32_e32 v27, v27, v10
	v_mul_f32_e32 v10, v5, v3
	v_add_f32_e32 v62, v11, v62
	v_mul_f32_e32 v11, v4, v1
	v_fma_f32 v10, v4, v2, -v10
	v_mul_f32_e32 v4, v4, v3
	v_fmac_f32_e32 v11, v5, v0
	v_fmac_f32_e32 v4, v5, v2
	v_add_f32_e32 v5, v56, v10
	s_waitcnt lgkmcnt(0)
	v_mul_f32_e32 v10, v77, v1
	v_fma_f32 v10, v76, v0, -v10
	v_mul_f32_e32 v1, v76, v1
	v_fmac_f32_e32 v1, v77, v0
	v_add_f32_e32 v0, v8, v10
	v_mul_f32_e32 v8, v77, v3
	v_add_f32_e32 v54, v54, v11
	v_add_f32_e32 v1, v9, v1
	v_fma_f32 v56, v76, v2, -v8
	ds_read2_b64 v[8:11], v63 offset0:224 offset1:240
	v_mul_f32_e32 v3, v76, v3
	v_fmac_f32_e32 v3, v77, v2
	v_add_f32_e32 v4, v58, v4
	v_add_f32_e32 v58, v62, v3
	s_waitcnt lgkmcnt(0)
	v_mul_f32_e32 v2, v7, v9
	v_fma_f32 v2, v6, v8, -v2
	v_mul_f32_e32 v3, v6, v9
	v_fmac_f32_e32 v3, v7, v8
	v_add_f32_e32 v27, v27, v2
	v_mul_f32_e32 v2, v7, v11
	v_add_f32_e32 v54, v54, v3
	v_fma_f32 v2, v6, v10, -v2
	v_mul_f32_e32 v3, v6, v11
	v_add_f32_e32 v56, v60, v56
	v_fmac_f32_e32 v3, v7, v10
	v_add_f32_e32 v60, v5, v2
	v_mul_f32_e32 v2, v79, v9
	v_add_f32_e32 v62, v4, v3
	v_fma_f32 v2, v78, v8, -v2
	v_mul_f32_e32 v3, v78, v9
	v_fmac_f32_e32 v3, v79, v8
	v_add_f32_e32 v64, v0, v2
	v_mul_f32_e32 v0, v79, v11
	v_add_f32_e32 v66, v1, v3
	v_fma_f32 v8, v78, v10, -v0
	ds_read_b128 v[0:3], v55 offset:128
	ds_read2_b64 v[4:7], v65 offset1:16
	v_mul_f32_e32 v9, v78, v11
	v_fmac_f32_e32 v9, v79, v10
	v_add_f32_e32 v56, v56, v8
	v_add_f32_e32 v58, v58, v9
	ds_read_b128 v[8:11], v55 offset:144
	ds_read_b128 v[72:75], v55 offset:4224
	s_waitcnt lgkmcnt(2)
	v_mul_f32_e32 v68, v1, v5
	v_fma_f32 v68, v0, v4, -v68
	v_add_f32_e32 v27, v27, v68
	v_mul_f32_e32 v68, v1, v7
	v_mul_f32_e32 v69, v0, v5
	v_fma_f32 v68, v0, v6, -v68
	v_mul_f32_e32 v0, v0, v7
	ds_read2_b64 v[80:83], v65 offset0:32 offset1:48
	v_fmac_f32_e32 v69, v1, v4
	v_fmac_f32_e32 v0, v1, v6
	v_add_f32_e32 v1, v60, v68
	s_waitcnt lgkmcnt(1)
	v_mul_f32_e32 v60, v73, v5
	v_fma_f32 v60, v72, v4, -v60
	v_mul_f32_e32 v5, v72, v5
	v_fmac_f32_e32 v5, v73, v4
	v_add_f32_e32 v4, v64, v60
	v_mul_f32_e32 v60, v73, v7
	v_fma_f32 v60, v72, v6, -v60
	v_mul_f32_e32 v7, v72, v7
	v_fmac_f32_e32 v7, v73, v6
	v_add_f32_e32 v6, v56, v60
	s_waitcnt lgkmcnt(0)
	v_mul_f32_e32 v56, v3, v81
	v_fma_f32 v56, v2, v80, -v56
	v_add_f32_e32 v27, v27, v56
	v_mul_f32_e32 v56, v3, v83
	v_add_f32_e32 v7, v58, v7
	v_mul_f32_e32 v58, v2, v81
	v_fma_f32 v56, v2, v82, -v56
	v_mul_f32_e32 v2, v2, v83
	v_add_f32_e32 v54, v54, v69
	v_add_f32_e32 v0, v62, v0
	v_fmac_f32_e32 v58, v3, v80
	v_fmac_f32_e32 v2, v3, v82
	v_add_f32_e32 v54, v54, v58
	v_add_f32_e32 v58, v0, v2
	v_mul_f32_e32 v0, v75, v81
	v_add_f32_e32 v56, v1, v56
	v_fma_f32 v0, v74, v80, -v0
	v_mul_f32_e32 v1, v74, v81
	v_add_f32_e32 v5, v66, v5
	v_fmac_f32_e32 v1, v75, v80
	v_add_f32_e32 v4, v4, v0
	v_mul_f32_e32 v0, v75, v83
	v_add_f32_e32 v5, v5, v1
	v_fma_f32 v60, v74, v82, -v0
	ds_read2_b64 v[0:3], v65 offset0:64 offset1:80
	ds_read_b128 v[76:79], v55 offset:4240
	v_mul_f32_e32 v62, v74, v83
	v_add_f32_e32 v60, v6, v60
	v_fmac_f32_e32 v62, v75, v82
	s_waitcnt lgkmcnt(1)
	v_mul_f32_e32 v6, v9, v1
	v_fma_f32 v6, v8, v0, -v6
	v_add_f32_e32 v62, v7, v62
	v_mul_f32_e32 v7, v8, v1
	v_add_f32_e32 v27, v27, v6
	v_mul_f32_e32 v6, v9, v3
	v_fmac_f32_e32 v7, v9, v0
	v_fma_f32 v6, v8, v2, -v6
	v_add_f32_e32 v54, v54, v7
	v_mul_f32_e32 v7, v8, v3
	v_add_f32_e32 v8, v56, v6
	s_waitcnt lgkmcnt(0)
	v_mul_f32_e32 v6, v77, v1
	v_fma_f32 v6, v76, v0, -v6
	v_mul_f32_e32 v1, v76, v1
	v_fmac_f32_e32 v7, v9, v2
	v_fmac_f32_e32 v1, v77, v0
	v_add_f32_e32 v0, v4, v6
	v_mul_f32_e32 v4, v77, v3
	v_add_f32_e32 v9, v58, v7
	v_add_f32_e32 v1, v5, v1
	v_fma_f32 v56, v76, v2, -v4
	ds_read2_b64 v[4:7], v65 offset0:96 offset1:112
	v_mul_f32_e32 v3, v76, v3
	v_fmac_f32_e32 v3, v77, v2
	v_add_f32_e32 v58, v62, v3
	v_add_f32_e32 v56, v60, v56
	s_waitcnt lgkmcnt(0)
	v_mul_f32_e32 v2, v11, v5
	v_fma_f32 v2, v10, v4, -v2
	v_mul_f32_e32 v3, v10, v5
	v_fmac_f32_e32 v3, v11, v4
	v_add_f32_e32 v27, v27, v2
	v_mul_f32_e32 v2, v11, v7
	v_add_f32_e32 v54, v54, v3
	v_fma_f32 v2, v10, v6, -v2
	v_mul_f32_e32 v3, v10, v7
	v_fmac_f32_e32 v3, v11, v6
	v_add_f32_e32 v60, v8, v2
	v_mul_f32_e32 v2, v79, v5
	v_add_f32_e32 v62, v9, v3
	;; [unrolled: 6-line block ×3, first 2 shown]
	v_fma_f32 v4, v78, v6, -v0
	ds_read_b128 v[0:3], v55 offset:160
	ds_read2_b64 v[8:11], v65 offset0:128 offset1:144
	v_mul_f32_e32 v5, v78, v7
	v_fmac_f32_e32 v5, v79, v6
	v_add_f32_e32 v56, v56, v4
	v_add_f32_e32 v58, v58, v5
	ds_read_b128 v[4:7], v55 offset:176
	ds_read_b128 v[72:75], v55 offset:4256
	s_waitcnt lgkmcnt(2)
	v_mul_f32_e32 v68, v1, v9
	v_fma_f32 v68, v0, v8, -v68
	v_add_f32_e32 v27, v27, v68
	v_mul_f32_e32 v68, v1, v11
	v_mul_f32_e32 v69, v0, v9
	v_fma_f32 v68, v0, v10, -v68
	v_mul_f32_e32 v0, v0, v11
	ds_read2_b64 v[80:83], v65 offset0:160 offset1:176
	v_fmac_f32_e32 v69, v1, v8
	v_fmac_f32_e32 v0, v1, v10
	v_add_f32_e32 v1, v60, v68
	s_waitcnt lgkmcnt(1)
	v_mul_f32_e32 v60, v73, v9
	v_fma_f32 v60, v72, v8, -v60
	v_mul_f32_e32 v9, v72, v9
	v_fmac_f32_e32 v9, v73, v8
	v_add_f32_e32 v8, v64, v60
	v_mul_f32_e32 v60, v73, v11
	v_fma_f32 v60, v72, v10, -v60
	v_mul_f32_e32 v11, v72, v11
	v_fmac_f32_e32 v11, v73, v10
	v_add_f32_e32 v10, v56, v60
	s_waitcnt lgkmcnt(0)
	v_mul_f32_e32 v56, v3, v81
	v_fma_f32 v56, v2, v80, -v56
	v_add_f32_e32 v27, v27, v56
	v_mul_f32_e32 v56, v3, v83
	v_add_f32_e32 v11, v58, v11
	v_mul_f32_e32 v58, v2, v81
	v_fma_f32 v56, v2, v82, -v56
	v_mul_f32_e32 v2, v2, v83
	v_add_f32_e32 v54, v54, v69
	v_add_f32_e32 v0, v62, v0
	v_fmac_f32_e32 v58, v3, v80
	v_fmac_f32_e32 v2, v3, v82
	v_add_f32_e32 v54, v54, v58
	v_add_f32_e32 v58, v0, v2
	v_mul_f32_e32 v0, v75, v81
	v_add_f32_e32 v56, v1, v56
	v_fma_f32 v0, v74, v80, -v0
	v_mul_f32_e32 v1, v74, v81
	v_add_f32_e32 v9, v66, v9
	v_fmac_f32_e32 v1, v75, v80
	v_add_f32_e32 v8, v8, v0
	v_mul_f32_e32 v0, v75, v83
	v_add_f32_e32 v9, v9, v1
	v_fma_f32 v60, v74, v82, -v0
	ds_read2_b64 v[0:3], v65 offset0:192 offset1:208
	ds_read_b128 v[76:79], v55 offset:4272
	v_add_f32_e32 v60, v10, v60
	v_mul_f32_e32 v62, v74, v83
	v_fmac_f32_e32 v62, v75, v82
	s_waitcnt lgkmcnt(1)
	v_mul_f32_e32 v10, v5, v1
	v_fma_f32 v10, v4, v0, -v10
	v_add_f32_e32 v27, v27, v10
	v_mul_f32_e32 v10, v5, v3
	v_add_f32_e32 v62, v11, v62
	v_mul_f32_e32 v11, v4, v1
	v_fma_f32 v10, v4, v2, -v10
	v_mul_f32_e32 v4, v4, v3
	v_fmac_f32_e32 v11, v5, v0
	v_fmac_f32_e32 v4, v5, v2
	v_add_f32_e32 v5, v56, v10
	s_waitcnt lgkmcnt(0)
	v_mul_f32_e32 v10, v77, v1
	v_fma_f32 v10, v76, v0, -v10
	v_mul_f32_e32 v1, v76, v1
	v_fmac_f32_e32 v1, v77, v0
	v_add_f32_e32 v0, v8, v10
	v_mul_f32_e32 v8, v77, v3
	v_add_f32_e32 v54, v54, v11
	v_add_f32_e32 v1, v9, v1
	v_fma_f32 v56, v76, v2, -v8
	ds_read2_b64 v[8:11], v65 offset0:224 offset1:240
	v_mul_f32_e32 v3, v76, v3
	v_fmac_f32_e32 v3, v77, v2
	v_add_f32_e32 v4, v58, v4
	v_add_f32_e32 v58, v62, v3
	s_waitcnt lgkmcnt(0)
	v_mul_f32_e32 v2, v7, v9
	v_fma_f32 v2, v6, v8, -v2
	v_mul_f32_e32 v3, v6, v9
	v_fmac_f32_e32 v3, v7, v8
	v_add_f32_e32 v27, v27, v2
	v_mul_f32_e32 v2, v7, v11
	v_add_f32_e32 v54, v54, v3
	v_fma_f32 v2, v6, v10, -v2
	v_mul_f32_e32 v3, v6, v11
	v_add_f32_e32 v56, v60, v56
	v_fmac_f32_e32 v3, v7, v10
	v_add_f32_e32 v60, v5, v2
	v_mul_f32_e32 v2, v79, v9
	v_add_f32_e32 v62, v4, v3
	v_fma_f32 v2, v78, v8, -v2
	v_mul_f32_e32 v3, v78, v9
	v_fmac_f32_e32 v3, v79, v8
	v_add_f32_e32 v64, v0, v2
	v_mul_f32_e32 v0, v79, v11
	v_add_f32_e32 v66, v1, v3
	v_fma_f32 v8, v78, v10, -v0
	ds_read_b128 v[0:3], v55 offset:192
	ds_read2_b64 v[4:7], v67 offset1:16
	v_mul_f32_e32 v9, v78, v11
	v_fmac_f32_e32 v9, v79, v10
	v_add_f32_e32 v56, v56, v8
	v_add_f32_e32 v58, v58, v9
	ds_read_b128 v[8:11], v55 offset:208
	ds_read_b128 v[72:75], v55 offset:4288
	s_waitcnt lgkmcnt(2)
	v_mul_f32_e32 v68, v1, v5
	v_fma_f32 v68, v0, v4, -v68
	v_add_f32_e32 v27, v27, v68
	v_mul_f32_e32 v68, v1, v7
	v_mul_f32_e32 v69, v0, v5
	v_fma_f32 v68, v0, v6, -v68
	v_mul_f32_e32 v0, v0, v7
	ds_read2_b64 v[80:83], v67 offset0:32 offset1:48
	v_fmac_f32_e32 v69, v1, v4
	v_fmac_f32_e32 v0, v1, v6
	v_add_f32_e32 v1, v60, v68
	s_waitcnt lgkmcnt(1)
	v_mul_f32_e32 v60, v73, v5
	v_fma_f32 v60, v72, v4, -v60
	v_mul_f32_e32 v5, v72, v5
	v_fmac_f32_e32 v5, v73, v4
	v_add_f32_e32 v4, v64, v60
	v_mul_f32_e32 v60, v73, v7
	v_fma_f32 v60, v72, v6, -v60
	v_mul_f32_e32 v7, v72, v7
	v_fmac_f32_e32 v7, v73, v6
	v_add_f32_e32 v6, v56, v60
	s_waitcnt lgkmcnt(0)
	v_mul_f32_e32 v56, v3, v81
	v_fma_f32 v56, v2, v80, -v56
	v_add_f32_e32 v27, v27, v56
	v_mul_f32_e32 v56, v3, v83
	v_add_f32_e32 v7, v58, v7
	v_mul_f32_e32 v58, v2, v81
	v_fma_f32 v56, v2, v82, -v56
	v_mul_f32_e32 v2, v2, v83
	v_add_f32_e32 v54, v54, v69
	v_add_f32_e32 v0, v62, v0
	v_fmac_f32_e32 v58, v3, v80
	v_fmac_f32_e32 v2, v3, v82
	v_add_f32_e32 v54, v54, v58
	v_add_f32_e32 v58, v0, v2
	v_mul_f32_e32 v0, v75, v81
	v_add_f32_e32 v56, v1, v56
	v_fma_f32 v0, v74, v80, -v0
	v_mul_f32_e32 v1, v74, v81
	v_add_f32_e32 v5, v66, v5
	v_fmac_f32_e32 v1, v75, v80
	v_add_f32_e32 v4, v4, v0
	v_mul_f32_e32 v0, v75, v83
	v_add_f32_e32 v5, v5, v1
	v_fma_f32 v60, v74, v82, -v0
	ds_read2_b64 v[0:3], v67 offset0:64 offset1:80
	ds_read_b128 v[76:79], v55 offset:4304
	v_mul_f32_e32 v62, v74, v83
	v_add_f32_e32 v60, v6, v60
	v_fmac_f32_e32 v62, v75, v82
	s_waitcnt lgkmcnt(1)
	v_mul_f32_e32 v6, v9, v1
	v_fma_f32 v6, v8, v0, -v6
	v_add_f32_e32 v62, v7, v62
	v_mul_f32_e32 v7, v8, v1
	v_add_f32_e32 v27, v27, v6
	v_mul_f32_e32 v6, v9, v3
	v_fmac_f32_e32 v7, v9, v0
	v_fma_f32 v6, v8, v2, -v6
	v_add_f32_e32 v54, v54, v7
	v_mul_f32_e32 v7, v8, v3
	v_add_f32_e32 v8, v56, v6
	s_waitcnt lgkmcnt(0)
	v_mul_f32_e32 v6, v77, v1
	v_fma_f32 v6, v76, v0, -v6
	v_mul_f32_e32 v1, v76, v1
	v_fmac_f32_e32 v7, v9, v2
	v_fmac_f32_e32 v1, v77, v0
	v_add_f32_e32 v0, v4, v6
	v_mul_f32_e32 v4, v77, v3
	v_add_f32_e32 v9, v58, v7
	v_add_f32_e32 v1, v5, v1
	v_fma_f32 v56, v76, v2, -v4
	ds_read2_b64 v[4:7], v67 offset0:96 offset1:112
	v_mul_f32_e32 v3, v76, v3
	v_fmac_f32_e32 v3, v77, v2
	v_add_f32_e32 v58, v62, v3
	v_add_f32_e32 v56, v60, v56
	s_waitcnt lgkmcnt(0)
	v_mul_f32_e32 v2, v11, v5
	v_fma_f32 v2, v10, v4, -v2
	v_mul_f32_e32 v3, v10, v5
	v_fmac_f32_e32 v3, v11, v4
	v_add_f32_e32 v27, v27, v2
	v_mul_f32_e32 v2, v11, v7
	v_add_f32_e32 v54, v54, v3
	v_fma_f32 v2, v10, v6, -v2
	v_mul_f32_e32 v3, v10, v7
	v_fmac_f32_e32 v3, v11, v6
	v_add_f32_e32 v60, v8, v2
	v_mul_f32_e32 v2, v79, v5
	v_add_f32_e32 v62, v9, v3
	;; [unrolled: 6-line block ×3, first 2 shown]
	v_fma_f32 v4, v78, v6, -v0
	ds_read_b128 v[0:3], v55 offset:224
	ds_read2_b64 v[8:11], v67 offset0:128 offset1:144
	v_mul_f32_e32 v5, v78, v7
	v_fmac_f32_e32 v5, v79, v6
	v_add_f32_e32 v56, v56, v4
	v_add_f32_e32 v58, v58, v5
	ds_read_b128 v[4:7], v55 offset:240
	ds_read_b128 v[72:75], v55 offset:4320
	s_waitcnt lgkmcnt(2)
	v_mul_f32_e32 v68, v1, v9
	v_fma_f32 v68, v0, v8, -v68
	v_add_f32_e32 v27, v27, v68
	v_mul_f32_e32 v68, v1, v11
	v_mul_f32_e32 v69, v0, v9
	v_fma_f32 v68, v0, v10, -v68
	v_mul_f32_e32 v0, v0, v11
	ds_read2_b64 v[80:83], v67 offset0:160 offset1:176
	v_fmac_f32_e32 v69, v1, v8
	v_fmac_f32_e32 v0, v1, v10
	v_add_f32_e32 v1, v60, v68
	s_waitcnt lgkmcnt(1)
	v_mul_f32_e32 v60, v73, v9
	v_fma_f32 v60, v72, v8, -v60
	v_mul_f32_e32 v9, v72, v9
	v_fmac_f32_e32 v9, v73, v8
	v_add_f32_e32 v8, v64, v60
	v_mul_f32_e32 v60, v73, v11
	v_fma_f32 v60, v72, v10, -v60
	v_mul_f32_e32 v11, v72, v11
	v_fmac_f32_e32 v11, v73, v10
	v_add_f32_e32 v10, v56, v60
	s_waitcnt lgkmcnt(0)
	v_mul_f32_e32 v56, v3, v81
	v_fma_f32 v56, v2, v80, -v56
	v_add_f32_e32 v27, v27, v56
	v_mul_f32_e32 v56, v3, v83
	v_add_f32_e32 v11, v58, v11
	v_mul_f32_e32 v58, v2, v81
	v_fma_f32 v56, v2, v82, -v56
	v_mul_f32_e32 v2, v2, v83
	v_add_f32_e32 v54, v54, v69
	v_add_f32_e32 v0, v62, v0
	v_fmac_f32_e32 v58, v3, v80
	v_fmac_f32_e32 v2, v3, v82
	v_add_f32_e32 v54, v54, v58
	v_add_f32_e32 v58, v0, v2
	v_mul_f32_e32 v0, v75, v81
	v_add_f32_e32 v56, v1, v56
	v_fma_f32 v0, v74, v80, -v0
	v_mul_f32_e32 v1, v74, v81
	v_add_f32_e32 v9, v66, v9
	v_fmac_f32_e32 v1, v75, v80
	v_add_f32_e32 v8, v8, v0
	v_mul_f32_e32 v0, v75, v83
	v_add_f32_e32 v9, v9, v1
	v_fma_f32 v60, v74, v82, -v0
	ds_read2_b64 v[0:3], v67 offset0:192 offset1:208
	ds_read_b128 v[76:79], v55 offset:4336
	v_add_f32_e32 v60, v10, v60
	v_mul_f32_e32 v62, v74, v83
	v_fmac_f32_e32 v62, v75, v82
	s_waitcnt lgkmcnt(1)
	v_mul_f32_e32 v10, v5, v1
	v_fma_f32 v10, v4, v0, -v10
	v_add_f32_e32 v27, v27, v10
	v_mul_f32_e32 v10, v5, v3
	v_add_f32_e32 v62, v11, v62
	v_mul_f32_e32 v11, v4, v1
	v_fma_f32 v10, v4, v2, -v10
	v_mul_f32_e32 v4, v4, v3
	v_fmac_f32_e32 v11, v5, v0
	v_fmac_f32_e32 v4, v5, v2
	v_add_f32_e32 v5, v56, v10
	s_waitcnt lgkmcnt(0)
	v_mul_f32_e32 v10, v77, v1
	v_fma_f32 v10, v76, v0, -v10
	v_mul_f32_e32 v1, v76, v1
	v_fmac_f32_e32 v1, v77, v0
	v_add_f32_e32 v0, v8, v10
	v_mul_f32_e32 v8, v77, v3
	v_add_f32_e32 v54, v54, v11
	v_add_f32_e32 v1, v9, v1
	v_fma_f32 v56, v76, v2, -v8
	ds_read2_b64 v[8:11], v67 offset0:224 offset1:240
	v_mul_f32_e32 v3, v76, v3
	v_fmac_f32_e32 v3, v77, v2
	v_add_f32_e32 v2, v60, v56
	v_add_f32_e32 v4, v58, v4
	s_waitcnt lgkmcnt(0)
	v_mul_f32_e32 v56, v7, v9
	v_fma_f32 v56, v6, v8, -v56
	v_add_f32_e32 v66, v27, v56
	v_mul_f32_e32 v27, v7, v11
	v_mul_f32_e32 v58, v6, v9
	v_fma_f32 v27, v6, v10, -v27
	v_mul_f32_e32 v6, v6, v11
	v_fmac_f32_e32 v6, v7, v10
	v_add_f32_e32 v3, v62, v3
	v_add_f32_e32 v62, v5, v27
	;; [unrolled: 1-line block ×3, first 2 shown]
	v_mul_f32_e32 v4, v79, v9
	v_mul_f32_e32 v5, v78, v9
	v_fmac_f32_e32 v58, v7, v8
	v_fma_f32 v4, v78, v8, -v4
	v_fmac_f32_e32 v5, v79, v8
	v_add_f32_e32 v68, v54, v58
	v_add_f32_e32 v58, v0, v4
	;; [unrolled: 1-line block ×3, first 2 shown]
	v_mul_f32_e32 v0, v79, v11
	v_mul_f32_e32 v1, v78, v11
	s_add_u32 s20, s20, 32
	v_fma_f32 v0, v78, v10, -v0
	v_fmac_f32_e32 v1, v79, v10
	s_addc_u32 s21, s21, 0
	s_sub_i32 s10, s20, 32
	v_add_f32_e32 v56, v2, v0
	v_add_f32_e32 v54, v3, v1
	v_lshl_add_u64 v[52:53], v[52:53], 0, s[40:41]
	v_lshl_add_u64 v[50:51], v[50:51], 0, s[30:31]
	s_cmp_ge_i32 s10, s50
	v_lshl_add_u64 v[48:49], v[48:49], 0, s[30:31]
	s_barrier
	s_cbranch_scc1 .LBB89_51
.LBB89_7:                               ;   Parent Loop BB89_4 Depth=1
                                        ; =>  This Inner Loop Header: Depth=2
	v_lshl_add_u64 v[2:3], v[14:15], 0, s[20:21]
	v_cmp_eq_u64_e64 s[10:11], s[20:21], v[38:39]
	s_and_b64 s[46:47], s[24:25], s[10:11]
	v_cmp_gt_i64_e64 s[10:11], v[2:3], v[36:37]
	s_or_b64 s[14:15], s[6:7], s[10:11]
	v_cmp_le_i64_e64 s[12:13], s[26:27], v[2:3]
	s_or_b64 s[14:15], s[14:15], s[46:47]
	v_lshl_add_u64 v[0:1], v[48:49], 0, v[40:41]
	s_nor_b64 s[14:15], s[12:13], s[14:15]
	s_and_saveexec_b64 s[18:19], s[14:15]
	s_xor_b64 s[14:15], exec, s[18:19]
	s_cbranch_execz .LBB89_9
; %bb.8:                                ;   in Loop: Header=BB89_7 Depth=2
	global_load_dwordx2 v[4:5], v[0:1], off
	s_waitcnt vmcnt(0)
	ds_write_b64 v57, v[4:5]
.LBB89_9:                               ;   in Loop: Header=BB89_7 Depth=2
	s_or_saveexec_b64 s[14:15], s[14:15]
	s_xor_b64 s[44:45], s[46:47], -1
	s_xor_b64 exec, exec, s[14:15]
	s_cbranch_execz .LBB89_15
; %bb.10:                               ;   in Loop: Header=BB89_7 Depth=2
	s_and_saveexec_b64 s[18:19], s[44:45]
	s_xor_b64 s[18:19], exec, s[18:19]
; %bb.11:                               ;   in Loop: Header=BB89_7 Depth=2
	ds_write_b64 v57, v[70:71]
; %bb.12:                               ;   in Loop: Header=BB89_7 Depth=2
	s_andn2_saveexec_b64 s[18:19], s[18:19]
; %bb.13:                               ;   in Loop: Header=BB89_7 Depth=2
	ds_write_b64 v57, v[34:35]
; %bb.14:                               ;   in Loop: Header=BB89_7 Depth=2
	s_or_b64 exec, exec, s[18:19]
.LBB89_15:                              ;   in Loop: Header=BB89_7 Depth=2
	s_or_b64 exec, exec, s[14:15]
	v_lshl_add_u64 v[4:5], v[2:3], 0, 16
	v_cmp_eq_u64_e64 s[14:15], s[20:21], v[46:47]
	v_cmp_gt_i64_e64 s[18:19], v[4:5], v[36:37]
	s_and_b64 s[48:49], s[24:25], s[14:15]
	s_or_b64 s[18:19], s[6:7], s[18:19]
	v_cmp_le_i64_e64 s[14:15], s[26:27], v[4:5]
	s_or_b64 s[18:19], s[18:19], s[48:49]
	s_nor_b64 s[18:19], s[14:15], s[18:19]
	v_lshl_add_u64 v[4:5], v[50:51], 0, v[40:41]
	s_and_saveexec_b64 s[52:53], s[18:19]
	s_xor_b64 s[18:19], exec, s[52:53]
	s_cbranch_execz .LBB89_17
; %bb.16:                               ;   in Loop: Header=BB89_7 Depth=2
	global_load_dwordx2 v[6:7], v[4:5], off
	s_waitcnt vmcnt(0)
	ds_write_b64 v57, v[6:7] offset:128
.LBB89_17:                              ;   in Loop: Header=BB89_7 Depth=2
	s_andn2_saveexec_b64 s[18:19], s[18:19]
	s_cbranch_execz .LBB89_23
; %bb.18:                               ;   in Loop: Header=BB89_7 Depth=2
	s_xor_b64 s[48:49], s[48:49], -1
	s_and_saveexec_b64 s[52:53], s[48:49]
	s_xor_b64 s[48:49], exec, s[52:53]
; %bb.19:                               ;   in Loop: Header=BB89_7 Depth=2
	ds_write_b64 v57, v[70:71] offset:128
; %bb.20:                               ;   in Loop: Header=BB89_7 Depth=2
	s_andn2_saveexec_b64 s[48:49], s[48:49]
; %bb.21:                               ;   in Loop: Header=BB89_7 Depth=2
	ds_write_b64 v57, v[34:35] offset:128
; %bb.22:                               ;   in Loop: Header=BB89_7 Depth=2
	s_or_b64 exec, exec, s[48:49]
.LBB89_23:                              ;   in Loop: Header=BB89_7 Depth=2
	s_or_b64 exec, exec, s[18:19]
	v_cmp_eq_u64_e64 s[18:19], s[20:21], v[44:45]
	s_and_b64 s[48:49], s[24:25], s[18:19]
	v_cmp_gt_i64_e64 s[18:19], v[2:3], v[42:43]
	s_or_b64 s[18:19], s[8:9], s[18:19]
	s_or_b64 s[18:19], s[18:19], s[48:49]
	s_nor_b64 s[12:13], s[12:13], s[18:19]
	s_and_saveexec_b64 s[18:19], s[12:13]
	s_xor_b64 s[12:13], exec, s[18:19]
	s_cbranch_execz .LBB89_25
; %bb.24:                               ;   in Loop: Header=BB89_7 Depth=2
	global_load_dwordx2 v[0:1], v[0:1], off offset:128
	s_waitcnt vmcnt(0)
	ds_write_b64 v57, v[0:1] offset:4096
.LBB89_25:                              ;   in Loop: Header=BB89_7 Depth=2
	s_andn2_saveexec_b64 s[12:13], s[12:13]
	s_cbranch_execz .LBB89_31
; %bb.26:                               ;   in Loop: Header=BB89_7 Depth=2
	s_xor_b64 s[18:19], s[48:49], -1
	s_and_saveexec_b64 s[48:49], s[18:19]
	s_xor_b64 s[18:19], exec, s[48:49]
; %bb.27:                               ;   in Loop: Header=BB89_7 Depth=2
	ds_write_b64 v57, v[70:71] offset:4096
; %bb.28:                               ;   in Loop: Header=BB89_7 Depth=2
	s_andn2_saveexec_b64 s[18:19], s[18:19]
; %bb.29:                               ;   in Loop: Header=BB89_7 Depth=2
	ds_write_b64 v57, v[34:35] offset:4096
; %bb.30:                               ;   in Loop: Header=BB89_7 Depth=2
	s_or_b64 exec, exec, s[18:19]
.LBB89_31:                              ;   in Loop: Header=BB89_7 Depth=2
	s_or_b64 exec, exec, s[12:13]
	s_or_b64 s[10:11], s[8:9], s[10:11]
	s_or_b64 s[10:11], s[10:11], s[46:47]
	s_nor_b64 s[10:11], s[14:15], s[10:11]
	s_and_saveexec_b64 s[12:13], s[10:11]
	s_xor_b64 s[10:11], exec, s[12:13]
	s_cbranch_execz .LBB89_33
; %bb.32:                               ;   in Loop: Header=BB89_7 Depth=2
	global_load_dwordx2 v[0:1], v[4:5], off offset:128
	s_waitcnt vmcnt(0)
	ds_write_b64 v57, v[0:1] offset:4224
.LBB89_33:                              ;   in Loop: Header=BB89_7 Depth=2
	s_andn2_saveexec_b64 s[10:11], s[10:11]
	s_cbranch_execz .LBB89_39
; %bb.34:                               ;   in Loop: Header=BB89_7 Depth=2
	s_and_saveexec_b64 s[12:13], s[44:45]
	s_xor_b64 s[12:13], exec, s[12:13]
; %bb.35:                               ;   in Loop: Header=BB89_7 Depth=2
	ds_write_b64 v57, v[70:71] offset:4224
; %bb.36:                               ;   in Loop: Header=BB89_7 Depth=2
	s_andn2_saveexec_b64 s[12:13], s[12:13]
; %bb.37:                               ;   in Loop: Header=BB89_7 Depth=2
	ds_write_b64 v57, v[34:35] offset:4224
; %bb.38:                               ;   in Loop: Header=BB89_7 Depth=2
	s_or_b64 exec, exec, s[12:13]
.LBB89_39:                              ;   in Loop: Header=BB89_7 Depth=2
	s_or_b64 exec, exec, s[10:11]
	v_lshl_add_u64 v[0:1], v[12:13], 0, s[20:21]
	v_cmp_le_i64_e64 s[10:11], s[26:27], v[0:1]
	v_lshl_add_u64 v[2:3], v[52:53], 0, v[28:29]
	s_nor_b64 s[14:15], s[10:11], vcc
	v_mov_b64_e32 v[4:5], 0
	s_and_saveexec_b64 s[12:13], s[14:15]
	s_cbranch_execz .LBB89_41
; %bb.40:                               ;   in Loop: Header=BB89_7 Depth=2
	global_load_dwordx2 v[4:5], v[2:3], off offset:-128
.LBB89_41:                              ;   in Loop: Header=BB89_7 Depth=2
	s_or_b64 exec, exec, s[12:13]
	s_nor_b64 s[10:11], s[10:11], s[0:1]
	s_waitcnt vmcnt(0)
	ds_write_b64 v61, v[4:5]
	s_and_saveexec_b64 s[12:13], s[10:11]
	s_xor_b64 s[10:11], exec, s[12:13]
	s_cbranch_execz .LBB89_43
; %bb.42:                               ;   in Loop: Header=BB89_7 Depth=2
	global_load_dwordx2 v[2:3], v[2:3], off
	s_waitcnt vmcnt(0)
	ds_write_b64 v61, v[2:3] offset:128
.LBB89_43:                              ;   in Loop: Header=BB89_7 Depth=2
	s_andn2_saveexec_b64 s[10:11], s[10:11]
; %bb.44:                               ;   in Loop: Header=BB89_7 Depth=2
	ds_write_b64 v61, v[70:71] offset:128
; %bb.45:                               ;   in Loop: Header=BB89_7 Depth=2
	s_or_b64 exec, exec, s[10:11]
	v_cmp_le_i64_e64 s[10:11], s[42:43], v[0:1]
	v_lshl_add_u64 v[0:1], v[52:53], 0, v[32:33]
	s_nor_b64 s[14:15], s[10:11], vcc
	v_mov_b64_e32 v[2:3], 0
	s_and_saveexec_b64 s[12:13], s[14:15]
	s_cbranch_execz .LBB89_47
; %bb.46:                               ;   in Loop: Header=BB89_7 Depth=2
	global_load_dwordx2 v[2:3], v[0:1], off
.LBB89_47:                              ;   in Loop: Header=BB89_7 Depth=2
	s_or_b64 exec, exec, s[12:13]
	s_nor_b64 s[10:11], s[10:11], s[0:1]
	s_waitcnt vmcnt(0)
	ds_write_b64 v61, v[2:3] offset:4096
	s_and_saveexec_b64 s[12:13], s[10:11]
	s_xor_b64 s[10:11], exec, s[12:13]
	s_cbranch_execz .LBB89_49
; %bb.48:                               ;   in Loop: Header=BB89_7 Depth=2
	global_load_dwordx2 v[0:1], v[0:1], off offset:128
	s_waitcnt vmcnt(0)
	ds_write_b64 v61, v[0:1] offset:4224
.LBB89_49:                              ;   in Loop: Header=BB89_7 Depth=2
	s_andn2_saveexec_b64 s[10:11], s[10:11]
	s_cbranch_execz .LBB89_6
; %bb.50:                               ;   in Loop: Header=BB89_7 Depth=2
	ds_write_b64 v61, v[70:71] offset:4224
	s_branch .LBB89_6
.LBB89_51:                              ;   in Loop: Header=BB89_4 Depth=1
	v_mul_lo_u32 v2, s29, v36
	v_mul_lo_u32 v3, s28, v37
	v_mad_u64_u32 v[0:1], s[8:9], s28, v36, 0
	v_cmp_gt_i32_e64 s[6:7], s38, v36
	v_add3_u32 v1, v1, v3, v2
	v_lshl_add_u64 v[0:1], v[0:1], 3, s[22:23]
	s_and_b64 s[10:11], s[16:17], s[6:7]
	s_and_saveexec_b64 s[8:9], s[10:11]
	s_cbranch_execz .LBB89_53
; %bb.52:                               ;   in Loop: Header=BB89_4 Depth=1
	v_lshl_add_u64 v[2:3], v[16:17], 3, v[0:1]
	global_load_dwordx2 v[4:5], v[2:3], off
	v_pk_mul_f32 v[6:7], v[68:69], s[36:37] op_sel_hi:[0,1]
	v_pk_fma_f32 v[8:9], v[66:67], s[34:35], v[6:7] neg_lo:[0,0,1] neg_hi:[0,0,1]
	v_pk_fma_f32 v[6:7], v[66:67], s[34:35], v[6:7] op_sel_hi:[0,1,1]
	v_mov_b32_e32 v9, v7
	s_waitcnt vmcnt(0)
	v_pk_add_f32 v[4:5], v[4:5], v[8:9]
	global_store_dwordx2 v[2:3], v[4:5], off
.LBB89_53:                              ;   in Loop: Header=BB89_4 Depth=1
	s_or_b64 exec, exec, s[8:9]
	s_and_b64 s[8:9], s[4:5], s[6:7]
	s_and_saveexec_b64 s[6:7], s[8:9]
	s_cbranch_execz .LBB89_55
; %bb.54:                               ;   in Loop: Header=BB89_4 Depth=1
	v_lshl_add_u64 v[0:1], v[22:23], 3, v[0:1]
	global_load_dwordx2 v[2:3], v[0:1], off
	v_pk_mul_f32 v[4:5], v[64:65], s[36:37] op_sel_hi:[0,1]
	v_pk_fma_f32 v[6:7], v[62:63], s[34:35], v[4:5] neg_lo:[0,0,1] neg_hi:[0,0,1]
	v_pk_fma_f32 v[4:5], v[62:63], s[34:35], v[4:5] op_sel_hi:[0,1,1]
	v_mov_b32_e32 v7, v5
	s_waitcnt vmcnt(0)
	v_pk_add_f32 v[2:3], v[2:3], v[6:7]
	global_store_dwordx2 v[0:1], v[2:3], off
.LBB89_55:                              ;   in Loop: Header=BB89_4 Depth=1
	s_or_b64 exec, exec, s[6:7]
	v_add_u32_e32 v0, 16, v36
	v_ashrrev_i32_e32 v1, 31, v0
	v_cmp_gt_i32_e64 s[6:7], s38, v0
	v_mul_lo_u32 v2, s28, v1
	v_mul_lo_u32 v3, s29, v0
	v_mad_u64_u32 v[0:1], s[8:9], s28, v0, 0
	v_add3_u32 v1, v1, v2, v3
	v_lshl_add_u64 v[0:1], v[0:1], 3, s[22:23]
	s_and_b64 s[10:11], s[16:17], s[6:7]
	s_and_saveexec_b64 s[8:9], s[10:11]
	s_cbranch_execz .LBB89_57
; %bb.56:                               ;   in Loop: Header=BB89_4 Depth=1
	v_lshl_add_u64 v[2:3], v[16:17], 3, v[0:1]
	global_load_dwordx2 v[4:5], v[2:3], off
	v_pk_mul_f32 v[6:7], v[60:61], s[36:37] op_sel_hi:[0,1]
	v_pk_fma_f32 v[8:9], v[58:59], s[34:35], v[6:7] neg_lo:[0,0,1] neg_hi:[0,0,1]
	v_pk_fma_f32 v[6:7], v[58:59], s[34:35], v[6:7] op_sel_hi:[0,1,1]
	v_mov_b32_e32 v9, v7
	s_waitcnt vmcnt(0)
	v_pk_add_f32 v[4:5], v[4:5], v[8:9]
	global_store_dwordx2 v[2:3], v[4:5], off
.LBB89_57:                              ;   in Loop: Header=BB89_4 Depth=1
	s_or_b64 exec, exec, s[8:9]
	s_and_b64 s[8:9], s[4:5], s[6:7]
	s_and_saveexec_b64 s[6:7], s[8:9]
	s_cbranch_execz .LBB89_3
; %bb.58:                               ;   in Loop: Header=BB89_4 Depth=1
	v_lshl_add_u64 v[0:1], v[22:23], 3, v[0:1]
	global_load_dwordx2 v[2:3], v[0:1], off
	v_pk_mul_f32 v[4:5], v[54:55], s[36:37] op_sel_hi:[0,1]
	v_pk_fma_f32 v[6:7], v[56:57], s[34:35], v[4:5] neg_lo:[0,0,1] neg_hi:[0,0,1]
	v_pk_fma_f32 v[4:5], v[56:57], s[34:35], v[4:5] op_sel_hi:[0,1,1]
	v_mov_b32_e32 v7, v5
	s_waitcnt vmcnt(0)
	v_pk_add_f32 v[2:3], v[2:3], v[6:7]
	global_store_dwordx2 v[0:1], v[2:3], off
	s_branch .LBB89_3
.LBB89_59:
	s_endpgm
	.section	.rodata,"a",@progbits
	.p2align	6, 0x0
	.amdhsa_kernel _ZL30rocblas_trmm_outofplace_kernelI19rocblas_complex_numIfELi32ELi2ELb0ELb0ELb1ELb0ES1_KS1_S1_Ev17rocblas_diagonal_iiT6_lPT7_lllS6_lllPT8_llli
		.amdhsa_group_segment_fixed_size 16384
		.amdhsa_private_segment_fixed_size 0
		.amdhsa_kernarg_size 392
		.amdhsa_user_sgpr_count 2
		.amdhsa_user_sgpr_dispatch_ptr 0
		.amdhsa_user_sgpr_queue_ptr 0
		.amdhsa_user_sgpr_kernarg_segment_ptr 1
		.amdhsa_user_sgpr_dispatch_id 0
		.amdhsa_user_sgpr_kernarg_preload_length 0
		.amdhsa_user_sgpr_kernarg_preload_offset 0
		.amdhsa_user_sgpr_private_segment_size 0
		.amdhsa_uses_dynamic_stack 0
		.amdhsa_enable_private_segment 0
		.amdhsa_system_sgpr_workgroup_id_x 1
		.amdhsa_system_sgpr_workgroup_id_y 1
		.amdhsa_system_sgpr_workgroup_id_z 1
		.amdhsa_system_sgpr_workgroup_info 0
		.amdhsa_system_vgpr_workitem_id 1
		.amdhsa_next_free_vgpr 92
		.amdhsa_next_free_sgpr 54
		.amdhsa_accum_offset 92
		.amdhsa_reserve_vcc 1
		.amdhsa_float_round_mode_32 0
		.amdhsa_float_round_mode_16_64 0
		.amdhsa_float_denorm_mode_32 3
		.amdhsa_float_denorm_mode_16_64 3
		.amdhsa_dx10_clamp 1
		.amdhsa_ieee_mode 1
		.amdhsa_fp16_overflow 0
		.amdhsa_tg_split 0
		.amdhsa_exception_fp_ieee_invalid_op 0
		.amdhsa_exception_fp_denorm_src 0
		.amdhsa_exception_fp_ieee_div_zero 0
		.amdhsa_exception_fp_ieee_overflow 0
		.amdhsa_exception_fp_ieee_underflow 0
		.amdhsa_exception_fp_ieee_inexact 0
		.amdhsa_exception_int_div_zero 0
	.end_amdhsa_kernel
	.section	.text._ZL30rocblas_trmm_outofplace_kernelI19rocblas_complex_numIfELi32ELi2ELb0ELb0ELb1ELb0ES1_KS1_S1_Ev17rocblas_diagonal_iiT6_lPT7_lllS6_lllPT8_llli,"axG",@progbits,_ZL30rocblas_trmm_outofplace_kernelI19rocblas_complex_numIfELi32ELi2ELb0ELb0ELb1ELb0ES1_KS1_S1_Ev17rocblas_diagonal_iiT6_lPT7_lllS6_lllPT8_llli,comdat
.Lfunc_end89:
	.size	_ZL30rocblas_trmm_outofplace_kernelI19rocblas_complex_numIfELi32ELi2ELb0ELb0ELb1ELb0ES1_KS1_S1_Ev17rocblas_diagonal_iiT6_lPT7_lllS6_lllPT8_llli, .Lfunc_end89-_ZL30rocblas_trmm_outofplace_kernelI19rocblas_complex_numIfELi32ELi2ELb0ELb0ELb1ELb0ES1_KS1_S1_Ev17rocblas_diagonal_iiT6_lPT7_lllS6_lllPT8_llli
                                        ; -- End function
	.set _ZL30rocblas_trmm_outofplace_kernelI19rocblas_complex_numIfELi32ELi2ELb0ELb0ELb1ELb0ES1_KS1_S1_Ev17rocblas_diagonal_iiT6_lPT7_lllS6_lllPT8_llli.num_vgpr, 92
	.set _ZL30rocblas_trmm_outofplace_kernelI19rocblas_complex_numIfELi32ELi2ELb0ELb0ELb1ELb0ES1_KS1_S1_Ev17rocblas_diagonal_iiT6_lPT7_lllS6_lllPT8_llli.num_agpr, 0
	.set _ZL30rocblas_trmm_outofplace_kernelI19rocblas_complex_numIfELi32ELi2ELb0ELb0ELb1ELb0ES1_KS1_S1_Ev17rocblas_diagonal_iiT6_lPT7_lllS6_lllPT8_llli.numbered_sgpr, 54
	.set _ZL30rocblas_trmm_outofplace_kernelI19rocblas_complex_numIfELi32ELi2ELb0ELb0ELb1ELb0ES1_KS1_S1_Ev17rocblas_diagonal_iiT6_lPT7_lllS6_lllPT8_llli.num_named_barrier, 0
	.set _ZL30rocblas_trmm_outofplace_kernelI19rocblas_complex_numIfELi32ELi2ELb0ELb0ELb1ELb0ES1_KS1_S1_Ev17rocblas_diagonal_iiT6_lPT7_lllS6_lllPT8_llli.private_seg_size, 0
	.set _ZL30rocblas_trmm_outofplace_kernelI19rocblas_complex_numIfELi32ELi2ELb0ELb0ELb1ELb0ES1_KS1_S1_Ev17rocblas_diagonal_iiT6_lPT7_lllS6_lllPT8_llli.uses_vcc, 1
	.set _ZL30rocblas_trmm_outofplace_kernelI19rocblas_complex_numIfELi32ELi2ELb0ELb0ELb1ELb0ES1_KS1_S1_Ev17rocblas_diagonal_iiT6_lPT7_lllS6_lllPT8_llli.uses_flat_scratch, 0
	.set _ZL30rocblas_trmm_outofplace_kernelI19rocblas_complex_numIfELi32ELi2ELb0ELb0ELb1ELb0ES1_KS1_S1_Ev17rocblas_diagonal_iiT6_lPT7_lllS6_lllPT8_llli.has_dyn_sized_stack, 0
	.set _ZL30rocblas_trmm_outofplace_kernelI19rocblas_complex_numIfELi32ELi2ELb0ELb0ELb1ELb0ES1_KS1_S1_Ev17rocblas_diagonal_iiT6_lPT7_lllS6_lllPT8_llli.has_recursion, 0
	.set _ZL30rocblas_trmm_outofplace_kernelI19rocblas_complex_numIfELi32ELi2ELb0ELb0ELb1ELb0ES1_KS1_S1_Ev17rocblas_diagonal_iiT6_lPT7_lllS6_lllPT8_llli.has_indirect_call, 0
	.section	.AMDGPU.csdata,"",@progbits
; Kernel info:
; codeLenInByte = 6276
; TotalNumSgprs: 60
; NumVgprs: 92
; NumAgprs: 0
; TotalNumVgprs: 92
; ScratchSize: 0
; MemoryBound: 1
; FloatMode: 240
; IeeeMode: 1
; LDSByteSize: 16384 bytes/workgroup (compile time only)
; SGPRBlocks: 7
; VGPRBlocks: 11
; NumSGPRsForWavesPerEU: 60
; NumVGPRsForWavesPerEU: 92
; AccumOffset: 92
; Occupancy: 5
; WaveLimiterHint : 0
; COMPUTE_PGM_RSRC2:SCRATCH_EN: 0
; COMPUTE_PGM_RSRC2:USER_SGPR: 2
; COMPUTE_PGM_RSRC2:TRAP_HANDLER: 0
; COMPUTE_PGM_RSRC2:TGID_X_EN: 1
; COMPUTE_PGM_RSRC2:TGID_Y_EN: 1
; COMPUTE_PGM_RSRC2:TGID_Z_EN: 1
; COMPUTE_PGM_RSRC2:TIDIG_COMP_CNT: 1
; COMPUTE_PGM_RSRC3_GFX90A:ACCUM_OFFSET: 22
; COMPUTE_PGM_RSRC3_GFX90A:TG_SPLIT: 0
	.section	.text._ZL30rocblas_trmm_outofplace_kernelI19rocblas_complex_numIfELi32ELi2ELb0ELb1ELb1ELb0EPKS1_S2_S1_Ev17rocblas_diagonal_iiT6_lPT7_lllS7_lllPT8_llli,"axG",@progbits,_ZL30rocblas_trmm_outofplace_kernelI19rocblas_complex_numIfELi32ELi2ELb0ELb1ELb1ELb0EPKS1_S2_S1_Ev17rocblas_diagonal_iiT6_lPT7_lllS7_lllPT8_llli,comdat
	.globl	_ZL30rocblas_trmm_outofplace_kernelI19rocblas_complex_numIfELi32ELi2ELb0ELb1ELb1ELb0EPKS1_S2_S1_Ev17rocblas_diagonal_iiT6_lPT7_lllS7_lllPT8_llli ; -- Begin function _ZL30rocblas_trmm_outofplace_kernelI19rocblas_complex_numIfELi32ELi2ELb0ELb1ELb1ELb0EPKS1_S2_S1_Ev17rocblas_diagonal_iiT6_lPT7_lllS7_lllPT8_llli
	.p2align	8
	.type	_ZL30rocblas_trmm_outofplace_kernelI19rocblas_complex_numIfELi32ELi2ELb0ELb1ELb1ELb0EPKS1_S2_S1_Ev17rocblas_diagonal_iiT6_lPT7_lllS7_lllPT8_llli,@function
_ZL30rocblas_trmm_outofplace_kernelI19rocblas_complex_numIfELi32ELi2ELb0ELb1ELb1ELb0EPKS1_S2_S1_Ev17rocblas_diagonal_iiT6_lPT7_lllS7_lllPT8_llli: ; @_ZL30rocblas_trmm_outofplace_kernelI19rocblas_complex_numIfELi32ELi2ELb0ELb1ELb1ELb0EPKS1_S2_S1_Ev17rocblas_diagonal_iiT6_lPT7_lllS7_lllPT8_llli
; %bb.0:
	s_load_dwordx16 s[16:31], s[0:1], 0x10
	s_waitcnt lgkmcnt(0)
	s_mul_i32 s5, s19, s4
	s_mul_hi_u32 s6, s18, s4
	s_add_i32 s7, s6, s5
	s_mul_i32 s6, s18, s4
	s_lshl_b64 s[6:7], s[6:7], 3
	s_add_u32 s6, s16, s6
	s_addc_u32 s7, s17, s7
	s_load_dwordx2 s[34:35], s[6:7], 0x0
	s_waitcnt lgkmcnt(0)
	s_or_b32 s5, s34, s35
	s_bitset0_b32 s5, 31
	s_cmp_eq_u32 s5, 0
	s_cbranch_scc1 .LBB90_60
; %bb.1:
	s_load_dwordx4 s[44:47], s[0:1], 0x0
	s_waitcnt lgkmcnt(0)
	s_add_i32 s5, s46, -1
	s_ashr_i32 s6, s5, 31
	s_lshr_b32 s6, s6, 27
	s_add_i32 s5, s5, s6
	s_ashr_i32 s33, s5, 5
	s_cmp_gt_i32 s3, s33
	s_cbranch_scc1 .LBB90_60
; %bb.2:
	s_load_dwordx4 s[48:51], s[0:1], 0x70
	s_load_dwordx8 s[36:43], s[0:1], 0x50
	s_load_dword s64, s[0:1], 0x8c
	v_and_b32_e32 v2, 0x3ff, v0
	v_bfe_u32 v51, v0, 10, 10
	v_lshl_add_u32 v12, s2, 5, v2
	s_waitcnt lgkmcnt(0)
	s_mul_i32 s0, s51, s4
	s_mul_hi_u32 s1, s50, s4
	s_add_i32 s1, s1, s0
	s_mul_i32 s0, s50, s4
	s_lshl_b64 s[0:1], s[0:1], 3
	s_add_u32 s5, s40, s0
	s_addc_u32 s6, s41, s1
	s_lshl_b64 s[0:1], s[42:43], 3
	s_add_u32 s40, s5, s0
	s_addc_u32 s41, s6, s1
	s_cmpk_eq_i32 s44, 0x84
	s_cselect_b64 s[42:43], -1, 0
	s_ashr_i32 s47, s46, 31
	s_ashr_i32 s0, s45, 31
	s_lshl_b64 s[50:51], s[24:25], 8
	s_lshl_b64 s[52:53], s[36:37], 8
	s_add_u32 s54, s46, -16
	s_addc_u32 s55, s47, -1
	s_lshl_b32 s5, s3, 5
	s_lshl_b32 s2, s64, 5
	v_add_u32_e32 v16, s5, v2
	v_add_u32_e32 v18, s5, v51
	s_add_u32 s58, s28, 0x80
	s_mul_i32 s5, s39, s4
	s_mul_hi_u32 s6, s38, s4
	s_addc_u32 s59, s29, 0
	s_add_i32 s7, s6, s5
	s_mul_i32 s6, s38, s4
	s_lshl_b64 s[60:61], s[36:37], 3
	s_lshl_b64 s[6:7], s[6:7], 3
	;; [unrolled: 1-line block ×3, first 2 shown]
	s_add_u32 s6, s6, s8
	v_ashrrev_i32_e32 v13, 31, v12
	s_addc_u32 s7, s7, s9
	v_lshl_add_u64 v[20:21], v[12:13], 3, s[6:7]
	s_mul_i32 s5, s27, s4
	s_mul_hi_u32 s6, s26, s4
	s_add_i32 s5, s6, s5
	s_mul_i32 s4, s26, s4
	s_lshl_b64 s[4:5], s[4:5], 3
	s_lshl_b64 s[6:7], s[22:23], 3
	s_add_u32 s4, s4, s6
	v_lshlrev_b32_e32 v3, 3, v2
	v_mov_b32_e32 v1, s0
	v_sub_co_u32_e32 v0, vcc, s45, v12
	s_addc_u32 s5, s5, s7
	v_lshlrev_b32_e32 v53, 8, v51
	v_subb_co_u32_e32 v1, vcc, v1, v13, vcc
	v_or_b32_e32 v57, 0x2000, v3
	v_add_u32_e32 v14, 16, v12
	s_add_u32 s20, s20, s4
	v_mov_b32_e32 v24, 0
	v_add_u32_e32 v55, v53, v3
	v_add_u32_e32 v59, v57, v53
	v_cmp_gt_i64_e32 vcc, 1, v[0:1]
	v_cmp_gt_i64_e64 s[0:1], 17, v[0:1]
	v_cmp_gt_i32_e64 s[16:17], s45, v12
	v_cmp_gt_i32_e64 s[18:19], s45, v14
	v_ashrrev_i32_e32 v15, 31, v14
	s_mov_b32 s44, s35
	s_mov_b32 s45, s34
	s_mov_b64 s[56:57], 0x80
	s_addc_u32 s21, s21, s5
	s_lshl_b64 s[22:23], s[24:25], 3
	v_mov_b64_e32 v[22:23], 0x80
	v_mov_b32_e32 v25, v24
	v_mov_b32_e32 v26, 1.0
	v_mov_b32_e32 v27, v24
	v_add_u32_e32 v61, 0x800, v57
	v_add_u32_e32 v63, 0x1000, v57
	;; [unrolled: 1-line block ×3, first 2 shown]
	s_branch .LBB90_4
.LBB90_3:                               ;   in Loop: Header=BB90_4 Depth=1
	s_or_b64 exec, exec, s[4:5]
	s_add_i32 s3, s64, s3
	v_add_u32_e32 v16, s2, v16
	s_cmp_le_i32 s3, s33
	v_add_u32_e32 v18, s2, v18
	s_cbranch_scc0 .LBB90_60
.LBB90_4:                               ; =>This Loop Header: Depth=1
                                        ;     Child Loop BB90_7 Depth 2
	s_lshl_b32 s4, s3, 5
	v_add_u32_e32 v28, s4, v51
	s_sub_i32 s65, s46, s4
	v_ashrrev_i32_e32 v17, 31, v16
	v_ashrrev_i32_e32 v19, 31, v18
	s_cmp_lt_i32 s65, 1
	v_ashrrev_i32_e32 v29, 31, v28
	s_cbranch_scc1 .LBB90_51
; %bb.5:                                ;   in Loop: Header=BB90_4 Depth=1
	v_sub_co_u32_e64 v30, s[4:5], v18, v16
	v_mov_b64_e32 v[0:1], s[58:59]
	s_nop 0
	v_subb_co_u32_e64 v31, s[4:5], v19, v17, s[4:5]
	v_mad_u64_u32 v[32:33], s[4:5], s60, v18, v[0:1]
	v_mul_lo_u32 v0, s60, v19
	v_mul_lo_u32 v1, s61, v18
	v_add3_u32 v33, v1, v33, v0
	v_lshl_add_u64 v[0:1], v[16:17], 3, v[22:23]
	v_mov_b64_e32 v[2:3], s[20:21]
	v_mul_lo_u32 v1, s24, v1
	v_mul_lo_u32 v4, s25, v0
	v_mad_u64_u32 v[36:37], s[4:5], s24, v0, v[2:3]
	v_lshlrev_b64 v[34:35], 3, v[18:19]
	v_add3_u32 v37, v4, v37, v1
	v_mad_u64_u32 v[38:39], s[4:5], s22, v16, v[2:3]
	v_mul_lo_u32 v0, s22, v17
	v_mul_lo_u32 v1, s23, v16
	v_add3_u32 v39, v1, v39, v0
	v_lshl_add_u64 v[0:1], v[34:35], 0, s[56:57]
	v_mov_b64_e32 v[2:3], s[28:29]
	v_mul_lo_u32 v1, s36, v1
	v_mul_lo_u32 v4, s37, v0
	v_mad_u64_u32 v[40:41], s[4:5], s36, v0, v[2:3]
	v_lshl_add_u64 v[42:43], v[28:29], 0, 16
	v_add3_u32 v41, v4, v41, v1
	v_cmp_le_i32_e64 s[6:7], s46, v28
	v_cmp_le_i64_e64 s[8:9], s[46:47], v[42:43]
	v_lshl_add_u64 v[44:45], v[30:31], 0, 16
	v_lshl_add_u64 v[46:47], v[30:31], 0, -16
	v_mov_b32_e32 v50, 0
	s_mov_b64 s[26:27], 0
	v_mov_b64_e32 v[48:49], v[20:21]
	v_mov_b32_e32 v52, 0
	v_mov_b32_e32 v56, 0
	;; [unrolled: 1-line block ×7, first 2 shown]
	s_branch .LBB90_7
.LBB90_6:                               ;   in Loop: Header=BB90_7 Depth=2
	s_or_b64 exec, exec, s[4:5]
	s_waitcnt lgkmcnt(0)
	s_barrier
	ds_read2_b64 v[66:69], v57 offset1:16
	ds_read_b128 v[70:73], v53
	ds_read_b128 v[8:11], v53 offset:16
	ds_read_b128 v[4:7], v53 offset:32
	;; [unrolled: 1-line block ×3, first 2 shown]
	ds_read2_b64 v[82:85], v57 offset0:32 offset1:48
	s_waitcnt lgkmcnt(4)
	v_mul_f32_e32 v74, v71, v67
	v_fma_f32 v74, v70, v66, -v74
	v_mul_f32_e32 v75, v70, v67
	v_fmac_f32_e32 v75, v71, v66
	v_add_f32_e32 v62, v62, v74
	v_mul_f32_e32 v74, v71, v69
	v_add_f32_e32 v64, v64, v75
	v_fma_f32 v78, v70, v68, -v74
	ds_read_b128 v[74:77], v53 offset:4096
	v_mul_f32_e32 v70, v70, v69
	v_fmac_f32_e32 v70, v71, v68
	v_add_f32_e32 v58, v58, v78
	v_add_f32_e32 v60, v60, v70
	ds_read_b128 v[78:81], v53 offset:4112
	s_waitcnt lgkmcnt(1)
	v_mul_f32_e32 v70, v75, v67
	v_mul_f32_e32 v67, v74, v67
	v_fma_f32 v70, v74, v66, -v70
	v_fmac_f32_e32 v67, v75, v66
	v_mul_f32_e32 v66, v75, v69
	v_add_f32_e32 v56, v56, v67
	v_fma_f32 v66, v74, v68, -v66
	v_mul_f32_e32 v67, v74, v69
	v_fmac_f32_e32 v67, v75, v68
	v_add_f32_e32 v52, v52, v66
	v_mul_f32_e32 v66, v73, v83
	v_add_f32_e32 v50, v50, v67
	v_fma_f32 v66, v72, v82, -v66
	v_mul_f32_e32 v67, v72, v83
	v_fmac_f32_e32 v67, v73, v82
	v_add_f32_e32 v62, v62, v66
	v_mul_f32_e32 v66, v73, v85
	v_add_f32_e32 v64, v64, v67
	v_fma_f32 v66, v72, v84, -v66
	v_mul_f32_e32 v67, v72, v85
	v_fmac_f32_e32 v67, v73, v84
	v_add_f32_e32 v58, v58, v66
	v_mul_f32_e32 v66, v77, v83
	v_add_f32_e32 v54, v54, v70
	v_add_f32_e32 v60, v60, v67
	v_fma_f32 v66, v76, v82, -v66
	v_mul_f32_e32 v67, v76, v83
	v_fmac_f32_e32 v67, v77, v82
	v_add_f32_e32 v54, v54, v66
	v_mul_f32_e32 v66, v77, v85
	v_add_f32_e32 v56, v56, v67
	v_fma_f32 v70, v76, v84, -v66
	ds_read2_b64 v[66:69], v57 offset0:64 offset1:80
	v_mul_f32_e32 v71, v76, v85
	v_add_f32_e32 v52, v52, v70
	v_fmac_f32_e32 v71, v77, v84
	v_add_f32_e32 v50, v50, v71
	s_waitcnt lgkmcnt(0)
	v_mul_f32_e32 v70, v9, v67
	v_fma_f32 v70, v8, v66, -v70
	v_mul_f32_e32 v71, v8, v67
	v_add_f32_e32 v62, v62, v70
	v_mul_f32_e32 v70, v9, v69
	v_fmac_f32_e32 v71, v9, v66
	v_fma_f32 v70, v8, v68, -v70
	v_mul_f32_e32 v8, v8, v69
	v_add_f32_e32 v64, v64, v71
	v_fmac_f32_e32 v8, v9, v68
	v_add_f32_e32 v9, v58, v70
	ds_read2_b64 v[70:73], v57 offset0:96 offset1:112
	v_mul_f32_e32 v58, v79, v67
	v_fma_f32 v58, v78, v66, -v58
	v_add_f32_e32 v54, v54, v58
	v_mul_f32_e32 v58, v79, v69
	v_add_f32_e32 v8, v60, v8
	v_mul_f32_e32 v60, v78, v67
	v_fma_f32 v58, v78, v68, -v58
	v_fmac_f32_e32 v60, v79, v66
	v_add_f32_e32 v52, v52, v58
	s_waitcnt lgkmcnt(0)
	v_mul_f32_e32 v58, v11, v71
	v_add_f32_e32 v56, v56, v60
	v_mul_f32_e32 v60, v78, v69
	v_fma_f32 v58, v10, v70, -v58
	v_fmac_f32_e32 v60, v79, v68
	v_add_f32_e32 v58, v62, v58
	v_mul_f32_e32 v62, v11, v73
	v_add_f32_e32 v50, v50, v60
	v_mul_f32_e32 v60, v10, v71
	v_fma_f32 v62, v10, v72, -v62
	v_mul_f32_e32 v10, v10, v73
	v_fmac_f32_e32 v60, v11, v70
	v_fmac_f32_e32 v10, v11, v72
	v_add_f32_e32 v60, v64, v60
	v_add_f32_e32 v64, v8, v10
	v_mul_f32_e32 v8, v81, v71
	v_add_f32_e32 v62, v9, v62
	v_fma_f32 v8, v80, v70, -v8
	v_mul_f32_e32 v9, v80, v71
	v_fmac_f32_e32 v9, v81, v70
	v_add_f32_e32 v54, v54, v8
	v_mul_f32_e32 v8, v81, v73
	v_add_f32_e32 v56, v56, v9
	v_fma_f32 v66, v80, v72, -v8
	ds_read2_b64 v[8:11], v57 offset0:128 offset1:144
	v_mul_f32_e32 v67, v80, v73
	v_fmac_f32_e32 v67, v81, v72
	v_add_f32_e32 v52, v52, v66
	v_add_f32_e32 v50, v50, v67
	s_waitcnt lgkmcnt(0)
	v_mul_f32_e32 v66, v5, v9
	v_fma_f32 v66, v4, v8, -v66
	v_mul_f32_e32 v67, v4, v9
	v_fmac_f32_e32 v67, v5, v8
	v_add_f32_e32 v58, v58, v66
	v_mul_f32_e32 v66, v5, v11
	v_add_f32_e32 v60, v60, v67
	v_fma_f32 v70, v4, v10, -v66
	ds_read_b128 v[66:69], v53 offset:4128
	v_mul_f32_e32 v4, v4, v11
	ds_read2_b64 v[74:77], v57 offset0:160 offset1:176
	v_fmac_f32_e32 v4, v5, v10
	v_add_f32_e32 v5, v62, v70
	ds_read_b128 v[70:73], v53 offset:4144
	s_waitcnt lgkmcnt(2)
	v_mul_f32_e32 v62, v67, v9
	v_fma_f32 v62, v66, v8, -v62
	v_mul_f32_e32 v9, v66, v9
	v_fmac_f32_e32 v9, v67, v8
	v_add_f32_e32 v8, v54, v62
	v_mul_f32_e32 v54, v67, v11
	v_mul_f32_e32 v11, v66, v11
	v_fma_f32 v54, v66, v10, -v54
	v_fmac_f32_e32 v11, v67, v10
	v_add_f32_e32 v10, v52, v54
	v_add_f32_e32 v11, v50, v11
	s_waitcnt lgkmcnt(1)
	v_mul_f32_e32 v50, v7, v75
	v_mul_f32_e32 v54, v7, v77
	v_fma_f32 v50, v6, v74, -v50
	v_mul_f32_e32 v52, v6, v75
	v_fma_f32 v54, v6, v76, -v54
	v_mul_f32_e32 v6, v6, v77
	v_add_f32_e32 v4, v64, v4
	v_fmac_f32_e32 v6, v7, v76
	v_add_f32_e32 v9, v56, v9
	v_add_f32_e32 v56, v4, v6
	v_mul_f32_e32 v4, v69, v75
	v_add_f32_e32 v54, v5, v54
	v_fma_f32 v4, v68, v74, -v4
	v_mul_f32_e32 v5, v68, v75
	v_fmac_f32_e32 v5, v69, v74
	v_add_f32_e32 v8, v8, v4
	v_mul_f32_e32 v4, v69, v77
	v_fmac_f32_e32 v52, v7, v74
	v_add_f32_e32 v50, v58, v50
	v_add_f32_e32 v9, v9, v5
	v_fma_f32 v58, v68, v76, -v4
	ds_read2_b64 v[4:7], v57 offset0:192 offset1:208
	v_add_f32_e32 v58, v10, v58
	v_add_f32_e32 v52, v60, v52
	v_mul_f32_e32 v60, v68, v77
	v_fmac_f32_e32 v60, v69, v76
	s_waitcnt lgkmcnt(0)
	v_mul_f32_e32 v10, v1, v5
	v_fma_f32 v10, v0, v4, -v10
	v_add_f32_e32 v50, v50, v10
	v_mul_f32_e32 v10, v1, v7
	v_add_f32_e32 v60, v11, v60
	v_mul_f32_e32 v11, v0, v5
	v_fma_f32 v10, v0, v6, -v10
	v_mul_f32_e32 v0, v0, v7
	v_fmac_f32_e32 v11, v1, v4
	v_fmac_f32_e32 v0, v1, v6
	v_add_f32_e32 v1, v54, v10
	v_mul_f32_e32 v10, v71, v5
	v_fma_f32 v10, v70, v4, -v10
	v_mul_f32_e32 v5, v70, v5
	v_fmac_f32_e32 v5, v71, v4
	v_add_f32_e32 v4, v8, v10
	v_mul_f32_e32 v8, v71, v7
	v_add_f32_e32 v52, v52, v11
	v_add_f32_e32 v5, v9, v5
	v_fma_f32 v54, v70, v6, -v8
	ds_read2_b64 v[8:11], v57 offset0:224 offset1:240
	v_mul_f32_e32 v7, v70, v7
	v_fmac_f32_e32 v7, v71, v6
	v_add_f32_e32 v0, v56, v0
	v_add_f32_e32 v56, v60, v7
	s_waitcnt lgkmcnt(0)
	v_mul_f32_e32 v6, v3, v9
	v_fma_f32 v6, v2, v8, -v6
	v_add_f32_e32 v50, v50, v6
	v_mul_f32_e32 v6, v3, v11
	v_mul_f32_e32 v7, v2, v9
	v_fma_f32 v6, v2, v10, -v6
	v_mul_f32_e32 v2, v2, v11
	v_fmac_f32_e32 v2, v3, v10
	v_add_f32_e32 v60, v0, v2
	v_mul_f32_e32 v0, v73, v9
	v_add_f32_e32 v54, v58, v54
	v_add_f32_e32 v58, v1, v6
	v_fma_f32 v0, v72, v8, -v0
	v_mul_f32_e32 v1, v72, v9
	v_fmac_f32_e32 v7, v3, v8
	v_fmac_f32_e32 v1, v73, v8
	v_add_f32_e32 v62, v4, v0
	v_mul_f32_e32 v0, v73, v11
	v_add_f32_e32 v52, v52, v7
	v_add_f32_e32 v64, v5, v1
	v_fma_f32 v8, v72, v10, -v0
	ds_read_b128 v[0:3], v53 offset:64
	ds_read2_b64 v[4:7], v61 offset1:16
	v_mul_f32_e32 v9, v72, v11
	v_fmac_f32_e32 v9, v73, v10
	v_add_f32_e32 v54, v54, v8
	v_add_f32_e32 v56, v56, v9
	s_waitcnt lgkmcnt(0)
	v_mul_f32_e32 v66, v1, v5
	v_fma_f32 v66, v0, v4, -v66
	v_mul_f32_e32 v67, v0, v5
	v_fmac_f32_e32 v67, v1, v4
	v_add_f32_e32 v50, v50, v66
	v_mul_f32_e32 v66, v1, v7
	ds_read_b128 v[8:11], v53 offset:80
	v_add_f32_e32 v52, v52, v67
	v_fma_f32 v70, v0, v6, -v66
	ds_read_b128 v[66:69], v53 offset:4160
	v_mul_f32_e32 v0, v0, v7
	ds_read2_b64 v[74:77], v61 offset0:32 offset1:48
	v_fmac_f32_e32 v0, v1, v6
	v_add_f32_e32 v1, v58, v70
	s_waitcnt lgkmcnt(1)
	v_mul_f32_e32 v58, v67, v5
	v_fma_f32 v58, v66, v4, -v58
	v_mul_f32_e32 v5, v66, v5
	v_fmac_f32_e32 v5, v67, v4
	v_add_f32_e32 v4, v62, v58
	v_mul_f32_e32 v58, v67, v7
	v_fma_f32 v58, v66, v6, -v58
	v_mul_f32_e32 v7, v66, v7
	v_fmac_f32_e32 v7, v67, v6
	v_add_f32_e32 v6, v54, v58
	s_waitcnt lgkmcnt(0)
	v_mul_f32_e32 v54, v3, v75
	v_fma_f32 v54, v2, v74, -v54
	v_add_f32_e32 v50, v50, v54
	v_mul_f32_e32 v54, v3, v77
	v_add_f32_e32 v7, v56, v7
	v_mul_f32_e32 v56, v2, v75
	v_fma_f32 v54, v2, v76, -v54
	v_mul_f32_e32 v2, v2, v77
	v_add_f32_e32 v0, v60, v0
	v_fmac_f32_e32 v56, v3, v74
	v_fmac_f32_e32 v2, v3, v76
	v_add_f32_e32 v52, v52, v56
	v_add_f32_e32 v56, v0, v2
	v_mul_f32_e32 v0, v69, v75
	v_add_f32_e32 v54, v1, v54
	v_fma_f32 v0, v68, v74, -v0
	v_mul_f32_e32 v1, v68, v75
	v_add_f32_e32 v5, v64, v5
	v_fmac_f32_e32 v1, v69, v74
	v_add_f32_e32 v4, v4, v0
	v_mul_f32_e32 v0, v69, v77
	v_add_f32_e32 v5, v5, v1
	v_fma_f32 v58, v68, v76, -v0
	ds_read2_b64 v[0:3], v61 offset0:64 offset1:80
	ds_read_b128 v[70:73], v53 offset:4176
	v_mul_f32_e32 v60, v68, v77
	v_add_f32_e32 v58, v6, v58
	v_fmac_f32_e32 v60, v69, v76
	s_waitcnt lgkmcnt(1)
	v_mul_f32_e32 v6, v9, v1
	v_fma_f32 v6, v8, v0, -v6
	v_add_f32_e32 v60, v7, v60
	v_mul_f32_e32 v7, v8, v1
	v_add_f32_e32 v50, v50, v6
	v_mul_f32_e32 v6, v9, v3
	v_fmac_f32_e32 v7, v9, v0
	v_fma_f32 v6, v8, v2, -v6
	v_add_f32_e32 v52, v52, v7
	v_mul_f32_e32 v7, v8, v3
	v_add_f32_e32 v8, v54, v6
	s_waitcnt lgkmcnt(0)
	v_mul_f32_e32 v6, v71, v1
	v_fma_f32 v6, v70, v0, -v6
	v_mul_f32_e32 v1, v70, v1
	v_fmac_f32_e32 v7, v9, v2
	v_fmac_f32_e32 v1, v71, v0
	v_add_f32_e32 v0, v4, v6
	v_mul_f32_e32 v4, v71, v3
	v_add_f32_e32 v9, v56, v7
	v_add_f32_e32 v1, v5, v1
	v_fma_f32 v54, v70, v2, -v4
	ds_read2_b64 v[4:7], v61 offset0:96 offset1:112
	v_mul_f32_e32 v3, v70, v3
	v_fmac_f32_e32 v3, v71, v2
	v_add_f32_e32 v56, v60, v3
	v_add_f32_e32 v54, v58, v54
	s_waitcnt lgkmcnt(0)
	v_mul_f32_e32 v2, v11, v5
	v_fma_f32 v2, v10, v4, -v2
	v_mul_f32_e32 v3, v10, v5
	v_fmac_f32_e32 v3, v11, v4
	v_add_f32_e32 v50, v50, v2
	v_mul_f32_e32 v2, v11, v7
	v_add_f32_e32 v52, v52, v3
	v_fma_f32 v2, v10, v6, -v2
	v_mul_f32_e32 v3, v10, v7
	v_fmac_f32_e32 v3, v11, v6
	v_add_f32_e32 v58, v8, v2
	v_mul_f32_e32 v2, v73, v5
	v_add_f32_e32 v60, v9, v3
	;; [unrolled: 6-line block ×3, first 2 shown]
	v_fma_f32 v4, v72, v6, -v0
	ds_read_b128 v[0:3], v53 offset:96
	ds_read2_b64 v[8:11], v61 offset0:128 offset1:144
	v_mul_f32_e32 v5, v72, v7
	v_fmac_f32_e32 v5, v73, v6
	v_add_f32_e32 v54, v54, v4
	v_add_f32_e32 v56, v56, v5
	s_waitcnt lgkmcnt(0)
	v_mul_f32_e32 v66, v1, v9
	v_fma_f32 v66, v0, v8, -v66
	v_mul_f32_e32 v67, v0, v9
	v_fmac_f32_e32 v67, v1, v8
	v_add_f32_e32 v50, v50, v66
	v_mul_f32_e32 v66, v1, v11
	ds_read_b128 v[4:7], v53 offset:112
	v_add_f32_e32 v52, v52, v67
	v_fma_f32 v70, v0, v10, -v66
	ds_read_b128 v[66:69], v53 offset:4192
	v_mul_f32_e32 v0, v0, v11
	ds_read2_b64 v[74:77], v61 offset0:160 offset1:176
	v_fmac_f32_e32 v0, v1, v10
	v_add_f32_e32 v1, v58, v70
	s_waitcnt lgkmcnt(1)
	v_mul_f32_e32 v58, v67, v9
	v_fma_f32 v58, v66, v8, -v58
	v_mul_f32_e32 v9, v66, v9
	v_fmac_f32_e32 v9, v67, v8
	v_add_f32_e32 v8, v62, v58
	v_mul_f32_e32 v58, v67, v11
	v_fma_f32 v58, v66, v10, -v58
	v_mul_f32_e32 v11, v66, v11
	v_fmac_f32_e32 v11, v67, v10
	v_add_f32_e32 v10, v54, v58
	s_waitcnt lgkmcnt(0)
	v_mul_f32_e32 v54, v3, v75
	v_fma_f32 v54, v2, v74, -v54
	v_add_f32_e32 v50, v50, v54
	v_mul_f32_e32 v54, v3, v77
	v_add_f32_e32 v11, v56, v11
	v_mul_f32_e32 v56, v2, v75
	v_fma_f32 v54, v2, v76, -v54
	v_mul_f32_e32 v2, v2, v77
	v_add_f32_e32 v0, v60, v0
	v_fmac_f32_e32 v56, v3, v74
	v_fmac_f32_e32 v2, v3, v76
	v_add_f32_e32 v52, v52, v56
	v_add_f32_e32 v56, v0, v2
	v_mul_f32_e32 v0, v69, v75
	v_add_f32_e32 v54, v1, v54
	v_fma_f32 v0, v68, v74, -v0
	v_mul_f32_e32 v1, v68, v75
	v_add_f32_e32 v9, v64, v9
	v_fmac_f32_e32 v1, v69, v74
	v_add_f32_e32 v8, v8, v0
	v_mul_f32_e32 v0, v69, v77
	v_add_f32_e32 v9, v9, v1
	v_fma_f32 v58, v68, v76, -v0
	ds_read2_b64 v[0:3], v61 offset0:192 offset1:208
	ds_read_b128 v[70:73], v53 offset:4208
	v_add_f32_e32 v58, v10, v58
	v_mul_f32_e32 v60, v68, v77
	v_fmac_f32_e32 v60, v69, v76
	s_waitcnt lgkmcnt(1)
	v_mul_f32_e32 v10, v5, v1
	v_fma_f32 v10, v4, v0, -v10
	v_add_f32_e32 v50, v50, v10
	v_mul_f32_e32 v10, v5, v3
	v_add_f32_e32 v60, v11, v60
	v_mul_f32_e32 v11, v4, v1
	v_fma_f32 v10, v4, v2, -v10
	v_mul_f32_e32 v4, v4, v3
	v_fmac_f32_e32 v11, v5, v0
	v_fmac_f32_e32 v4, v5, v2
	v_add_f32_e32 v5, v54, v10
	s_waitcnt lgkmcnt(0)
	v_mul_f32_e32 v10, v71, v1
	v_fma_f32 v10, v70, v0, -v10
	v_mul_f32_e32 v1, v70, v1
	v_fmac_f32_e32 v1, v71, v0
	v_add_f32_e32 v0, v8, v10
	v_mul_f32_e32 v8, v71, v3
	v_add_f32_e32 v52, v52, v11
	v_add_f32_e32 v1, v9, v1
	v_fma_f32 v54, v70, v2, -v8
	ds_read2_b64 v[8:11], v61 offset0:224 offset1:240
	v_mul_f32_e32 v3, v70, v3
	v_fmac_f32_e32 v3, v71, v2
	v_add_f32_e32 v4, v56, v4
	v_add_f32_e32 v56, v60, v3
	s_waitcnt lgkmcnt(0)
	v_mul_f32_e32 v2, v7, v9
	v_fma_f32 v2, v6, v8, -v2
	v_mul_f32_e32 v3, v6, v9
	v_fmac_f32_e32 v3, v7, v8
	v_add_f32_e32 v50, v50, v2
	v_mul_f32_e32 v2, v7, v11
	v_add_f32_e32 v52, v52, v3
	v_fma_f32 v2, v6, v10, -v2
	v_mul_f32_e32 v3, v6, v11
	v_add_f32_e32 v54, v58, v54
	v_fmac_f32_e32 v3, v7, v10
	v_add_f32_e32 v58, v5, v2
	v_mul_f32_e32 v2, v73, v9
	v_add_f32_e32 v60, v4, v3
	v_fma_f32 v2, v72, v8, -v2
	v_mul_f32_e32 v3, v72, v9
	v_fmac_f32_e32 v3, v73, v8
	v_add_f32_e32 v62, v0, v2
	v_mul_f32_e32 v0, v73, v11
	v_add_f32_e32 v64, v1, v3
	v_fma_f32 v8, v72, v10, -v0
	ds_read_b128 v[0:3], v53 offset:128
	ds_read2_b64 v[4:7], v63 offset1:16
	v_mul_f32_e32 v9, v72, v11
	v_fmac_f32_e32 v9, v73, v10
	v_add_f32_e32 v54, v54, v8
	v_add_f32_e32 v56, v56, v9
	s_waitcnt lgkmcnt(0)
	v_mul_f32_e32 v66, v1, v5
	v_fma_f32 v66, v0, v4, -v66
	v_mul_f32_e32 v67, v0, v5
	v_fmac_f32_e32 v67, v1, v4
	v_add_f32_e32 v50, v50, v66
	v_mul_f32_e32 v66, v1, v7
	ds_read_b128 v[8:11], v53 offset:144
	v_add_f32_e32 v52, v52, v67
	v_fma_f32 v70, v0, v6, -v66
	ds_read_b128 v[66:69], v53 offset:4224
	v_mul_f32_e32 v0, v0, v7
	ds_read2_b64 v[74:77], v63 offset0:32 offset1:48
	v_fmac_f32_e32 v0, v1, v6
	v_add_f32_e32 v1, v58, v70
	s_waitcnt lgkmcnt(1)
	v_mul_f32_e32 v58, v67, v5
	v_fma_f32 v58, v66, v4, -v58
	v_mul_f32_e32 v5, v66, v5
	v_fmac_f32_e32 v5, v67, v4
	v_add_f32_e32 v4, v62, v58
	v_mul_f32_e32 v58, v67, v7
	v_fma_f32 v58, v66, v6, -v58
	v_mul_f32_e32 v7, v66, v7
	v_fmac_f32_e32 v7, v67, v6
	v_add_f32_e32 v6, v54, v58
	s_waitcnt lgkmcnt(0)
	v_mul_f32_e32 v54, v3, v75
	v_fma_f32 v54, v2, v74, -v54
	v_add_f32_e32 v50, v50, v54
	v_mul_f32_e32 v54, v3, v77
	v_add_f32_e32 v7, v56, v7
	v_mul_f32_e32 v56, v2, v75
	v_fma_f32 v54, v2, v76, -v54
	v_mul_f32_e32 v2, v2, v77
	v_add_f32_e32 v0, v60, v0
	v_fmac_f32_e32 v56, v3, v74
	v_fmac_f32_e32 v2, v3, v76
	v_add_f32_e32 v52, v52, v56
	v_add_f32_e32 v56, v0, v2
	v_mul_f32_e32 v0, v69, v75
	v_add_f32_e32 v54, v1, v54
	v_fma_f32 v0, v68, v74, -v0
	v_mul_f32_e32 v1, v68, v75
	v_add_f32_e32 v5, v64, v5
	v_fmac_f32_e32 v1, v69, v74
	v_add_f32_e32 v4, v4, v0
	v_mul_f32_e32 v0, v69, v77
	v_add_f32_e32 v5, v5, v1
	v_fma_f32 v58, v68, v76, -v0
	ds_read2_b64 v[0:3], v63 offset0:64 offset1:80
	ds_read_b128 v[70:73], v53 offset:4240
	v_mul_f32_e32 v60, v68, v77
	v_add_f32_e32 v58, v6, v58
	v_fmac_f32_e32 v60, v69, v76
	s_waitcnt lgkmcnt(1)
	v_mul_f32_e32 v6, v9, v1
	v_fma_f32 v6, v8, v0, -v6
	v_add_f32_e32 v60, v7, v60
	v_mul_f32_e32 v7, v8, v1
	v_add_f32_e32 v50, v50, v6
	v_mul_f32_e32 v6, v9, v3
	v_fmac_f32_e32 v7, v9, v0
	v_fma_f32 v6, v8, v2, -v6
	v_add_f32_e32 v52, v52, v7
	v_mul_f32_e32 v7, v8, v3
	v_add_f32_e32 v8, v54, v6
	s_waitcnt lgkmcnt(0)
	v_mul_f32_e32 v6, v71, v1
	v_fma_f32 v6, v70, v0, -v6
	v_mul_f32_e32 v1, v70, v1
	v_fmac_f32_e32 v7, v9, v2
	v_fmac_f32_e32 v1, v71, v0
	v_add_f32_e32 v0, v4, v6
	v_mul_f32_e32 v4, v71, v3
	v_add_f32_e32 v9, v56, v7
	v_add_f32_e32 v1, v5, v1
	v_fma_f32 v54, v70, v2, -v4
	ds_read2_b64 v[4:7], v63 offset0:96 offset1:112
	v_mul_f32_e32 v3, v70, v3
	v_fmac_f32_e32 v3, v71, v2
	v_add_f32_e32 v56, v60, v3
	v_add_f32_e32 v54, v58, v54
	s_waitcnt lgkmcnt(0)
	v_mul_f32_e32 v2, v11, v5
	v_fma_f32 v2, v10, v4, -v2
	v_mul_f32_e32 v3, v10, v5
	v_fmac_f32_e32 v3, v11, v4
	v_add_f32_e32 v50, v50, v2
	v_mul_f32_e32 v2, v11, v7
	v_add_f32_e32 v52, v52, v3
	v_fma_f32 v2, v10, v6, -v2
	v_mul_f32_e32 v3, v10, v7
	v_fmac_f32_e32 v3, v11, v6
	v_add_f32_e32 v58, v8, v2
	v_mul_f32_e32 v2, v73, v5
	v_add_f32_e32 v60, v9, v3
	v_fma_f32 v2, v72, v4, -v2
	v_mul_f32_e32 v3, v72, v5
	v_fmac_f32_e32 v3, v73, v4
	v_add_f32_e32 v62, v0, v2
	v_mul_f32_e32 v0, v73, v7
	v_add_f32_e32 v64, v1, v3
	v_fma_f32 v4, v72, v6, -v0
	ds_read_b128 v[0:3], v53 offset:160
	ds_read2_b64 v[8:11], v63 offset0:128 offset1:144
	v_mul_f32_e32 v5, v72, v7
	v_fmac_f32_e32 v5, v73, v6
	v_add_f32_e32 v54, v54, v4
	v_add_f32_e32 v56, v56, v5
	s_waitcnt lgkmcnt(0)
	v_mul_f32_e32 v66, v1, v9
	v_fma_f32 v66, v0, v8, -v66
	v_mul_f32_e32 v67, v0, v9
	v_fmac_f32_e32 v67, v1, v8
	v_add_f32_e32 v50, v50, v66
	v_mul_f32_e32 v66, v1, v11
	ds_read_b128 v[4:7], v53 offset:176
	v_add_f32_e32 v52, v52, v67
	v_fma_f32 v70, v0, v10, -v66
	ds_read_b128 v[66:69], v53 offset:4256
	v_mul_f32_e32 v0, v0, v11
	ds_read2_b64 v[74:77], v63 offset0:160 offset1:176
	v_fmac_f32_e32 v0, v1, v10
	v_add_f32_e32 v1, v58, v70
	s_waitcnt lgkmcnt(1)
	v_mul_f32_e32 v58, v67, v9
	v_fma_f32 v58, v66, v8, -v58
	v_mul_f32_e32 v9, v66, v9
	v_fmac_f32_e32 v9, v67, v8
	v_add_f32_e32 v8, v62, v58
	v_mul_f32_e32 v58, v67, v11
	v_fma_f32 v58, v66, v10, -v58
	v_mul_f32_e32 v11, v66, v11
	v_fmac_f32_e32 v11, v67, v10
	v_add_f32_e32 v10, v54, v58
	s_waitcnt lgkmcnt(0)
	v_mul_f32_e32 v54, v3, v75
	v_fma_f32 v54, v2, v74, -v54
	v_add_f32_e32 v50, v50, v54
	v_mul_f32_e32 v54, v3, v77
	v_add_f32_e32 v11, v56, v11
	v_mul_f32_e32 v56, v2, v75
	v_fma_f32 v54, v2, v76, -v54
	v_mul_f32_e32 v2, v2, v77
	v_add_f32_e32 v0, v60, v0
	v_fmac_f32_e32 v56, v3, v74
	v_fmac_f32_e32 v2, v3, v76
	v_add_f32_e32 v52, v52, v56
	v_add_f32_e32 v56, v0, v2
	v_mul_f32_e32 v0, v69, v75
	v_add_f32_e32 v54, v1, v54
	v_fma_f32 v0, v68, v74, -v0
	v_mul_f32_e32 v1, v68, v75
	v_add_f32_e32 v9, v64, v9
	v_fmac_f32_e32 v1, v69, v74
	v_add_f32_e32 v8, v8, v0
	v_mul_f32_e32 v0, v69, v77
	v_add_f32_e32 v9, v9, v1
	v_fma_f32 v58, v68, v76, -v0
	ds_read2_b64 v[0:3], v63 offset0:192 offset1:208
	ds_read_b128 v[70:73], v53 offset:4272
	v_add_f32_e32 v58, v10, v58
	v_mul_f32_e32 v60, v68, v77
	v_fmac_f32_e32 v60, v69, v76
	s_waitcnt lgkmcnt(1)
	v_mul_f32_e32 v10, v5, v1
	v_fma_f32 v10, v4, v0, -v10
	v_add_f32_e32 v50, v50, v10
	v_mul_f32_e32 v10, v5, v3
	v_add_f32_e32 v60, v11, v60
	v_mul_f32_e32 v11, v4, v1
	v_fma_f32 v10, v4, v2, -v10
	v_mul_f32_e32 v4, v4, v3
	v_fmac_f32_e32 v11, v5, v0
	v_fmac_f32_e32 v4, v5, v2
	v_add_f32_e32 v5, v54, v10
	s_waitcnt lgkmcnt(0)
	v_mul_f32_e32 v10, v71, v1
	v_fma_f32 v10, v70, v0, -v10
	v_mul_f32_e32 v1, v70, v1
	v_fmac_f32_e32 v1, v71, v0
	v_add_f32_e32 v0, v8, v10
	v_mul_f32_e32 v8, v71, v3
	v_add_f32_e32 v52, v52, v11
	v_add_f32_e32 v1, v9, v1
	v_fma_f32 v54, v70, v2, -v8
	ds_read2_b64 v[8:11], v63 offset0:224 offset1:240
	v_mul_f32_e32 v3, v70, v3
	v_fmac_f32_e32 v3, v71, v2
	v_add_f32_e32 v4, v56, v4
	v_add_f32_e32 v56, v60, v3
	s_waitcnt lgkmcnt(0)
	v_mul_f32_e32 v2, v7, v9
	v_fma_f32 v2, v6, v8, -v2
	v_mul_f32_e32 v3, v6, v9
	v_fmac_f32_e32 v3, v7, v8
	v_add_f32_e32 v50, v50, v2
	v_mul_f32_e32 v2, v7, v11
	v_add_f32_e32 v52, v52, v3
	v_fma_f32 v2, v6, v10, -v2
	v_mul_f32_e32 v3, v6, v11
	v_add_f32_e32 v54, v58, v54
	v_fmac_f32_e32 v3, v7, v10
	v_add_f32_e32 v58, v5, v2
	v_mul_f32_e32 v2, v73, v9
	v_add_f32_e32 v60, v4, v3
	v_fma_f32 v2, v72, v8, -v2
	v_mul_f32_e32 v3, v72, v9
	v_fmac_f32_e32 v3, v73, v8
	v_add_f32_e32 v62, v0, v2
	v_mul_f32_e32 v0, v73, v11
	v_add_f32_e32 v64, v1, v3
	v_fma_f32 v8, v72, v10, -v0
	ds_read_b128 v[0:3], v53 offset:192
	ds_read2_b64 v[4:7], v65 offset1:16
	v_mul_f32_e32 v9, v72, v11
	v_fmac_f32_e32 v9, v73, v10
	v_add_f32_e32 v54, v54, v8
	v_add_f32_e32 v56, v56, v9
	s_waitcnt lgkmcnt(0)
	v_mul_f32_e32 v66, v1, v5
	v_fma_f32 v66, v0, v4, -v66
	v_mul_f32_e32 v67, v0, v5
	v_fmac_f32_e32 v67, v1, v4
	v_add_f32_e32 v50, v50, v66
	v_mul_f32_e32 v66, v1, v7
	ds_read_b128 v[8:11], v53 offset:208
	v_add_f32_e32 v52, v52, v67
	v_fma_f32 v70, v0, v6, -v66
	ds_read_b128 v[66:69], v53 offset:4288
	v_mul_f32_e32 v0, v0, v7
	ds_read2_b64 v[74:77], v65 offset0:32 offset1:48
	v_fmac_f32_e32 v0, v1, v6
	v_add_f32_e32 v1, v58, v70
	s_waitcnt lgkmcnt(1)
	v_mul_f32_e32 v58, v67, v5
	v_fma_f32 v58, v66, v4, -v58
	v_mul_f32_e32 v5, v66, v5
	v_fmac_f32_e32 v5, v67, v4
	v_add_f32_e32 v4, v62, v58
	v_mul_f32_e32 v58, v67, v7
	v_fma_f32 v58, v66, v6, -v58
	v_mul_f32_e32 v7, v66, v7
	v_fmac_f32_e32 v7, v67, v6
	v_add_f32_e32 v6, v54, v58
	s_waitcnt lgkmcnt(0)
	v_mul_f32_e32 v54, v3, v75
	v_fma_f32 v54, v2, v74, -v54
	v_add_f32_e32 v50, v50, v54
	v_mul_f32_e32 v54, v3, v77
	v_add_f32_e32 v7, v56, v7
	v_mul_f32_e32 v56, v2, v75
	v_fma_f32 v54, v2, v76, -v54
	v_mul_f32_e32 v2, v2, v77
	v_add_f32_e32 v0, v60, v0
	v_fmac_f32_e32 v56, v3, v74
	v_fmac_f32_e32 v2, v3, v76
	v_add_f32_e32 v52, v52, v56
	v_add_f32_e32 v56, v0, v2
	v_mul_f32_e32 v0, v69, v75
	v_add_f32_e32 v54, v1, v54
	v_fma_f32 v0, v68, v74, -v0
	v_mul_f32_e32 v1, v68, v75
	v_add_f32_e32 v5, v64, v5
	v_fmac_f32_e32 v1, v69, v74
	v_add_f32_e32 v4, v4, v0
	v_mul_f32_e32 v0, v69, v77
	v_add_f32_e32 v5, v5, v1
	v_fma_f32 v58, v68, v76, -v0
	ds_read2_b64 v[0:3], v65 offset0:64 offset1:80
	ds_read_b128 v[70:73], v53 offset:4304
	v_mul_f32_e32 v60, v68, v77
	v_add_f32_e32 v58, v6, v58
	v_fmac_f32_e32 v60, v69, v76
	s_waitcnt lgkmcnt(1)
	v_mul_f32_e32 v6, v9, v1
	v_fma_f32 v6, v8, v0, -v6
	v_add_f32_e32 v60, v7, v60
	v_mul_f32_e32 v7, v8, v1
	v_add_f32_e32 v50, v50, v6
	v_mul_f32_e32 v6, v9, v3
	v_fmac_f32_e32 v7, v9, v0
	v_fma_f32 v6, v8, v2, -v6
	v_add_f32_e32 v52, v52, v7
	v_mul_f32_e32 v7, v8, v3
	v_add_f32_e32 v8, v54, v6
	s_waitcnt lgkmcnt(0)
	v_mul_f32_e32 v6, v71, v1
	v_fma_f32 v6, v70, v0, -v6
	v_mul_f32_e32 v1, v70, v1
	v_fmac_f32_e32 v7, v9, v2
	v_fmac_f32_e32 v1, v71, v0
	v_add_f32_e32 v0, v4, v6
	v_mul_f32_e32 v4, v71, v3
	v_add_f32_e32 v9, v56, v7
	v_add_f32_e32 v1, v5, v1
	v_fma_f32 v54, v70, v2, -v4
	ds_read2_b64 v[4:7], v65 offset0:96 offset1:112
	v_mul_f32_e32 v3, v70, v3
	v_fmac_f32_e32 v3, v71, v2
	v_add_f32_e32 v56, v60, v3
	v_add_f32_e32 v54, v58, v54
	s_waitcnt lgkmcnt(0)
	v_mul_f32_e32 v2, v11, v5
	v_fma_f32 v2, v10, v4, -v2
	v_mul_f32_e32 v3, v10, v5
	v_fmac_f32_e32 v3, v11, v4
	v_add_f32_e32 v50, v50, v2
	v_mul_f32_e32 v2, v11, v7
	v_add_f32_e32 v52, v52, v3
	v_fma_f32 v2, v10, v6, -v2
	v_mul_f32_e32 v3, v10, v7
	v_fmac_f32_e32 v3, v11, v6
	v_add_f32_e32 v58, v8, v2
	v_mul_f32_e32 v2, v73, v5
	v_add_f32_e32 v60, v9, v3
	v_fma_f32 v2, v72, v4, -v2
	v_mul_f32_e32 v3, v72, v5
	v_fmac_f32_e32 v3, v73, v4
	v_add_f32_e32 v62, v0, v2
	v_mul_f32_e32 v0, v73, v7
	v_add_f32_e32 v64, v1, v3
	v_fma_f32 v4, v72, v6, -v0
	ds_read_b128 v[0:3], v53 offset:224
	ds_read2_b64 v[8:11], v65 offset0:128 offset1:144
	v_mul_f32_e32 v5, v72, v7
	v_fmac_f32_e32 v5, v73, v6
	v_add_f32_e32 v54, v54, v4
	v_add_f32_e32 v56, v56, v5
	s_waitcnt lgkmcnt(0)
	v_mul_f32_e32 v66, v1, v9
	v_fma_f32 v66, v0, v8, -v66
	v_mul_f32_e32 v67, v0, v9
	v_fmac_f32_e32 v67, v1, v8
	v_add_f32_e32 v50, v50, v66
	v_mul_f32_e32 v66, v1, v11
	ds_read_b128 v[4:7], v53 offset:240
	v_add_f32_e32 v52, v52, v67
	v_fma_f32 v70, v0, v10, -v66
	ds_read_b128 v[66:69], v53 offset:4320
	v_mul_f32_e32 v0, v0, v11
	ds_read2_b64 v[74:77], v65 offset0:160 offset1:176
	v_fmac_f32_e32 v0, v1, v10
	v_add_f32_e32 v1, v58, v70
	s_waitcnt lgkmcnt(1)
	v_mul_f32_e32 v58, v67, v9
	v_fma_f32 v58, v66, v8, -v58
	v_mul_f32_e32 v9, v66, v9
	v_fmac_f32_e32 v9, v67, v8
	v_add_f32_e32 v8, v62, v58
	v_mul_f32_e32 v58, v67, v11
	v_fma_f32 v58, v66, v10, -v58
	v_mul_f32_e32 v11, v66, v11
	v_fmac_f32_e32 v11, v67, v10
	v_add_f32_e32 v10, v54, v58
	s_waitcnt lgkmcnt(0)
	v_mul_f32_e32 v54, v3, v75
	v_fma_f32 v54, v2, v74, -v54
	v_add_f32_e32 v50, v50, v54
	v_mul_f32_e32 v54, v3, v77
	v_add_f32_e32 v11, v56, v11
	v_mul_f32_e32 v56, v2, v75
	v_fma_f32 v54, v2, v76, -v54
	v_mul_f32_e32 v2, v2, v77
	v_add_f32_e32 v0, v60, v0
	v_fmac_f32_e32 v56, v3, v74
	v_fmac_f32_e32 v2, v3, v76
	v_add_f32_e32 v52, v52, v56
	v_add_f32_e32 v56, v0, v2
	v_mul_f32_e32 v0, v69, v75
	v_add_f32_e32 v54, v1, v54
	v_fma_f32 v0, v68, v74, -v0
	v_mul_f32_e32 v1, v68, v75
	v_add_f32_e32 v9, v64, v9
	v_fmac_f32_e32 v1, v69, v74
	v_add_f32_e32 v8, v8, v0
	v_mul_f32_e32 v0, v69, v77
	v_add_f32_e32 v9, v9, v1
	v_fma_f32 v58, v68, v76, -v0
	ds_read2_b64 v[0:3], v65 offset0:192 offset1:208
	ds_read_b128 v[70:73], v53 offset:4336
	v_add_f32_e32 v58, v10, v58
	v_mul_f32_e32 v60, v68, v77
	v_fmac_f32_e32 v60, v69, v76
	s_waitcnt lgkmcnt(1)
	v_mul_f32_e32 v10, v5, v1
	v_fma_f32 v10, v4, v0, -v10
	v_add_f32_e32 v50, v50, v10
	v_mul_f32_e32 v10, v5, v3
	v_add_f32_e32 v60, v11, v60
	v_mul_f32_e32 v11, v4, v1
	v_fma_f32 v10, v4, v2, -v10
	v_mul_f32_e32 v4, v4, v3
	v_fmac_f32_e32 v11, v5, v0
	v_fmac_f32_e32 v4, v5, v2
	v_add_f32_e32 v5, v54, v10
	s_waitcnt lgkmcnt(0)
	v_mul_f32_e32 v10, v71, v1
	v_fma_f32 v10, v70, v0, -v10
	v_mul_f32_e32 v1, v70, v1
	v_fmac_f32_e32 v1, v71, v0
	v_add_f32_e32 v0, v8, v10
	v_mul_f32_e32 v8, v71, v3
	v_add_f32_e32 v52, v52, v11
	v_add_f32_e32 v1, v9, v1
	v_fma_f32 v54, v70, v2, -v8
	ds_read2_b64 v[8:11], v65 offset0:224 offset1:240
	v_mul_f32_e32 v3, v70, v3
	v_fmac_f32_e32 v3, v71, v2
	v_add_f32_e32 v2, v58, v54
	v_add_f32_e32 v4, v56, v4
	s_waitcnt lgkmcnt(0)
	v_mul_f32_e32 v54, v7, v9
	v_fma_f32 v54, v6, v8, -v54
	v_add_f32_e32 v62, v50, v54
	v_mul_f32_e32 v50, v7, v11
	v_mul_f32_e32 v56, v6, v9
	v_fma_f32 v50, v6, v10, -v50
	v_mul_f32_e32 v6, v6, v11
	v_fmac_f32_e32 v6, v7, v10
	v_add_f32_e32 v3, v60, v3
	v_add_f32_e32 v58, v5, v50
	;; [unrolled: 1-line block ×3, first 2 shown]
	v_mul_f32_e32 v4, v73, v9
	v_mul_f32_e32 v5, v72, v9
	v_fmac_f32_e32 v56, v7, v8
	v_fma_f32 v4, v72, v8, -v4
	v_fmac_f32_e32 v5, v73, v8
	v_add_f32_e32 v64, v52, v56
	v_add_f32_e32 v54, v0, v4
	;; [unrolled: 1-line block ×3, first 2 shown]
	v_mul_f32_e32 v0, v73, v11
	v_mul_f32_e32 v1, v72, v11
	s_add_u32 s26, s26, 32
	v_fma_f32 v0, v72, v10, -v0
	v_fmac_f32_e32 v1, v73, v10
	s_addc_u32 s27, s27, 0
	v_add_f32_e32 v52, v2, v0
	v_add_f32_e32 v50, v3, v1
	v_lshl_add_u64 v[48:49], v[48:49], 0, s[52:53]
	v_lshl_add_u64 v[36:37], v[36:37], 0, s[50:51]
	s_cmp_ge_i32 s26, s65
	v_lshl_add_u64 v[38:39], v[38:39], 0, s[50:51]
	s_barrier
	s_cbranch_scc1 .LBB90_52
.LBB90_7:                               ;   Parent Loop BB90_4 Depth=1
                                        ; =>  This Inner Loop Header: Depth=2
	v_lshl_add_u64 v[2:3], v[16:17], 0, s[26:27]
	v_cmp_eq_u64_e64 s[4:5], s[26:27], v[30:31]
	v_cmp_lt_i64_e64 s[10:11], v[2:3], v[28:29]
	s_and_b64 s[38:39], s[42:43], s[4:5]
	v_cmp_le_i64_e64 s[12:13], s[46:47], v[2:3]
	s_or_b64 s[4:5], s[6:7], s[10:11]
	s_or_b64 s[4:5], s[12:13], s[4:5]
	v_lshl_add_u64 v[0:1], v[38:39], 0, v[34:35]
	s_nor_b64 s[4:5], s[4:5], s[38:39]
	s_and_saveexec_b64 s[14:15], s[4:5]
	s_xor_b64 s[4:5], exec, s[14:15]
	s_cbranch_execz .LBB90_9
; %bb.8:                                ;   in Loop: Header=BB90_7 Depth=2
	global_load_dwordx2 v[4:5], v[0:1], off
	s_waitcnt vmcnt(0)
	ds_write_b64 v55, v[4:5]
.LBB90_9:                               ;   in Loop: Header=BB90_7 Depth=2
	s_or_saveexec_b64 s[4:5], s[4:5]
	s_xor_b64 s[30:31], s[38:39], -1
	s_xor_b64 exec, exec, s[4:5]
	s_cbranch_execz .LBB90_15
; %bb.10:                               ;   in Loop: Header=BB90_7 Depth=2
	s_and_saveexec_b64 s[14:15], s[30:31]
	s_xor_b64 s[14:15], exec, s[14:15]
; %bb.11:                               ;   in Loop: Header=BB90_7 Depth=2
	ds_write_b64 v55, v[24:25]
; %bb.12:                               ;   in Loop: Header=BB90_7 Depth=2
	s_andn2_saveexec_b64 s[14:15], s[14:15]
; %bb.13:                               ;   in Loop: Header=BB90_7 Depth=2
	ds_write_b64 v55, v[26:27]
; %bb.14:                               ;   in Loop: Header=BB90_7 Depth=2
	s_or_b64 exec, exec, s[14:15]
.LBB90_15:                              ;   in Loop: Header=BB90_7 Depth=2
	s_or_b64 exec, exec, s[4:5]
	v_lshl_add_u64 v[4:5], v[2:3], 0, 16
	v_cmp_eq_u64_e64 s[4:5], s[26:27], v[46:47]
	s_and_b64 s[62:63], s[42:43], s[4:5]
	v_cmp_lt_i64_e64 s[4:5], v[4:5], v[28:29]
	v_cmp_le_i64_e64 s[14:15], s[46:47], v[4:5]
	s_or_b64 s[4:5], s[6:7], s[4:5]
	s_or_b64 s[4:5], s[14:15], s[4:5]
	s_nor_b64 s[4:5], s[4:5], s[62:63]
	v_lshl_add_u64 v[4:5], v[36:37], 0, v[34:35]
	s_and_saveexec_b64 s[66:67], s[4:5]
	s_xor_b64 s[4:5], exec, s[66:67]
	s_cbranch_execz .LBB90_17
; %bb.16:                               ;   in Loop: Header=BB90_7 Depth=2
	global_load_dwordx2 v[6:7], v[4:5], off
	s_waitcnt vmcnt(0)
	ds_write_b64 v55, v[6:7] offset:128
.LBB90_17:                              ;   in Loop: Header=BB90_7 Depth=2
	s_andn2_saveexec_b64 s[4:5], s[4:5]
	s_cbranch_execz .LBB90_23
; %bb.18:                               ;   in Loop: Header=BB90_7 Depth=2
	s_xor_b64 s[62:63], s[62:63], -1
	s_and_saveexec_b64 s[66:67], s[62:63]
	s_xor_b64 s[62:63], exec, s[66:67]
; %bb.19:                               ;   in Loop: Header=BB90_7 Depth=2
	ds_write_b64 v55, v[24:25] offset:128
; %bb.20:                               ;   in Loop: Header=BB90_7 Depth=2
	s_andn2_saveexec_b64 s[62:63], s[62:63]
; %bb.21:                               ;   in Loop: Header=BB90_7 Depth=2
	ds_write_b64 v55, v[26:27] offset:128
; %bb.22:                               ;   in Loop: Header=BB90_7 Depth=2
	s_or_b64 exec, exec, s[62:63]
.LBB90_23:                              ;   in Loop: Header=BB90_7 Depth=2
	s_or_b64 exec, exec, s[4:5]
	v_cmp_eq_u64_e64 s[4:5], s[26:27], v[44:45]
	s_and_b64 s[62:63], s[42:43], s[4:5]
	v_cmp_lt_i64_e64 s[4:5], v[2:3], v[42:43]
	s_or_b64 s[4:5], s[8:9], s[4:5]
	s_or_b64 s[4:5], s[4:5], s[62:63]
	s_nor_b64 s[4:5], s[12:13], s[4:5]
	s_and_saveexec_b64 s[12:13], s[4:5]
	s_xor_b64 s[4:5], exec, s[12:13]
	s_cbranch_execz .LBB90_25
; %bb.24:                               ;   in Loop: Header=BB90_7 Depth=2
	global_load_dwordx2 v[0:1], v[0:1], off offset:128
	s_waitcnt vmcnt(0)
	ds_write_b64 v55, v[0:1] offset:4096
.LBB90_25:                              ;   in Loop: Header=BB90_7 Depth=2
	s_andn2_saveexec_b64 s[4:5], s[4:5]
	s_cbranch_execz .LBB90_31
; %bb.26:                               ;   in Loop: Header=BB90_7 Depth=2
	s_xor_b64 s[12:13], s[62:63], -1
	s_and_saveexec_b64 s[62:63], s[12:13]
	s_xor_b64 s[12:13], exec, s[62:63]
; %bb.27:                               ;   in Loop: Header=BB90_7 Depth=2
	ds_write_b64 v55, v[24:25] offset:4096
; %bb.28:                               ;   in Loop: Header=BB90_7 Depth=2
	s_andn2_saveexec_b64 s[12:13], s[12:13]
; %bb.29:                               ;   in Loop: Header=BB90_7 Depth=2
	ds_write_b64 v55, v[26:27] offset:4096
; %bb.30:                               ;   in Loop: Header=BB90_7 Depth=2
	s_or_b64 exec, exec, s[12:13]
.LBB90_31:                              ;   in Loop: Header=BB90_7 Depth=2
	s_or_b64 exec, exec, s[4:5]
	s_or_b64 s[4:5], s[8:9], s[10:11]
	s_or_b64 s[4:5], s[14:15], s[4:5]
	s_nor_b64 s[4:5], s[4:5], s[38:39]
	s_and_saveexec_b64 s[10:11], s[4:5]
	s_xor_b64 s[4:5], exec, s[10:11]
	s_cbranch_execz .LBB90_33
; %bb.32:                               ;   in Loop: Header=BB90_7 Depth=2
	global_load_dwordx2 v[0:1], v[4:5], off offset:128
	s_waitcnt vmcnt(0)
	ds_write_b64 v55, v[0:1] offset:4224
.LBB90_33:                              ;   in Loop: Header=BB90_7 Depth=2
	s_andn2_saveexec_b64 s[4:5], s[4:5]
	s_cbranch_execz .LBB90_39
; %bb.34:                               ;   in Loop: Header=BB90_7 Depth=2
	s_and_saveexec_b64 s[10:11], s[30:31]
	s_xor_b64 s[10:11], exec, s[10:11]
; %bb.35:                               ;   in Loop: Header=BB90_7 Depth=2
	ds_write_b64 v55, v[24:25] offset:4224
; %bb.36:                               ;   in Loop: Header=BB90_7 Depth=2
	s_andn2_saveexec_b64 s[10:11], s[10:11]
; %bb.37:                               ;   in Loop: Header=BB90_7 Depth=2
	ds_write_b64 v55, v[26:27] offset:4224
; %bb.38:                               ;   in Loop: Header=BB90_7 Depth=2
	s_or_b64 exec, exec, s[10:11]
.LBB90_39:                              ;   in Loop: Header=BB90_7 Depth=2
	s_or_b64 exec, exec, s[4:5]
	v_lshl_add_u64 v[0:1], v[18:19], 0, s[26:27]
	v_cmp_le_i64_e64 s[10:11], s[46:47], v[0:1]
	v_lshl_add_u64 v[2:3], v[32:33], 0, v[48:49]
	s_nor_b64 s[12:13], s[10:11], vcc
	v_mov_b64_e32 v[4:5], 0
	s_and_saveexec_b64 s[4:5], s[12:13]
	s_cbranch_execz .LBB90_41
; %bb.40:                               ;   in Loop: Header=BB90_7 Depth=2
	global_load_dwordx2 v[4:5], v[2:3], off offset:-128
.LBB90_41:                              ;   in Loop: Header=BB90_7 Depth=2
	s_or_b64 exec, exec, s[4:5]
	s_nor_b64 s[4:5], s[10:11], s[0:1]
	s_waitcnt vmcnt(0)
	ds_write_b64 v59, v[4:5]
	s_and_saveexec_b64 s[10:11], s[4:5]
	s_xor_b64 s[4:5], exec, s[10:11]
	s_cbranch_execz .LBB90_43
; %bb.42:                               ;   in Loop: Header=BB90_7 Depth=2
	global_load_dwordx2 v[2:3], v[2:3], off
	s_waitcnt vmcnt(0)
	ds_write_b64 v59, v[2:3] offset:128
.LBB90_43:                              ;   in Loop: Header=BB90_7 Depth=2
	s_andn2_saveexec_b64 s[4:5], s[4:5]
; %bb.44:                               ;   in Loop: Header=BB90_7 Depth=2
	ds_write_b64 v59, v[24:25] offset:128
; %bb.45:                               ;   in Loop: Header=BB90_7 Depth=2
	s_or_b64 exec, exec, s[4:5]
	v_cmp_le_i64_e64 s[10:11], s[54:55], v[0:1]
	v_lshl_add_u64 v[0:1], v[40:41], 0, v[48:49]
	s_nor_b64 s[12:13], s[10:11], vcc
	v_mov_b64_e32 v[2:3], 0
	s_and_saveexec_b64 s[4:5], s[12:13]
	s_cbranch_execz .LBB90_47
; %bb.46:                               ;   in Loop: Header=BB90_7 Depth=2
	global_load_dwordx2 v[2:3], v[0:1], off
.LBB90_47:                              ;   in Loop: Header=BB90_7 Depth=2
	s_or_b64 exec, exec, s[4:5]
	s_nor_b64 s[4:5], s[10:11], s[0:1]
	s_waitcnt vmcnt(0)
	ds_write_b64 v59, v[2:3] offset:4096
	s_and_saveexec_b64 s[10:11], s[4:5]
	s_xor_b64 s[4:5], exec, s[10:11]
	s_cbranch_execz .LBB90_49
; %bb.48:                               ;   in Loop: Header=BB90_7 Depth=2
	global_load_dwordx2 v[0:1], v[0:1], off offset:128
	s_waitcnt vmcnt(0)
	ds_write_b64 v59, v[0:1] offset:4224
.LBB90_49:                              ;   in Loop: Header=BB90_7 Depth=2
	s_andn2_saveexec_b64 s[4:5], s[4:5]
	s_cbranch_execz .LBB90_6
; %bb.50:                               ;   in Loop: Header=BB90_7 Depth=2
	ds_write_b64 v59, v[24:25] offset:4224
	s_branch .LBB90_6
.LBB90_51:                              ;   in Loop: Header=BB90_4 Depth=1
	v_mov_b32_e32 v62, 0
	v_mov_b32_e32 v64, 0
	;; [unrolled: 1-line block ×8, first 2 shown]
.LBB90_52:                              ;   in Loop: Header=BB90_4 Depth=1
	v_mul_lo_u32 v2, s49, v28
	v_mul_lo_u32 v3, s48, v29
	v_mad_u64_u32 v[0:1], s[4:5], s48, v28, 0
	v_cmp_gt_i32_e64 s[6:7], s46, v28
	v_add3_u32 v1, v1, v3, v2
	v_lshl_add_u64 v[0:1], v[0:1], 3, s[40:41]
	s_and_b64 s[8:9], s[16:17], s[6:7]
	s_and_saveexec_b64 s[4:5], s[8:9]
	s_cbranch_execz .LBB90_54
; %bb.53:                               ;   in Loop: Header=BB90_4 Depth=1
	v_lshl_add_u64 v[2:3], v[12:13], 3, v[0:1]
	global_load_dwordx2 v[4:5], v[2:3], off
	v_pk_mul_f32 v[6:7], v[64:65], s[44:45] op_sel_hi:[0,1]
	v_pk_fma_f32 v[8:9], v[62:63], s[34:35], v[6:7] neg_lo:[0,0,1] neg_hi:[0,0,1]
	v_pk_fma_f32 v[6:7], v[62:63], s[34:35], v[6:7] op_sel_hi:[0,1,1]
	v_mov_b32_e32 v9, v7
	s_waitcnt vmcnt(0)
	v_pk_add_f32 v[4:5], v[4:5], v[8:9]
	global_store_dwordx2 v[2:3], v[4:5], off
.LBB90_54:                              ;   in Loop: Header=BB90_4 Depth=1
	s_or_b64 exec, exec, s[4:5]
	s_and_b64 s[6:7], s[18:19], s[6:7]
	s_and_saveexec_b64 s[4:5], s[6:7]
	s_cbranch_execz .LBB90_56
; %bb.55:                               ;   in Loop: Header=BB90_4 Depth=1
	v_lshl_add_u64 v[0:1], v[14:15], 3, v[0:1]
	global_load_dwordx2 v[2:3], v[0:1], off
	v_pk_mul_f32 v[4:5], v[60:61], s[44:45] op_sel_hi:[0,1]
	v_pk_fma_f32 v[6:7], v[58:59], s[34:35], v[4:5] neg_lo:[0,0,1] neg_hi:[0,0,1]
	v_pk_fma_f32 v[4:5], v[58:59], s[34:35], v[4:5] op_sel_hi:[0,1,1]
	v_mov_b32_e32 v7, v5
	s_waitcnt vmcnt(0)
	v_pk_add_f32 v[2:3], v[2:3], v[6:7]
	global_store_dwordx2 v[0:1], v[2:3], off
.LBB90_56:                              ;   in Loop: Header=BB90_4 Depth=1
	s_or_b64 exec, exec, s[4:5]
	v_add_u32_e32 v0, 16, v28
	v_ashrrev_i32_e32 v1, 31, v0
	v_cmp_gt_i32_e64 s[6:7], s46, v0
	v_mul_lo_u32 v2, s48, v1
	v_mul_lo_u32 v3, s49, v0
	v_mad_u64_u32 v[0:1], s[4:5], s48, v0, 0
	v_add3_u32 v1, v1, v2, v3
	v_lshl_add_u64 v[0:1], v[0:1], 3, s[40:41]
	s_and_b64 s[8:9], s[16:17], s[6:7]
	s_and_saveexec_b64 s[4:5], s[8:9]
	s_cbranch_execz .LBB90_58
; %bb.57:                               ;   in Loop: Header=BB90_4 Depth=1
	v_lshl_add_u64 v[2:3], v[12:13], 3, v[0:1]
	global_load_dwordx2 v[4:5], v[2:3], off
	v_pk_mul_f32 v[6:7], v[56:57], s[44:45] op_sel_hi:[0,1]
	v_pk_fma_f32 v[8:9], v[54:55], s[34:35], v[6:7] neg_lo:[0,0,1] neg_hi:[0,0,1]
	v_pk_fma_f32 v[6:7], v[54:55], s[34:35], v[6:7] op_sel_hi:[0,1,1]
	v_mov_b32_e32 v9, v7
	s_waitcnt vmcnt(0)
	v_pk_add_f32 v[4:5], v[4:5], v[8:9]
	global_store_dwordx2 v[2:3], v[4:5], off
.LBB90_58:                              ;   in Loop: Header=BB90_4 Depth=1
	s_or_b64 exec, exec, s[4:5]
	s_and_b64 s[6:7], s[18:19], s[6:7]
	s_and_saveexec_b64 s[4:5], s[6:7]
	s_cbranch_execz .LBB90_3
; %bb.59:                               ;   in Loop: Header=BB90_4 Depth=1
	v_lshl_add_u64 v[0:1], v[14:15], 3, v[0:1]
	global_load_dwordx2 v[2:3], v[0:1], off
	v_pk_mul_f32 v[4:5], v[50:51], s[44:45] op_sel_hi:[0,1]
	v_pk_fma_f32 v[6:7], v[52:53], s[34:35], v[4:5] neg_lo:[0,0,1] neg_hi:[0,0,1]
	v_pk_fma_f32 v[4:5], v[52:53], s[34:35], v[4:5] op_sel_hi:[0,1,1]
	v_mov_b32_e32 v7, v5
	s_waitcnt vmcnt(0)
	v_pk_add_f32 v[2:3], v[2:3], v[6:7]
	global_store_dwordx2 v[0:1], v[2:3], off
	s_branch .LBB90_3
.LBB90_60:
	s_endpgm
	.section	.rodata,"a",@progbits
	.p2align	6, 0x0
	.amdhsa_kernel _ZL30rocblas_trmm_outofplace_kernelI19rocblas_complex_numIfELi32ELi2ELb0ELb1ELb1ELb0EPKS1_S2_S1_Ev17rocblas_diagonal_iiT6_lPT7_lllS7_lllPT8_llli
		.amdhsa_group_segment_fixed_size 16384
		.amdhsa_private_segment_fixed_size 0
		.amdhsa_kernarg_size 392
		.amdhsa_user_sgpr_count 2
		.amdhsa_user_sgpr_dispatch_ptr 0
		.amdhsa_user_sgpr_queue_ptr 0
		.amdhsa_user_sgpr_kernarg_segment_ptr 1
		.amdhsa_user_sgpr_dispatch_id 0
		.amdhsa_user_sgpr_kernarg_preload_length 0
		.amdhsa_user_sgpr_kernarg_preload_offset 0
		.amdhsa_user_sgpr_private_segment_size 0
		.amdhsa_uses_dynamic_stack 0
		.amdhsa_enable_private_segment 0
		.amdhsa_system_sgpr_workgroup_id_x 1
		.amdhsa_system_sgpr_workgroup_id_y 1
		.amdhsa_system_sgpr_workgroup_id_z 1
		.amdhsa_system_sgpr_workgroup_info 0
		.amdhsa_system_vgpr_workitem_id 1
		.amdhsa_next_free_vgpr 86
		.amdhsa_next_free_sgpr 68
		.amdhsa_accum_offset 88
		.amdhsa_reserve_vcc 1
		.amdhsa_float_round_mode_32 0
		.amdhsa_float_round_mode_16_64 0
		.amdhsa_float_denorm_mode_32 3
		.amdhsa_float_denorm_mode_16_64 3
		.amdhsa_dx10_clamp 1
		.amdhsa_ieee_mode 1
		.amdhsa_fp16_overflow 0
		.amdhsa_tg_split 0
		.amdhsa_exception_fp_ieee_invalid_op 0
		.amdhsa_exception_fp_denorm_src 0
		.amdhsa_exception_fp_ieee_div_zero 0
		.amdhsa_exception_fp_ieee_overflow 0
		.amdhsa_exception_fp_ieee_underflow 0
		.amdhsa_exception_fp_ieee_inexact 0
		.amdhsa_exception_int_div_zero 0
	.end_amdhsa_kernel
	.section	.text._ZL30rocblas_trmm_outofplace_kernelI19rocblas_complex_numIfELi32ELi2ELb0ELb1ELb1ELb0EPKS1_S2_S1_Ev17rocblas_diagonal_iiT6_lPT7_lllS7_lllPT8_llli,"axG",@progbits,_ZL30rocblas_trmm_outofplace_kernelI19rocblas_complex_numIfELi32ELi2ELb0ELb1ELb1ELb0EPKS1_S2_S1_Ev17rocblas_diagonal_iiT6_lPT7_lllS7_lllPT8_llli,comdat
.Lfunc_end90:
	.size	_ZL30rocblas_trmm_outofplace_kernelI19rocblas_complex_numIfELi32ELi2ELb0ELb1ELb1ELb0EPKS1_S2_S1_Ev17rocblas_diagonal_iiT6_lPT7_lllS7_lllPT8_llli, .Lfunc_end90-_ZL30rocblas_trmm_outofplace_kernelI19rocblas_complex_numIfELi32ELi2ELb0ELb1ELb1ELb0EPKS1_S2_S1_Ev17rocblas_diagonal_iiT6_lPT7_lllS7_lllPT8_llli
                                        ; -- End function
	.set _ZL30rocblas_trmm_outofplace_kernelI19rocblas_complex_numIfELi32ELi2ELb0ELb1ELb1ELb0EPKS1_S2_S1_Ev17rocblas_diagonal_iiT6_lPT7_lllS7_lllPT8_llli.num_vgpr, 86
	.set _ZL30rocblas_trmm_outofplace_kernelI19rocblas_complex_numIfELi32ELi2ELb0ELb1ELb1ELb0EPKS1_S2_S1_Ev17rocblas_diagonal_iiT6_lPT7_lllS7_lllPT8_llli.num_agpr, 0
	.set _ZL30rocblas_trmm_outofplace_kernelI19rocblas_complex_numIfELi32ELi2ELb0ELb1ELb1ELb0EPKS1_S2_S1_Ev17rocblas_diagonal_iiT6_lPT7_lllS7_lllPT8_llli.numbered_sgpr, 68
	.set _ZL30rocblas_trmm_outofplace_kernelI19rocblas_complex_numIfELi32ELi2ELb0ELb1ELb1ELb0EPKS1_S2_S1_Ev17rocblas_diagonal_iiT6_lPT7_lllS7_lllPT8_llli.num_named_barrier, 0
	.set _ZL30rocblas_trmm_outofplace_kernelI19rocblas_complex_numIfELi32ELi2ELb0ELb1ELb1ELb0EPKS1_S2_S1_Ev17rocblas_diagonal_iiT6_lPT7_lllS7_lllPT8_llli.private_seg_size, 0
	.set _ZL30rocblas_trmm_outofplace_kernelI19rocblas_complex_numIfELi32ELi2ELb0ELb1ELb1ELb0EPKS1_S2_S1_Ev17rocblas_diagonal_iiT6_lPT7_lllS7_lllPT8_llli.uses_vcc, 1
	.set _ZL30rocblas_trmm_outofplace_kernelI19rocblas_complex_numIfELi32ELi2ELb0ELb1ELb1ELb0EPKS1_S2_S1_Ev17rocblas_diagonal_iiT6_lPT7_lllS7_lllPT8_llli.uses_flat_scratch, 0
	.set _ZL30rocblas_trmm_outofplace_kernelI19rocblas_complex_numIfELi32ELi2ELb0ELb1ELb1ELb0EPKS1_S2_S1_Ev17rocblas_diagonal_iiT6_lPT7_lllS7_lllPT8_llli.has_dyn_sized_stack, 0
	.set _ZL30rocblas_trmm_outofplace_kernelI19rocblas_complex_numIfELi32ELi2ELb0ELb1ELb1ELb0EPKS1_S2_S1_Ev17rocblas_diagonal_iiT6_lPT7_lllS7_lllPT8_llli.has_recursion, 0
	.set _ZL30rocblas_trmm_outofplace_kernelI19rocblas_complex_numIfELi32ELi2ELb0ELb1ELb1ELb0EPKS1_S2_S1_Ev17rocblas_diagonal_iiT6_lPT7_lllS7_lllPT8_llli.has_indirect_call, 0
	.section	.AMDGPU.csdata,"",@progbits
; Kernel info:
; codeLenInByte = 6312
; TotalNumSgprs: 74
; NumVgprs: 86
; NumAgprs: 0
; TotalNumVgprs: 86
; ScratchSize: 0
; MemoryBound: 1
; FloatMode: 240
; IeeeMode: 1
; LDSByteSize: 16384 bytes/workgroup (compile time only)
; SGPRBlocks: 9
; VGPRBlocks: 10
; NumSGPRsForWavesPerEU: 74
; NumVGPRsForWavesPerEU: 86
; AccumOffset: 88
; Occupancy: 5
; WaveLimiterHint : 0
; COMPUTE_PGM_RSRC2:SCRATCH_EN: 0
; COMPUTE_PGM_RSRC2:USER_SGPR: 2
; COMPUTE_PGM_RSRC2:TRAP_HANDLER: 0
; COMPUTE_PGM_RSRC2:TGID_X_EN: 1
; COMPUTE_PGM_RSRC2:TGID_Y_EN: 1
; COMPUTE_PGM_RSRC2:TGID_Z_EN: 1
; COMPUTE_PGM_RSRC2:TIDIG_COMP_CNT: 1
; COMPUTE_PGM_RSRC3_GFX90A:ACCUM_OFFSET: 21
; COMPUTE_PGM_RSRC3_GFX90A:TG_SPLIT: 0
	.section	.text._ZL30rocblas_trmm_outofplace_kernelI19rocblas_complex_numIfELi32ELi2ELb0ELb1ELb1ELb0ES1_KS1_S1_Ev17rocblas_diagonal_iiT6_lPT7_lllS6_lllPT8_llli,"axG",@progbits,_ZL30rocblas_trmm_outofplace_kernelI19rocblas_complex_numIfELi32ELi2ELb0ELb1ELb1ELb0ES1_KS1_S1_Ev17rocblas_diagonal_iiT6_lPT7_lllS6_lllPT8_llli,comdat
	.globl	_ZL30rocblas_trmm_outofplace_kernelI19rocblas_complex_numIfELi32ELi2ELb0ELb1ELb1ELb0ES1_KS1_S1_Ev17rocblas_diagonal_iiT6_lPT7_lllS6_lllPT8_llli ; -- Begin function _ZL30rocblas_trmm_outofplace_kernelI19rocblas_complex_numIfELi32ELi2ELb0ELb1ELb1ELb0ES1_KS1_S1_Ev17rocblas_diagonal_iiT6_lPT7_lllS6_lllPT8_llli
	.p2align	8
	.type	_ZL30rocblas_trmm_outofplace_kernelI19rocblas_complex_numIfELi32ELi2ELb0ELb1ELb1ELb0ES1_KS1_S1_Ev17rocblas_diagonal_iiT6_lPT7_lllS6_lllPT8_llli,@function
_ZL30rocblas_trmm_outofplace_kernelI19rocblas_complex_numIfELi32ELi2ELb0ELb1ELb1ELb0ES1_KS1_S1_Ev17rocblas_diagonal_iiT6_lPT7_lllS6_lllPT8_llli: ; @_ZL30rocblas_trmm_outofplace_kernelI19rocblas_complex_numIfELi32ELi2ELb0ELb1ELb1ELb0ES1_KS1_S1_Ev17rocblas_diagonal_iiT6_lPT7_lllS6_lllPT8_llli
; %bb.0:
	s_load_dwordx4 s[24:27], s[0:1], 0x0
	s_load_dword s29, s[0:1], 0x10
	s_waitcnt lgkmcnt(0)
	s_or_b32 s5, s27, s29
	s_bitset0_b32 s5, 31
	s_cmp_eq_u32 s5, 0
	s_cbranch_scc1 .LBB91_60
; %bb.1:
	s_add_i32 s5, s26, -1
	s_ashr_i32 s6, s5, 31
	s_lshr_b32 s6, s6, 27
	s_add_i32 s5, s5, s6
	s_ashr_i32 s33, s5, 5
	s_cmp_gt_i32 s3, s33
	s_cbranch_scc1 .LBB91_60
; %bb.2:
	s_load_dwordx8 s[16:23], s[0:1], 0x60
	s_load_dwordx16 s[36:51], s[0:1], 0x20
	v_and_b32_e32 v2, 0x3ff, v0
	v_lshl_add_u32 v12, s2, 5, v2
	v_add_u32_e32 v14, 16, v12
	s_waitcnt lgkmcnt(0)
	s_mul_i32 s5, s23, s4
	s_mul_hi_u32 s6, s22, s4
	s_add_i32 s7, s6, s5
	s_mul_i32 s6, s22, s4
	s_lshl_b64 s[6:7], s[6:7], 3
	s_add_u32 s5, s16, s6
	s_addc_u32 s8, s17, s7
	s_lshl_b64 s[6:7], s[18:19], 3
	s_add_u32 s22, s5, s6
	s_addc_u32 s23, s8, s7
	s_cmpk_eq_i32 s24, 0x84
	s_cselect_b64 s[30:31], -1, 0
	s_ashr_i32 s2, s25, 31
	v_mov_b32_e32 v1, s2
	s_load_dword s2, s[0:1], 0x8c
	s_ashr_i32 s35, s26, 31
	s_lshl_b64 s[52:53], s[40:41], 8
	s_lshl_b64 s[54:55], s[48:49], 8
	s_add_u32 s56, s26, -16
	s_mov_b32 s28, s27
	v_bfe_u32 v51, v0, 10, 10
	v_sub_co_u32_e32 v0, vcc, s25, v12
	s_addc_u32 s57, s35, -1
	v_cmp_gt_i32_e64 s[16:17], s25, v12
	v_cmp_gt_i32_e64 s[18:19], s25, v14
	s_mov_b32 s25, s27
	s_lshl_b32 s5, s3, 5
	s_waitcnt lgkmcnt(0)
	s_lshl_b32 s27, s2, 5
	v_add_u32_e32 v16, s5, v2
	v_add_u32_e32 v18, s5, v51
	s_add_u32 s60, s44, 0x80
	s_mul_i32 s5, s51, s4
	s_mul_hi_u32 s6, s50, s4
	s_addc_u32 s61, s45, 0
	s_add_i32 s7, s6, s5
	s_mul_i32 s6, s50, s4
	s_lshl_b64 s[62:63], s[48:49], 3
	s_lshl_b64 s[6:7], s[6:7], 3
	;; [unrolled: 1-line block ×3, first 2 shown]
	s_add_u32 s6, s6, s8
	v_ashrrev_i32_e32 v13, 31, v12
	s_addc_u32 s7, s7, s9
	v_lshl_add_u64 v[20:21], v[12:13], 3, s[6:7]
	s_mul_i32 s5, s43, s4
	s_mul_hi_u32 s6, s42, s4
	s_add_i32 s5, s6, s5
	s_mul_i32 s4, s42, s4
	s_lshl_b64 s[4:5], s[4:5], 3
	s_lshl_b64 s[6:7], s[38:39], 3
	s_add_u32 s4, s4, s6
	v_lshlrev_b32_e32 v3, 3, v2
	s_addc_u32 s5, s5, s7
	v_lshlrev_b32_e32 v53, 8, v51
	v_subb_co_u32_e32 v1, vcc, v1, v13, vcc
	v_or_b32_e32 v57, 0x2000, v3
	s_add_u32 s36, s36, s4
	v_mov_b32_e32 v24, 0
	s_mov_b32 s34, s26
	v_add_u32_e32 v55, v53, v3
	v_add_u32_e32 v59, v57, v53
	v_cmp_gt_i64_e32 vcc, 1, v[0:1]
	v_cmp_gt_i64_e64 s[0:1], 17, v[0:1]
	v_ashrrev_i32_e32 v15, 31, v14
	s_mov_b32 s24, s29
	s_mov_b64 s[58:59], 0x80
	s_addc_u32 s37, s37, s5
	s_lshl_b64 s[38:39], s[40:41], 3
	v_mov_b64_e32 v[22:23], 0x80
	v_mov_b32_e32 v25, v24
	v_mov_b32_e32 v26, 1.0
	v_mov_b32_e32 v27, v24
	v_add_u32_e32 v61, 0x800, v57
	v_add_u32_e32 v63, 0x1000, v57
	;; [unrolled: 1-line block ×3, first 2 shown]
	s_branch .LBB91_4
.LBB91_3:                               ;   in Loop: Header=BB91_4 Depth=1
	s_or_b64 exec, exec, s[4:5]
	s_add_i32 s3, s2, s3
	v_add_u32_e32 v16, s27, v16
	s_cmp_le_i32 s3, s33
	v_add_u32_e32 v18, s27, v18
	s_cbranch_scc0 .LBB91_60
.LBB91_4:                               ; =>This Loop Header: Depth=1
                                        ;     Child Loop BB91_7 Depth 2
	s_lshl_b32 s4, s3, 5
	v_add_u32_e32 v28, s4, v51
	s_sub_i32 s66, s26, s4
	v_ashrrev_i32_e32 v17, 31, v16
	v_ashrrev_i32_e32 v19, 31, v18
	s_cmp_lt_i32 s66, 1
	v_ashrrev_i32_e32 v29, 31, v28
	s_cbranch_scc1 .LBB91_51
; %bb.5:                                ;   in Loop: Header=BB91_4 Depth=1
	v_sub_co_u32_e64 v30, s[4:5], v18, v16
	v_mov_b64_e32 v[0:1], s[60:61]
	s_nop 0
	v_subb_co_u32_e64 v31, s[4:5], v19, v17, s[4:5]
	v_mad_u64_u32 v[32:33], s[4:5], s62, v18, v[0:1]
	v_mul_lo_u32 v0, s62, v19
	v_mul_lo_u32 v1, s63, v18
	v_add3_u32 v33, v1, v33, v0
	v_lshl_add_u64 v[0:1], v[16:17], 3, v[22:23]
	v_mov_b64_e32 v[2:3], s[36:37]
	v_mul_lo_u32 v1, s40, v1
	v_mul_lo_u32 v4, s41, v0
	v_mad_u64_u32 v[36:37], s[4:5], s40, v0, v[2:3]
	v_lshlrev_b64 v[34:35], 3, v[18:19]
	v_add3_u32 v37, v4, v37, v1
	v_mad_u64_u32 v[38:39], s[4:5], s38, v16, v[2:3]
	v_mul_lo_u32 v0, s38, v17
	v_mul_lo_u32 v1, s39, v16
	v_add3_u32 v39, v1, v39, v0
	v_lshl_add_u64 v[0:1], v[34:35], 0, s[58:59]
	v_mov_b64_e32 v[2:3], s[44:45]
	v_mul_lo_u32 v1, s48, v1
	v_mul_lo_u32 v4, s49, v0
	v_mad_u64_u32 v[40:41], s[4:5], s48, v0, v[2:3]
	v_lshl_add_u64 v[42:43], v[28:29], 0, 16
	v_add3_u32 v41, v4, v41, v1
	v_cmp_le_i32_e64 s[6:7], s26, v28
	v_cmp_le_i64_e64 s[8:9], s[34:35], v[42:43]
	v_lshl_add_u64 v[44:45], v[30:31], 0, 16
	v_lshl_add_u64 v[46:47], v[30:31], 0, -16
	v_mov_b32_e32 v50, 0
	s_mov_b64 s[42:43], 0
	v_mov_b64_e32 v[48:49], v[20:21]
	v_mov_b32_e32 v52, 0
	v_mov_b32_e32 v56, 0
	;; [unrolled: 1-line block ×7, first 2 shown]
	s_branch .LBB91_7
.LBB91_6:                               ;   in Loop: Header=BB91_7 Depth=2
	s_or_b64 exec, exec, s[4:5]
	s_waitcnt lgkmcnt(0)
	s_barrier
	ds_read2_b64 v[66:69], v57 offset1:16
	ds_read_b128 v[70:73], v53
	ds_read_b128 v[8:11], v53 offset:16
	ds_read_b128 v[4:7], v53 offset:32
	;; [unrolled: 1-line block ×3, first 2 shown]
	ds_read2_b64 v[82:85], v57 offset0:32 offset1:48
	s_waitcnt lgkmcnt(4)
	v_mul_f32_e32 v74, v71, v67
	v_fma_f32 v74, v70, v66, -v74
	v_mul_f32_e32 v75, v70, v67
	v_fmac_f32_e32 v75, v71, v66
	v_add_f32_e32 v62, v62, v74
	v_mul_f32_e32 v74, v71, v69
	v_add_f32_e32 v64, v64, v75
	v_fma_f32 v78, v70, v68, -v74
	ds_read_b128 v[74:77], v53 offset:4096
	v_mul_f32_e32 v70, v70, v69
	v_fmac_f32_e32 v70, v71, v68
	v_add_f32_e32 v58, v58, v78
	v_add_f32_e32 v60, v60, v70
	ds_read_b128 v[78:81], v53 offset:4112
	s_waitcnt lgkmcnt(1)
	v_mul_f32_e32 v70, v75, v67
	v_mul_f32_e32 v67, v74, v67
	v_fma_f32 v70, v74, v66, -v70
	v_fmac_f32_e32 v67, v75, v66
	v_mul_f32_e32 v66, v75, v69
	v_add_f32_e32 v56, v56, v67
	v_fma_f32 v66, v74, v68, -v66
	v_mul_f32_e32 v67, v74, v69
	v_fmac_f32_e32 v67, v75, v68
	v_add_f32_e32 v52, v52, v66
	v_mul_f32_e32 v66, v73, v83
	v_add_f32_e32 v50, v50, v67
	v_fma_f32 v66, v72, v82, -v66
	v_mul_f32_e32 v67, v72, v83
	v_fmac_f32_e32 v67, v73, v82
	v_add_f32_e32 v62, v62, v66
	;; [unrolled: 6-line block ×3, first 2 shown]
	v_mul_f32_e32 v66, v77, v83
	v_add_f32_e32 v54, v54, v70
	v_add_f32_e32 v60, v60, v67
	v_fma_f32 v66, v76, v82, -v66
	v_mul_f32_e32 v67, v76, v83
	v_fmac_f32_e32 v67, v77, v82
	v_add_f32_e32 v54, v54, v66
	v_mul_f32_e32 v66, v77, v85
	v_add_f32_e32 v56, v56, v67
	v_fma_f32 v70, v76, v84, -v66
	ds_read2_b64 v[66:69], v57 offset0:64 offset1:80
	v_mul_f32_e32 v71, v76, v85
	v_add_f32_e32 v52, v52, v70
	v_fmac_f32_e32 v71, v77, v84
	v_add_f32_e32 v50, v50, v71
	s_waitcnt lgkmcnt(0)
	v_mul_f32_e32 v70, v9, v67
	v_fma_f32 v70, v8, v66, -v70
	v_mul_f32_e32 v71, v8, v67
	v_add_f32_e32 v62, v62, v70
	v_mul_f32_e32 v70, v9, v69
	v_fmac_f32_e32 v71, v9, v66
	v_fma_f32 v70, v8, v68, -v70
	v_mul_f32_e32 v8, v8, v69
	v_add_f32_e32 v64, v64, v71
	v_fmac_f32_e32 v8, v9, v68
	v_add_f32_e32 v9, v58, v70
	ds_read2_b64 v[70:73], v57 offset0:96 offset1:112
	v_mul_f32_e32 v58, v79, v67
	v_fma_f32 v58, v78, v66, -v58
	v_add_f32_e32 v54, v54, v58
	v_mul_f32_e32 v58, v79, v69
	v_add_f32_e32 v8, v60, v8
	v_mul_f32_e32 v60, v78, v67
	v_fma_f32 v58, v78, v68, -v58
	v_fmac_f32_e32 v60, v79, v66
	v_add_f32_e32 v52, v52, v58
	s_waitcnt lgkmcnt(0)
	v_mul_f32_e32 v58, v11, v71
	v_add_f32_e32 v56, v56, v60
	v_mul_f32_e32 v60, v78, v69
	v_fma_f32 v58, v10, v70, -v58
	v_fmac_f32_e32 v60, v79, v68
	v_add_f32_e32 v58, v62, v58
	v_mul_f32_e32 v62, v11, v73
	v_add_f32_e32 v50, v50, v60
	v_mul_f32_e32 v60, v10, v71
	v_fma_f32 v62, v10, v72, -v62
	v_mul_f32_e32 v10, v10, v73
	v_fmac_f32_e32 v60, v11, v70
	v_fmac_f32_e32 v10, v11, v72
	v_add_f32_e32 v60, v64, v60
	v_add_f32_e32 v64, v8, v10
	v_mul_f32_e32 v8, v81, v71
	v_add_f32_e32 v62, v9, v62
	v_fma_f32 v8, v80, v70, -v8
	v_mul_f32_e32 v9, v80, v71
	v_fmac_f32_e32 v9, v81, v70
	v_add_f32_e32 v54, v54, v8
	v_mul_f32_e32 v8, v81, v73
	v_add_f32_e32 v56, v56, v9
	v_fma_f32 v66, v80, v72, -v8
	ds_read2_b64 v[8:11], v57 offset0:128 offset1:144
	v_mul_f32_e32 v67, v80, v73
	v_fmac_f32_e32 v67, v81, v72
	v_add_f32_e32 v52, v52, v66
	v_add_f32_e32 v50, v50, v67
	s_waitcnt lgkmcnt(0)
	v_mul_f32_e32 v66, v5, v9
	v_fma_f32 v66, v4, v8, -v66
	v_mul_f32_e32 v67, v4, v9
	v_fmac_f32_e32 v67, v5, v8
	v_add_f32_e32 v58, v58, v66
	v_mul_f32_e32 v66, v5, v11
	v_add_f32_e32 v60, v60, v67
	v_fma_f32 v70, v4, v10, -v66
	ds_read_b128 v[66:69], v53 offset:4128
	v_mul_f32_e32 v4, v4, v11
	ds_read2_b64 v[74:77], v57 offset0:160 offset1:176
	v_fmac_f32_e32 v4, v5, v10
	v_add_f32_e32 v5, v62, v70
	ds_read_b128 v[70:73], v53 offset:4144
	s_waitcnt lgkmcnt(2)
	v_mul_f32_e32 v62, v67, v9
	v_fma_f32 v62, v66, v8, -v62
	v_mul_f32_e32 v9, v66, v9
	v_fmac_f32_e32 v9, v67, v8
	v_add_f32_e32 v8, v54, v62
	v_mul_f32_e32 v54, v67, v11
	v_mul_f32_e32 v11, v66, v11
	v_fma_f32 v54, v66, v10, -v54
	v_fmac_f32_e32 v11, v67, v10
	v_add_f32_e32 v10, v52, v54
	v_add_f32_e32 v11, v50, v11
	s_waitcnt lgkmcnt(1)
	v_mul_f32_e32 v50, v7, v75
	v_mul_f32_e32 v54, v7, v77
	v_fma_f32 v50, v6, v74, -v50
	v_mul_f32_e32 v52, v6, v75
	v_fma_f32 v54, v6, v76, -v54
	v_mul_f32_e32 v6, v6, v77
	v_add_f32_e32 v4, v64, v4
	v_fmac_f32_e32 v6, v7, v76
	v_add_f32_e32 v9, v56, v9
	v_add_f32_e32 v56, v4, v6
	v_mul_f32_e32 v4, v69, v75
	v_add_f32_e32 v54, v5, v54
	v_fma_f32 v4, v68, v74, -v4
	v_mul_f32_e32 v5, v68, v75
	v_fmac_f32_e32 v5, v69, v74
	v_add_f32_e32 v8, v8, v4
	v_mul_f32_e32 v4, v69, v77
	v_fmac_f32_e32 v52, v7, v74
	v_add_f32_e32 v50, v58, v50
	v_add_f32_e32 v9, v9, v5
	v_fma_f32 v58, v68, v76, -v4
	ds_read2_b64 v[4:7], v57 offset0:192 offset1:208
	v_add_f32_e32 v58, v10, v58
	v_add_f32_e32 v52, v60, v52
	v_mul_f32_e32 v60, v68, v77
	v_fmac_f32_e32 v60, v69, v76
	s_waitcnt lgkmcnt(0)
	v_mul_f32_e32 v10, v1, v5
	v_fma_f32 v10, v0, v4, -v10
	v_add_f32_e32 v50, v50, v10
	v_mul_f32_e32 v10, v1, v7
	v_add_f32_e32 v60, v11, v60
	v_mul_f32_e32 v11, v0, v5
	v_fma_f32 v10, v0, v6, -v10
	v_mul_f32_e32 v0, v0, v7
	v_fmac_f32_e32 v11, v1, v4
	v_fmac_f32_e32 v0, v1, v6
	v_add_f32_e32 v1, v54, v10
	v_mul_f32_e32 v10, v71, v5
	v_fma_f32 v10, v70, v4, -v10
	v_mul_f32_e32 v5, v70, v5
	v_fmac_f32_e32 v5, v71, v4
	v_add_f32_e32 v4, v8, v10
	v_mul_f32_e32 v8, v71, v7
	v_add_f32_e32 v52, v52, v11
	v_add_f32_e32 v5, v9, v5
	v_fma_f32 v54, v70, v6, -v8
	ds_read2_b64 v[8:11], v57 offset0:224 offset1:240
	v_mul_f32_e32 v7, v70, v7
	v_fmac_f32_e32 v7, v71, v6
	v_add_f32_e32 v0, v56, v0
	v_add_f32_e32 v56, v60, v7
	s_waitcnt lgkmcnt(0)
	v_mul_f32_e32 v6, v3, v9
	v_fma_f32 v6, v2, v8, -v6
	v_add_f32_e32 v50, v50, v6
	v_mul_f32_e32 v6, v3, v11
	v_mul_f32_e32 v7, v2, v9
	v_fma_f32 v6, v2, v10, -v6
	v_mul_f32_e32 v2, v2, v11
	v_fmac_f32_e32 v2, v3, v10
	v_add_f32_e32 v60, v0, v2
	v_mul_f32_e32 v0, v73, v9
	v_add_f32_e32 v54, v58, v54
	v_add_f32_e32 v58, v1, v6
	v_fma_f32 v0, v72, v8, -v0
	v_mul_f32_e32 v1, v72, v9
	v_fmac_f32_e32 v7, v3, v8
	v_fmac_f32_e32 v1, v73, v8
	v_add_f32_e32 v62, v4, v0
	v_mul_f32_e32 v0, v73, v11
	v_add_f32_e32 v52, v52, v7
	v_add_f32_e32 v64, v5, v1
	v_fma_f32 v8, v72, v10, -v0
	ds_read_b128 v[0:3], v53 offset:64
	ds_read2_b64 v[4:7], v61 offset1:16
	v_mul_f32_e32 v9, v72, v11
	v_fmac_f32_e32 v9, v73, v10
	v_add_f32_e32 v54, v54, v8
	v_add_f32_e32 v56, v56, v9
	s_waitcnt lgkmcnt(0)
	v_mul_f32_e32 v66, v1, v5
	v_fma_f32 v66, v0, v4, -v66
	v_mul_f32_e32 v67, v0, v5
	v_fmac_f32_e32 v67, v1, v4
	v_add_f32_e32 v50, v50, v66
	v_mul_f32_e32 v66, v1, v7
	ds_read_b128 v[8:11], v53 offset:80
	v_add_f32_e32 v52, v52, v67
	v_fma_f32 v70, v0, v6, -v66
	ds_read_b128 v[66:69], v53 offset:4160
	v_mul_f32_e32 v0, v0, v7
	ds_read2_b64 v[74:77], v61 offset0:32 offset1:48
	v_fmac_f32_e32 v0, v1, v6
	v_add_f32_e32 v1, v58, v70
	s_waitcnt lgkmcnt(1)
	v_mul_f32_e32 v58, v67, v5
	v_fma_f32 v58, v66, v4, -v58
	v_mul_f32_e32 v5, v66, v5
	v_fmac_f32_e32 v5, v67, v4
	v_add_f32_e32 v4, v62, v58
	v_mul_f32_e32 v58, v67, v7
	v_fma_f32 v58, v66, v6, -v58
	v_mul_f32_e32 v7, v66, v7
	v_fmac_f32_e32 v7, v67, v6
	v_add_f32_e32 v6, v54, v58
	s_waitcnt lgkmcnt(0)
	v_mul_f32_e32 v54, v3, v75
	v_fma_f32 v54, v2, v74, -v54
	v_add_f32_e32 v50, v50, v54
	v_mul_f32_e32 v54, v3, v77
	v_add_f32_e32 v7, v56, v7
	v_mul_f32_e32 v56, v2, v75
	v_fma_f32 v54, v2, v76, -v54
	v_mul_f32_e32 v2, v2, v77
	v_add_f32_e32 v0, v60, v0
	v_fmac_f32_e32 v56, v3, v74
	v_fmac_f32_e32 v2, v3, v76
	v_add_f32_e32 v52, v52, v56
	v_add_f32_e32 v56, v0, v2
	v_mul_f32_e32 v0, v69, v75
	v_add_f32_e32 v54, v1, v54
	v_fma_f32 v0, v68, v74, -v0
	v_mul_f32_e32 v1, v68, v75
	v_add_f32_e32 v5, v64, v5
	v_fmac_f32_e32 v1, v69, v74
	v_add_f32_e32 v4, v4, v0
	v_mul_f32_e32 v0, v69, v77
	v_add_f32_e32 v5, v5, v1
	v_fma_f32 v58, v68, v76, -v0
	ds_read2_b64 v[0:3], v61 offset0:64 offset1:80
	ds_read_b128 v[70:73], v53 offset:4176
	v_mul_f32_e32 v60, v68, v77
	v_add_f32_e32 v58, v6, v58
	v_fmac_f32_e32 v60, v69, v76
	s_waitcnt lgkmcnt(1)
	v_mul_f32_e32 v6, v9, v1
	v_fma_f32 v6, v8, v0, -v6
	v_add_f32_e32 v60, v7, v60
	v_mul_f32_e32 v7, v8, v1
	v_add_f32_e32 v50, v50, v6
	v_mul_f32_e32 v6, v9, v3
	v_fmac_f32_e32 v7, v9, v0
	v_fma_f32 v6, v8, v2, -v6
	v_add_f32_e32 v52, v52, v7
	v_mul_f32_e32 v7, v8, v3
	v_add_f32_e32 v8, v54, v6
	s_waitcnt lgkmcnt(0)
	v_mul_f32_e32 v6, v71, v1
	v_fma_f32 v6, v70, v0, -v6
	v_mul_f32_e32 v1, v70, v1
	v_fmac_f32_e32 v7, v9, v2
	v_fmac_f32_e32 v1, v71, v0
	v_add_f32_e32 v0, v4, v6
	v_mul_f32_e32 v4, v71, v3
	v_add_f32_e32 v9, v56, v7
	v_add_f32_e32 v1, v5, v1
	v_fma_f32 v54, v70, v2, -v4
	ds_read2_b64 v[4:7], v61 offset0:96 offset1:112
	v_mul_f32_e32 v3, v70, v3
	v_fmac_f32_e32 v3, v71, v2
	v_add_f32_e32 v56, v60, v3
	v_add_f32_e32 v54, v58, v54
	s_waitcnt lgkmcnt(0)
	v_mul_f32_e32 v2, v11, v5
	v_fma_f32 v2, v10, v4, -v2
	v_mul_f32_e32 v3, v10, v5
	v_fmac_f32_e32 v3, v11, v4
	v_add_f32_e32 v50, v50, v2
	v_mul_f32_e32 v2, v11, v7
	v_add_f32_e32 v52, v52, v3
	v_fma_f32 v2, v10, v6, -v2
	v_mul_f32_e32 v3, v10, v7
	v_fmac_f32_e32 v3, v11, v6
	v_add_f32_e32 v58, v8, v2
	v_mul_f32_e32 v2, v73, v5
	v_add_f32_e32 v60, v9, v3
	;; [unrolled: 6-line block ×3, first 2 shown]
	v_fma_f32 v4, v72, v6, -v0
	ds_read_b128 v[0:3], v53 offset:96
	ds_read2_b64 v[8:11], v61 offset0:128 offset1:144
	v_mul_f32_e32 v5, v72, v7
	v_fmac_f32_e32 v5, v73, v6
	v_add_f32_e32 v54, v54, v4
	v_add_f32_e32 v56, v56, v5
	s_waitcnt lgkmcnt(0)
	v_mul_f32_e32 v66, v1, v9
	v_fma_f32 v66, v0, v8, -v66
	v_mul_f32_e32 v67, v0, v9
	v_fmac_f32_e32 v67, v1, v8
	v_add_f32_e32 v50, v50, v66
	v_mul_f32_e32 v66, v1, v11
	ds_read_b128 v[4:7], v53 offset:112
	v_add_f32_e32 v52, v52, v67
	v_fma_f32 v70, v0, v10, -v66
	ds_read_b128 v[66:69], v53 offset:4192
	v_mul_f32_e32 v0, v0, v11
	ds_read2_b64 v[74:77], v61 offset0:160 offset1:176
	v_fmac_f32_e32 v0, v1, v10
	v_add_f32_e32 v1, v58, v70
	s_waitcnt lgkmcnt(1)
	v_mul_f32_e32 v58, v67, v9
	v_fma_f32 v58, v66, v8, -v58
	v_mul_f32_e32 v9, v66, v9
	v_fmac_f32_e32 v9, v67, v8
	v_add_f32_e32 v8, v62, v58
	v_mul_f32_e32 v58, v67, v11
	v_fma_f32 v58, v66, v10, -v58
	v_mul_f32_e32 v11, v66, v11
	v_fmac_f32_e32 v11, v67, v10
	v_add_f32_e32 v10, v54, v58
	s_waitcnt lgkmcnt(0)
	v_mul_f32_e32 v54, v3, v75
	v_fma_f32 v54, v2, v74, -v54
	v_add_f32_e32 v50, v50, v54
	v_mul_f32_e32 v54, v3, v77
	v_add_f32_e32 v11, v56, v11
	v_mul_f32_e32 v56, v2, v75
	v_fma_f32 v54, v2, v76, -v54
	v_mul_f32_e32 v2, v2, v77
	v_add_f32_e32 v0, v60, v0
	v_fmac_f32_e32 v56, v3, v74
	v_fmac_f32_e32 v2, v3, v76
	v_add_f32_e32 v52, v52, v56
	v_add_f32_e32 v56, v0, v2
	v_mul_f32_e32 v0, v69, v75
	v_add_f32_e32 v54, v1, v54
	v_fma_f32 v0, v68, v74, -v0
	v_mul_f32_e32 v1, v68, v75
	v_add_f32_e32 v9, v64, v9
	v_fmac_f32_e32 v1, v69, v74
	v_add_f32_e32 v8, v8, v0
	v_mul_f32_e32 v0, v69, v77
	v_add_f32_e32 v9, v9, v1
	v_fma_f32 v58, v68, v76, -v0
	ds_read2_b64 v[0:3], v61 offset0:192 offset1:208
	ds_read_b128 v[70:73], v53 offset:4208
	v_add_f32_e32 v58, v10, v58
	v_mul_f32_e32 v60, v68, v77
	v_fmac_f32_e32 v60, v69, v76
	s_waitcnt lgkmcnt(1)
	v_mul_f32_e32 v10, v5, v1
	v_fma_f32 v10, v4, v0, -v10
	v_add_f32_e32 v50, v50, v10
	v_mul_f32_e32 v10, v5, v3
	v_add_f32_e32 v60, v11, v60
	v_mul_f32_e32 v11, v4, v1
	v_fma_f32 v10, v4, v2, -v10
	v_mul_f32_e32 v4, v4, v3
	v_fmac_f32_e32 v11, v5, v0
	v_fmac_f32_e32 v4, v5, v2
	v_add_f32_e32 v5, v54, v10
	s_waitcnt lgkmcnt(0)
	v_mul_f32_e32 v10, v71, v1
	v_fma_f32 v10, v70, v0, -v10
	v_mul_f32_e32 v1, v70, v1
	v_fmac_f32_e32 v1, v71, v0
	v_add_f32_e32 v0, v8, v10
	v_mul_f32_e32 v8, v71, v3
	v_add_f32_e32 v52, v52, v11
	v_add_f32_e32 v1, v9, v1
	v_fma_f32 v54, v70, v2, -v8
	ds_read2_b64 v[8:11], v61 offset0:224 offset1:240
	v_mul_f32_e32 v3, v70, v3
	v_fmac_f32_e32 v3, v71, v2
	v_add_f32_e32 v4, v56, v4
	v_add_f32_e32 v56, v60, v3
	s_waitcnt lgkmcnt(0)
	v_mul_f32_e32 v2, v7, v9
	v_fma_f32 v2, v6, v8, -v2
	v_mul_f32_e32 v3, v6, v9
	v_fmac_f32_e32 v3, v7, v8
	v_add_f32_e32 v50, v50, v2
	v_mul_f32_e32 v2, v7, v11
	v_add_f32_e32 v52, v52, v3
	v_fma_f32 v2, v6, v10, -v2
	v_mul_f32_e32 v3, v6, v11
	v_add_f32_e32 v54, v58, v54
	v_fmac_f32_e32 v3, v7, v10
	v_add_f32_e32 v58, v5, v2
	v_mul_f32_e32 v2, v73, v9
	v_add_f32_e32 v60, v4, v3
	v_fma_f32 v2, v72, v8, -v2
	v_mul_f32_e32 v3, v72, v9
	v_fmac_f32_e32 v3, v73, v8
	v_add_f32_e32 v62, v0, v2
	v_mul_f32_e32 v0, v73, v11
	v_add_f32_e32 v64, v1, v3
	v_fma_f32 v8, v72, v10, -v0
	ds_read_b128 v[0:3], v53 offset:128
	ds_read2_b64 v[4:7], v63 offset1:16
	v_mul_f32_e32 v9, v72, v11
	v_fmac_f32_e32 v9, v73, v10
	v_add_f32_e32 v54, v54, v8
	v_add_f32_e32 v56, v56, v9
	s_waitcnt lgkmcnt(0)
	v_mul_f32_e32 v66, v1, v5
	v_fma_f32 v66, v0, v4, -v66
	v_mul_f32_e32 v67, v0, v5
	v_fmac_f32_e32 v67, v1, v4
	v_add_f32_e32 v50, v50, v66
	v_mul_f32_e32 v66, v1, v7
	ds_read_b128 v[8:11], v53 offset:144
	v_add_f32_e32 v52, v52, v67
	v_fma_f32 v70, v0, v6, -v66
	ds_read_b128 v[66:69], v53 offset:4224
	v_mul_f32_e32 v0, v0, v7
	ds_read2_b64 v[74:77], v63 offset0:32 offset1:48
	v_fmac_f32_e32 v0, v1, v6
	v_add_f32_e32 v1, v58, v70
	s_waitcnt lgkmcnt(1)
	v_mul_f32_e32 v58, v67, v5
	v_fma_f32 v58, v66, v4, -v58
	v_mul_f32_e32 v5, v66, v5
	v_fmac_f32_e32 v5, v67, v4
	v_add_f32_e32 v4, v62, v58
	v_mul_f32_e32 v58, v67, v7
	v_fma_f32 v58, v66, v6, -v58
	v_mul_f32_e32 v7, v66, v7
	v_fmac_f32_e32 v7, v67, v6
	v_add_f32_e32 v6, v54, v58
	s_waitcnt lgkmcnt(0)
	v_mul_f32_e32 v54, v3, v75
	v_fma_f32 v54, v2, v74, -v54
	v_add_f32_e32 v50, v50, v54
	v_mul_f32_e32 v54, v3, v77
	v_add_f32_e32 v7, v56, v7
	v_mul_f32_e32 v56, v2, v75
	v_fma_f32 v54, v2, v76, -v54
	v_mul_f32_e32 v2, v2, v77
	v_add_f32_e32 v0, v60, v0
	v_fmac_f32_e32 v56, v3, v74
	v_fmac_f32_e32 v2, v3, v76
	v_add_f32_e32 v52, v52, v56
	v_add_f32_e32 v56, v0, v2
	v_mul_f32_e32 v0, v69, v75
	v_add_f32_e32 v54, v1, v54
	v_fma_f32 v0, v68, v74, -v0
	v_mul_f32_e32 v1, v68, v75
	v_add_f32_e32 v5, v64, v5
	v_fmac_f32_e32 v1, v69, v74
	v_add_f32_e32 v4, v4, v0
	v_mul_f32_e32 v0, v69, v77
	v_add_f32_e32 v5, v5, v1
	v_fma_f32 v58, v68, v76, -v0
	ds_read2_b64 v[0:3], v63 offset0:64 offset1:80
	ds_read_b128 v[70:73], v53 offset:4240
	v_mul_f32_e32 v60, v68, v77
	v_add_f32_e32 v58, v6, v58
	v_fmac_f32_e32 v60, v69, v76
	s_waitcnt lgkmcnt(1)
	v_mul_f32_e32 v6, v9, v1
	v_fma_f32 v6, v8, v0, -v6
	v_add_f32_e32 v60, v7, v60
	v_mul_f32_e32 v7, v8, v1
	v_add_f32_e32 v50, v50, v6
	v_mul_f32_e32 v6, v9, v3
	v_fmac_f32_e32 v7, v9, v0
	v_fma_f32 v6, v8, v2, -v6
	v_add_f32_e32 v52, v52, v7
	v_mul_f32_e32 v7, v8, v3
	v_add_f32_e32 v8, v54, v6
	s_waitcnt lgkmcnt(0)
	v_mul_f32_e32 v6, v71, v1
	v_fma_f32 v6, v70, v0, -v6
	v_mul_f32_e32 v1, v70, v1
	v_fmac_f32_e32 v7, v9, v2
	v_fmac_f32_e32 v1, v71, v0
	v_add_f32_e32 v0, v4, v6
	v_mul_f32_e32 v4, v71, v3
	v_add_f32_e32 v9, v56, v7
	v_add_f32_e32 v1, v5, v1
	v_fma_f32 v54, v70, v2, -v4
	ds_read2_b64 v[4:7], v63 offset0:96 offset1:112
	v_mul_f32_e32 v3, v70, v3
	v_fmac_f32_e32 v3, v71, v2
	v_add_f32_e32 v56, v60, v3
	v_add_f32_e32 v54, v58, v54
	s_waitcnt lgkmcnt(0)
	v_mul_f32_e32 v2, v11, v5
	v_fma_f32 v2, v10, v4, -v2
	v_mul_f32_e32 v3, v10, v5
	v_fmac_f32_e32 v3, v11, v4
	v_add_f32_e32 v50, v50, v2
	v_mul_f32_e32 v2, v11, v7
	v_add_f32_e32 v52, v52, v3
	v_fma_f32 v2, v10, v6, -v2
	v_mul_f32_e32 v3, v10, v7
	v_fmac_f32_e32 v3, v11, v6
	v_add_f32_e32 v58, v8, v2
	v_mul_f32_e32 v2, v73, v5
	v_add_f32_e32 v60, v9, v3
	v_fma_f32 v2, v72, v4, -v2
	v_mul_f32_e32 v3, v72, v5
	v_fmac_f32_e32 v3, v73, v4
	v_add_f32_e32 v62, v0, v2
	v_mul_f32_e32 v0, v73, v7
	v_add_f32_e32 v64, v1, v3
	v_fma_f32 v4, v72, v6, -v0
	ds_read_b128 v[0:3], v53 offset:160
	ds_read2_b64 v[8:11], v63 offset0:128 offset1:144
	v_mul_f32_e32 v5, v72, v7
	v_fmac_f32_e32 v5, v73, v6
	v_add_f32_e32 v54, v54, v4
	v_add_f32_e32 v56, v56, v5
	s_waitcnt lgkmcnt(0)
	v_mul_f32_e32 v66, v1, v9
	v_fma_f32 v66, v0, v8, -v66
	v_mul_f32_e32 v67, v0, v9
	v_fmac_f32_e32 v67, v1, v8
	v_add_f32_e32 v50, v50, v66
	v_mul_f32_e32 v66, v1, v11
	ds_read_b128 v[4:7], v53 offset:176
	v_add_f32_e32 v52, v52, v67
	v_fma_f32 v70, v0, v10, -v66
	ds_read_b128 v[66:69], v53 offset:4256
	v_mul_f32_e32 v0, v0, v11
	ds_read2_b64 v[74:77], v63 offset0:160 offset1:176
	v_fmac_f32_e32 v0, v1, v10
	v_add_f32_e32 v1, v58, v70
	s_waitcnt lgkmcnt(1)
	v_mul_f32_e32 v58, v67, v9
	v_fma_f32 v58, v66, v8, -v58
	v_mul_f32_e32 v9, v66, v9
	v_fmac_f32_e32 v9, v67, v8
	v_add_f32_e32 v8, v62, v58
	v_mul_f32_e32 v58, v67, v11
	v_fma_f32 v58, v66, v10, -v58
	v_mul_f32_e32 v11, v66, v11
	v_fmac_f32_e32 v11, v67, v10
	v_add_f32_e32 v10, v54, v58
	s_waitcnt lgkmcnt(0)
	v_mul_f32_e32 v54, v3, v75
	v_fma_f32 v54, v2, v74, -v54
	v_add_f32_e32 v50, v50, v54
	v_mul_f32_e32 v54, v3, v77
	v_add_f32_e32 v11, v56, v11
	v_mul_f32_e32 v56, v2, v75
	v_fma_f32 v54, v2, v76, -v54
	v_mul_f32_e32 v2, v2, v77
	v_add_f32_e32 v0, v60, v0
	v_fmac_f32_e32 v56, v3, v74
	v_fmac_f32_e32 v2, v3, v76
	v_add_f32_e32 v52, v52, v56
	v_add_f32_e32 v56, v0, v2
	v_mul_f32_e32 v0, v69, v75
	v_add_f32_e32 v54, v1, v54
	v_fma_f32 v0, v68, v74, -v0
	v_mul_f32_e32 v1, v68, v75
	v_add_f32_e32 v9, v64, v9
	v_fmac_f32_e32 v1, v69, v74
	v_add_f32_e32 v8, v8, v0
	v_mul_f32_e32 v0, v69, v77
	v_add_f32_e32 v9, v9, v1
	v_fma_f32 v58, v68, v76, -v0
	ds_read2_b64 v[0:3], v63 offset0:192 offset1:208
	ds_read_b128 v[70:73], v53 offset:4272
	v_add_f32_e32 v58, v10, v58
	v_mul_f32_e32 v60, v68, v77
	v_fmac_f32_e32 v60, v69, v76
	s_waitcnt lgkmcnt(1)
	v_mul_f32_e32 v10, v5, v1
	v_fma_f32 v10, v4, v0, -v10
	v_add_f32_e32 v50, v50, v10
	v_mul_f32_e32 v10, v5, v3
	v_add_f32_e32 v60, v11, v60
	v_mul_f32_e32 v11, v4, v1
	v_fma_f32 v10, v4, v2, -v10
	v_mul_f32_e32 v4, v4, v3
	v_fmac_f32_e32 v11, v5, v0
	v_fmac_f32_e32 v4, v5, v2
	v_add_f32_e32 v5, v54, v10
	s_waitcnt lgkmcnt(0)
	v_mul_f32_e32 v10, v71, v1
	v_fma_f32 v10, v70, v0, -v10
	v_mul_f32_e32 v1, v70, v1
	v_fmac_f32_e32 v1, v71, v0
	v_add_f32_e32 v0, v8, v10
	v_mul_f32_e32 v8, v71, v3
	v_add_f32_e32 v52, v52, v11
	v_add_f32_e32 v1, v9, v1
	v_fma_f32 v54, v70, v2, -v8
	ds_read2_b64 v[8:11], v63 offset0:224 offset1:240
	v_mul_f32_e32 v3, v70, v3
	v_fmac_f32_e32 v3, v71, v2
	v_add_f32_e32 v4, v56, v4
	v_add_f32_e32 v56, v60, v3
	s_waitcnt lgkmcnt(0)
	v_mul_f32_e32 v2, v7, v9
	v_fma_f32 v2, v6, v8, -v2
	v_mul_f32_e32 v3, v6, v9
	v_fmac_f32_e32 v3, v7, v8
	v_add_f32_e32 v50, v50, v2
	v_mul_f32_e32 v2, v7, v11
	v_add_f32_e32 v52, v52, v3
	v_fma_f32 v2, v6, v10, -v2
	v_mul_f32_e32 v3, v6, v11
	v_add_f32_e32 v54, v58, v54
	v_fmac_f32_e32 v3, v7, v10
	v_add_f32_e32 v58, v5, v2
	v_mul_f32_e32 v2, v73, v9
	v_add_f32_e32 v60, v4, v3
	v_fma_f32 v2, v72, v8, -v2
	v_mul_f32_e32 v3, v72, v9
	v_fmac_f32_e32 v3, v73, v8
	v_add_f32_e32 v62, v0, v2
	v_mul_f32_e32 v0, v73, v11
	v_add_f32_e32 v64, v1, v3
	v_fma_f32 v8, v72, v10, -v0
	ds_read_b128 v[0:3], v53 offset:192
	ds_read2_b64 v[4:7], v65 offset1:16
	v_mul_f32_e32 v9, v72, v11
	v_fmac_f32_e32 v9, v73, v10
	v_add_f32_e32 v54, v54, v8
	v_add_f32_e32 v56, v56, v9
	s_waitcnt lgkmcnt(0)
	v_mul_f32_e32 v66, v1, v5
	v_fma_f32 v66, v0, v4, -v66
	v_mul_f32_e32 v67, v0, v5
	v_fmac_f32_e32 v67, v1, v4
	v_add_f32_e32 v50, v50, v66
	v_mul_f32_e32 v66, v1, v7
	ds_read_b128 v[8:11], v53 offset:208
	v_add_f32_e32 v52, v52, v67
	v_fma_f32 v70, v0, v6, -v66
	ds_read_b128 v[66:69], v53 offset:4288
	v_mul_f32_e32 v0, v0, v7
	ds_read2_b64 v[74:77], v65 offset0:32 offset1:48
	v_fmac_f32_e32 v0, v1, v6
	v_add_f32_e32 v1, v58, v70
	s_waitcnt lgkmcnt(1)
	v_mul_f32_e32 v58, v67, v5
	v_fma_f32 v58, v66, v4, -v58
	v_mul_f32_e32 v5, v66, v5
	v_fmac_f32_e32 v5, v67, v4
	v_add_f32_e32 v4, v62, v58
	v_mul_f32_e32 v58, v67, v7
	v_fma_f32 v58, v66, v6, -v58
	v_mul_f32_e32 v7, v66, v7
	v_fmac_f32_e32 v7, v67, v6
	v_add_f32_e32 v6, v54, v58
	s_waitcnt lgkmcnt(0)
	v_mul_f32_e32 v54, v3, v75
	v_fma_f32 v54, v2, v74, -v54
	v_add_f32_e32 v50, v50, v54
	v_mul_f32_e32 v54, v3, v77
	v_add_f32_e32 v7, v56, v7
	v_mul_f32_e32 v56, v2, v75
	v_fma_f32 v54, v2, v76, -v54
	v_mul_f32_e32 v2, v2, v77
	v_add_f32_e32 v0, v60, v0
	v_fmac_f32_e32 v56, v3, v74
	v_fmac_f32_e32 v2, v3, v76
	v_add_f32_e32 v52, v52, v56
	v_add_f32_e32 v56, v0, v2
	v_mul_f32_e32 v0, v69, v75
	v_add_f32_e32 v54, v1, v54
	v_fma_f32 v0, v68, v74, -v0
	v_mul_f32_e32 v1, v68, v75
	v_add_f32_e32 v5, v64, v5
	v_fmac_f32_e32 v1, v69, v74
	v_add_f32_e32 v4, v4, v0
	v_mul_f32_e32 v0, v69, v77
	v_add_f32_e32 v5, v5, v1
	v_fma_f32 v58, v68, v76, -v0
	ds_read2_b64 v[0:3], v65 offset0:64 offset1:80
	ds_read_b128 v[70:73], v53 offset:4304
	v_mul_f32_e32 v60, v68, v77
	v_add_f32_e32 v58, v6, v58
	v_fmac_f32_e32 v60, v69, v76
	s_waitcnt lgkmcnt(1)
	v_mul_f32_e32 v6, v9, v1
	v_fma_f32 v6, v8, v0, -v6
	v_add_f32_e32 v60, v7, v60
	v_mul_f32_e32 v7, v8, v1
	v_add_f32_e32 v50, v50, v6
	v_mul_f32_e32 v6, v9, v3
	v_fmac_f32_e32 v7, v9, v0
	v_fma_f32 v6, v8, v2, -v6
	v_add_f32_e32 v52, v52, v7
	v_mul_f32_e32 v7, v8, v3
	v_add_f32_e32 v8, v54, v6
	s_waitcnt lgkmcnt(0)
	v_mul_f32_e32 v6, v71, v1
	v_fma_f32 v6, v70, v0, -v6
	v_mul_f32_e32 v1, v70, v1
	v_fmac_f32_e32 v7, v9, v2
	v_fmac_f32_e32 v1, v71, v0
	v_add_f32_e32 v0, v4, v6
	v_mul_f32_e32 v4, v71, v3
	v_add_f32_e32 v9, v56, v7
	v_add_f32_e32 v1, v5, v1
	v_fma_f32 v54, v70, v2, -v4
	ds_read2_b64 v[4:7], v65 offset0:96 offset1:112
	v_mul_f32_e32 v3, v70, v3
	v_fmac_f32_e32 v3, v71, v2
	v_add_f32_e32 v56, v60, v3
	v_add_f32_e32 v54, v58, v54
	s_waitcnt lgkmcnt(0)
	v_mul_f32_e32 v2, v11, v5
	v_fma_f32 v2, v10, v4, -v2
	v_mul_f32_e32 v3, v10, v5
	v_fmac_f32_e32 v3, v11, v4
	v_add_f32_e32 v50, v50, v2
	v_mul_f32_e32 v2, v11, v7
	v_add_f32_e32 v52, v52, v3
	v_fma_f32 v2, v10, v6, -v2
	v_mul_f32_e32 v3, v10, v7
	v_fmac_f32_e32 v3, v11, v6
	v_add_f32_e32 v58, v8, v2
	v_mul_f32_e32 v2, v73, v5
	v_add_f32_e32 v60, v9, v3
	;; [unrolled: 6-line block ×3, first 2 shown]
	v_fma_f32 v4, v72, v6, -v0
	ds_read_b128 v[0:3], v53 offset:224
	ds_read2_b64 v[8:11], v65 offset0:128 offset1:144
	v_mul_f32_e32 v5, v72, v7
	v_fmac_f32_e32 v5, v73, v6
	v_add_f32_e32 v54, v54, v4
	v_add_f32_e32 v56, v56, v5
	s_waitcnt lgkmcnt(0)
	v_mul_f32_e32 v66, v1, v9
	v_fma_f32 v66, v0, v8, -v66
	v_mul_f32_e32 v67, v0, v9
	v_fmac_f32_e32 v67, v1, v8
	v_add_f32_e32 v50, v50, v66
	v_mul_f32_e32 v66, v1, v11
	ds_read_b128 v[4:7], v53 offset:240
	v_add_f32_e32 v52, v52, v67
	v_fma_f32 v70, v0, v10, -v66
	ds_read_b128 v[66:69], v53 offset:4320
	v_mul_f32_e32 v0, v0, v11
	ds_read2_b64 v[74:77], v65 offset0:160 offset1:176
	v_fmac_f32_e32 v0, v1, v10
	v_add_f32_e32 v1, v58, v70
	s_waitcnt lgkmcnt(1)
	v_mul_f32_e32 v58, v67, v9
	v_fma_f32 v58, v66, v8, -v58
	v_mul_f32_e32 v9, v66, v9
	v_fmac_f32_e32 v9, v67, v8
	v_add_f32_e32 v8, v62, v58
	v_mul_f32_e32 v58, v67, v11
	v_fma_f32 v58, v66, v10, -v58
	v_mul_f32_e32 v11, v66, v11
	v_fmac_f32_e32 v11, v67, v10
	v_add_f32_e32 v10, v54, v58
	s_waitcnt lgkmcnt(0)
	v_mul_f32_e32 v54, v3, v75
	v_fma_f32 v54, v2, v74, -v54
	v_add_f32_e32 v50, v50, v54
	v_mul_f32_e32 v54, v3, v77
	v_add_f32_e32 v11, v56, v11
	v_mul_f32_e32 v56, v2, v75
	v_fma_f32 v54, v2, v76, -v54
	v_mul_f32_e32 v2, v2, v77
	v_add_f32_e32 v0, v60, v0
	v_fmac_f32_e32 v56, v3, v74
	v_fmac_f32_e32 v2, v3, v76
	v_add_f32_e32 v52, v52, v56
	v_add_f32_e32 v56, v0, v2
	v_mul_f32_e32 v0, v69, v75
	v_add_f32_e32 v54, v1, v54
	v_fma_f32 v0, v68, v74, -v0
	v_mul_f32_e32 v1, v68, v75
	v_add_f32_e32 v9, v64, v9
	v_fmac_f32_e32 v1, v69, v74
	v_add_f32_e32 v8, v8, v0
	v_mul_f32_e32 v0, v69, v77
	v_add_f32_e32 v9, v9, v1
	v_fma_f32 v58, v68, v76, -v0
	ds_read2_b64 v[0:3], v65 offset0:192 offset1:208
	ds_read_b128 v[70:73], v53 offset:4336
	v_add_f32_e32 v58, v10, v58
	v_mul_f32_e32 v60, v68, v77
	v_fmac_f32_e32 v60, v69, v76
	s_waitcnt lgkmcnt(1)
	v_mul_f32_e32 v10, v5, v1
	v_fma_f32 v10, v4, v0, -v10
	v_add_f32_e32 v50, v50, v10
	v_mul_f32_e32 v10, v5, v3
	v_add_f32_e32 v60, v11, v60
	v_mul_f32_e32 v11, v4, v1
	v_fma_f32 v10, v4, v2, -v10
	v_mul_f32_e32 v4, v4, v3
	v_fmac_f32_e32 v11, v5, v0
	v_fmac_f32_e32 v4, v5, v2
	v_add_f32_e32 v5, v54, v10
	s_waitcnt lgkmcnt(0)
	v_mul_f32_e32 v10, v71, v1
	v_fma_f32 v10, v70, v0, -v10
	v_mul_f32_e32 v1, v70, v1
	v_fmac_f32_e32 v1, v71, v0
	v_add_f32_e32 v0, v8, v10
	v_mul_f32_e32 v8, v71, v3
	v_add_f32_e32 v52, v52, v11
	v_add_f32_e32 v1, v9, v1
	v_fma_f32 v54, v70, v2, -v8
	ds_read2_b64 v[8:11], v65 offset0:224 offset1:240
	v_mul_f32_e32 v3, v70, v3
	v_fmac_f32_e32 v3, v71, v2
	v_add_f32_e32 v2, v58, v54
	v_add_f32_e32 v4, v56, v4
	s_waitcnt lgkmcnt(0)
	v_mul_f32_e32 v54, v7, v9
	v_fma_f32 v54, v6, v8, -v54
	v_add_f32_e32 v62, v50, v54
	v_mul_f32_e32 v50, v7, v11
	v_mul_f32_e32 v56, v6, v9
	v_fma_f32 v50, v6, v10, -v50
	v_mul_f32_e32 v6, v6, v11
	v_fmac_f32_e32 v6, v7, v10
	v_add_f32_e32 v3, v60, v3
	v_add_f32_e32 v58, v5, v50
	;; [unrolled: 1-line block ×3, first 2 shown]
	v_mul_f32_e32 v4, v73, v9
	v_mul_f32_e32 v5, v72, v9
	v_fmac_f32_e32 v56, v7, v8
	v_fma_f32 v4, v72, v8, -v4
	v_fmac_f32_e32 v5, v73, v8
	v_add_f32_e32 v64, v52, v56
	v_add_f32_e32 v54, v0, v4
	;; [unrolled: 1-line block ×3, first 2 shown]
	v_mul_f32_e32 v0, v73, v11
	v_mul_f32_e32 v1, v72, v11
	s_add_u32 s42, s42, 32
	v_fma_f32 v0, v72, v10, -v0
	v_fmac_f32_e32 v1, v73, v10
	s_addc_u32 s43, s43, 0
	v_add_f32_e32 v52, v2, v0
	v_add_f32_e32 v50, v3, v1
	v_lshl_add_u64 v[48:49], v[48:49], 0, s[54:55]
	v_lshl_add_u64 v[36:37], v[36:37], 0, s[52:53]
	s_cmp_ge_i32 s42, s66
	v_lshl_add_u64 v[38:39], v[38:39], 0, s[52:53]
	s_barrier
	s_cbranch_scc1 .LBB91_52
.LBB91_7:                               ;   Parent Loop BB91_4 Depth=1
                                        ; =>  This Inner Loop Header: Depth=2
	v_lshl_add_u64 v[2:3], v[16:17], 0, s[42:43]
	v_cmp_eq_u64_e64 s[4:5], s[42:43], v[30:31]
	v_cmp_lt_i64_e64 s[10:11], v[2:3], v[28:29]
	s_and_b64 s[50:51], s[30:31], s[4:5]
	v_cmp_le_i64_e64 s[12:13], s[34:35], v[2:3]
	s_or_b64 s[4:5], s[6:7], s[10:11]
	s_or_b64 s[4:5], s[12:13], s[4:5]
	v_lshl_add_u64 v[0:1], v[38:39], 0, v[34:35]
	s_nor_b64 s[4:5], s[4:5], s[50:51]
	s_and_saveexec_b64 s[14:15], s[4:5]
	s_xor_b64 s[4:5], exec, s[14:15]
	s_cbranch_execz .LBB91_9
; %bb.8:                                ;   in Loop: Header=BB91_7 Depth=2
	global_load_dwordx2 v[4:5], v[0:1], off
	s_waitcnt vmcnt(0)
	ds_write_b64 v55, v[4:5]
.LBB91_9:                               ;   in Loop: Header=BB91_7 Depth=2
	s_or_saveexec_b64 s[4:5], s[4:5]
	s_xor_b64 s[46:47], s[50:51], -1
	s_xor_b64 exec, exec, s[4:5]
	s_cbranch_execz .LBB91_15
; %bb.10:                               ;   in Loop: Header=BB91_7 Depth=2
	s_and_saveexec_b64 s[14:15], s[46:47]
	s_xor_b64 s[14:15], exec, s[14:15]
; %bb.11:                               ;   in Loop: Header=BB91_7 Depth=2
	ds_write_b64 v55, v[24:25]
; %bb.12:                               ;   in Loop: Header=BB91_7 Depth=2
	s_andn2_saveexec_b64 s[14:15], s[14:15]
; %bb.13:                               ;   in Loop: Header=BB91_7 Depth=2
	ds_write_b64 v55, v[26:27]
; %bb.14:                               ;   in Loop: Header=BB91_7 Depth=2
	s_or_b64 exec, exec, s[14:15]
.LBB91_15:                              ;   in Loop: Header=BB91_7 Depth=2
	s_or_b64 exec, exec, s[4:5]
	v_lshl_add_u64 v[4:5], v[2:3], 0, 16
	v_cmp_eq_u64_e64 s[4:5], s[42:43], v[46:47]
	s_and_b64 s[64:65], s[30:31], s[4:5]
	v_cmp_lt_i64_e64 s[4:5], v[4:5], v[28:29]
	v_cmp_le_i64_e64 s[14:15], s[34:35], v[4:5]
	s_or_b64 s[4:5], s[6:7], s[4:5]
	s_or_b64 s[4:5], s[14:15], s[4:5]
	s_nor_b64 s[4:5], s[4:5], s[64:65]
	v_lshl_add_u64 v[4:5], v[36:37], 0, v[34:35]
	s_and_saveexec_b64 s[68:69], s[4:5]
	s_xor_b64 s[4:5], exec, s[68:69]
	s_cbranch_execz .LBB91_17
; %bb.16:                               ;   in Loop: Header=BB91_7 Depth=2
	global_load_dwordx2 v[6:7], v[4:5], off
	s_waitcnt vmcnt(0)
	ds_write_b64 v55, v[6:7] offset:128
.LBB91_17:                              ;   in Loop: Header=BB91_7 Depth=2
	s_andn2_saveexec_b64 s[4:5], s[4:5]
	s_cbranch_execz .LBB91_23
; %bb.18:                               ;   in Loop: Header=BB91_7 Depth=2
	s_xor_b64 s[64:65], s[64:65], -1
	s_and_saveexec_b64 s[68:69], s[64:65]
	s_xor_b64 s[64:65], exec, s[68:69]
; %bb.19:                               ;   in Loop: Header=BB91_7 Depth=2
	ds_write_b64 v55, v[24:25] offset:128
; %bb.20:                               ;   in Loop: Header=BB91_7 Depth=2
	s_andn2_saveexec_b64 s[64:65], s[64:65]
; %bb.21:                               ;   in Loop: Header=BB91_7 Depth=2
	ds_write_b64 v55, v[26:27] offset:128
; %bb.22:                               ;   in Loop: Header=BB91_7 Depth=2
	s_or_b64 exec, exec, s[64:65]
.LBB91_23:                              ;   in Loop: Header=BB91_7 Depth=2
	s_or_b64 exec, exec, s[4:5]
	v_cmp_eq_u64_e64 s[4:5], s[42:43], v[44:45]
	s_and_b64 s[64:65], s[30:31], s[4:5]
	v_cmp_lt_i64_e64 s[4:5], v[2:3], v[42:43]
	s_or_b64 s[4:5], s[8:9], s[4:5]
	s_or_b64 s[4:5], s[4:5], s[64:65]
	s_nor_b64 s[4:5], s[12:13], s[4:5]
	s_and_saveexec_b64 s[12:13], s[4:5]
	s_xor_b64 s[4:5], exec, s[12:13]
	s_cbranch_execz .LBB91_25
; %bb.24:                               ;   in Loop: Header=BB91_7 Depth=2
	global_load_dwordx2 v[0:1], v[0:1], off offset:128
	s_waitcnt vmcnt(0)
	ds_write_b64 v55, v[0:1] offset:4096
.LBB91_25:                              ;   in Loop: Header=BB91_7 Depth=2
	s_andn2_saveexec_b64 s[4:5], s[4:5]
	s_cbranch_execz .LBB91_31
; %bb.26:                               ;   in Loop: Header=BB91_7 Depth=2
	s_xor_b64 s[12:13], s[64:65], -1
	s_and_saveexec_b64 s[64:65], s[12:13]
	s_xor_b64 s[12:13], exec, s[64:65]
; %bb.27:                               ;   in Loop: Header=BB91_7 Depth=2
	ds_write_b64 v55, v[24:25] offset:4096
; %bb.28:                               ;   in Loop: Header=BB91_7 Depth=2
	s_andn2_saveexec_b64 s[12:13], s[12:13]
; %bb.29:                               ;   in Loop: Header=BB91_7 Depth=2
	ds_write_b64 v55, v[26:27] offset:4096
; %bb.30:                               ;   in Loop: Header=BB91_7 Depth=2
	s_or_b64 exec, exec, s[12:13]
.LBB91_31:                              ;   in Loop: Header=BB91_7 Depth=2
	s_or_b64 exec, exec, s[4:5]
	s_or_b64 s[4:5], s[8:9], s[10:11]
	s_or_b64 s[4:5], s[14:15], s[4:5]
	s_nor_b64 s[4:5], s[4:5], s[50:51]
	s_and_saveexec_b64 s[10:11], s[4:5]
	s_xor_b64 s[4:5], exec, s[10:11]
	s_cbranch_execz .LBB91_33
; %bb.32:                               ;   in Loop: Header=BB91_7 Depth=2
	global_load_dwordx2 v[0:1], v[4:5], off offset:128
	s_waitcnt vmcnt(0)
	ds_write_b64 v55, v[0:1] offset:4224
.LBB91_33:                              ;   in Loop: Header=BB91_7 Depth=2
	s_andn2_saveexec_b64 s[4:5], s[4:5]
	s_cbranch_execz .LBB91_39
; %bb.34:                               ;   in Loop: Header=BB91_7 Depth=2
	s_and_saveexec_b64 s[10:11], s[46:47]
	s_xor_b64 s[10:11], exec, s[10:11]
; %bb.35:                               ;   in Loop: Header=BB91_7 Depth=2
	ds_write_b64 v55, v[24:25] offset:4224
; %bb.36:                               ;   in Loop: Header=BB91_7 Depth=2
	s_andn2_saveexec_b64 s[10:11], s[10:11]
; %bb.37:                               ;   in Loop: Header=BB91_7 Depth=2
	ds_write_b64 v55, v[26:27] offset:4224
; %bb.38:                               ;   in Loop: Header=BB91_7 Depth=2
	s_or_b64 exec, exec, s[10:11]
.LBB91_39:                              ;   in Loop: Header=BB91_7 Depth=2
	s_or_b64 exec, exec, s[4:5]
	v_lshl_add_u64 v[0:1], v[18:19], 0, s[42:43]
	v_cmp_le_i64_e64 s[10:11], s[34:35], v[0:1]
	v_lshl_add_u64 v[2:3], v[32:33], 0, v[48:49]
	s_nor_b64 s[12:13], s[10:11], vcc
	v_mov_b64_e32 v[4:5], 0
	s_and_saveexec_b64 s[4:5], s[12:13]
	s_cbranch_execz .LBB91_41
; %bb.40:                               ;   in Loop: Header=BB91_7 Depth=2
	global_load_dwordx2 v[4:5], v[2:3], off offset:-128
.LBB91_41:                              ;   in Loop: Header=BB91_7 Depth=2
	s_or_b64 exec, exec, s[4:5]
	s_nor_b64 s[4:5], s[10:11], s[0:1]
	s_waitcnt vmcnt(0)
	ds_write_b64 v59, v[4:5]
	s_and_saveexec_b64 s[10:11], s[4:5]
	s_xor_b64 s[4:5], exec, s[10:11]
	s_cbranch_execz .LBB91_43
; %bb.42:                               ;   in Loop: Header=BB91_7 Depth=2
	global_load_dwordx2 v[2:3], v[2:3], off
	s_waitcnt vmcnt(0)
	ds_write_b64 v59, v[2:3] offset:128
.LBB91_43:                              ;   in Loop: Header=BB91_7 Depth=2
	s_andn2_saveexec_b64 s[4:5], s[4:5]
; %bb.44:                               ;   in Loop: Header=BB91_7 Depth=2
	ds_write_b64 v59, v[24:25] offset:128
; %bb.45:                               ;   in Loop: Header=BB91_7 Depth=2
	s_or_b64 exec, exec, s[4:5]
	v_cmp_le_i64_e64 s[10:11], s[56:57], v[0:1]
	v_lshl_add_u64 v[0:1], v[40:41], 0, v[48:49]
	s_nor_b64 s[12:13], s[10:11], vcc
	v_mov_b64_e32 v[2:3], 0
	s_and_saveexec_b64 s[4:5], s[12:13]
	s_cbranch_execz .LBB91_47
; %bb.46:                               ;   in Loop: Header=BB91_7 Depth=2
	global_load_dwordx2 v[2:3], v[0:1], off
.LBB91_47:                              ;   in Loop: Header=BB91_7 Depth=2
	s_or_b64 exec, exec, s[4:5]
	s_nor_b64 s[4:5], s[10:11], s[0:1]
	s_waitcnt vmcnt(0)
	ds_write_b64 v59, v[2:3] offset:4096
	s_and_saveexec_b64 s[10:11], s[4:5]
	s_xor_b64 s[4:5], exec, s[10:11]
	s_cbranch_execz .LBB91_49
; %bb.48:                               ;   in Loop: Header=BB91_7 Depth=2
	global_load_dwordx2 v[0:1], v[0:1], off offset:128
	s_waitcnt vmcnt(0)
	ds_write_b64 v59, v[0:1] offset:4224
.LBB91_49:                              ;   in Loop: Header=BB91_7 Depth=2
	s_andn2_saveexec_b64 s[4:5], s[4:5]
	s_cbranch_execz .LBB91_6
; %bb.50:                               ;   in Loop: Header=BB91_7 Depth=2
	ds_write_b64 v59, v[24:25] offset:4224
	s_branch .LBB91_6
.LBB91_51:                              ;   in Loop: Header=BB91_4 Depth=1
	v_mov_b32_e32 v62, 0
	v_mov_b32_e32 v64, 0
	;; [unrolled: 1-line block ×8, first 2 shown]
.LBB91_52:                              ;   in Loop: Header=BB91_4 Depth=1
	v_mul_lo_u32 v2, s21, v28
	v_mul_lo_u32 v3, s20, v29
	v_mad_u64_u32 v[0:1], s[4:5], s20, v28, 0
	v_cmp_gt_i32_e64 s[6:7], s26, v28
	v_add3_u32 v1, v1, v3, v2
	v_lshl_add_u64 v[0:1], v[0:1], 3, s[22:23]
	s_and_b64 s[8:9], s[16:17], s[6:7]
	s_and_saveexec_b64 s[4:5], s[8:9]
	s_cbranch_execz .LBB91_54
; %bb.53:                               ;   in Loop: Header=BB91_4 Depth=1
	v_lshl_add_u64 v[2:3], v[12:13], 3, v[0:1]
	global_load_dwordx2 v[4:5], v[2:3], off
	v_pk_mul_f32 v[6:7], v[64:65], s[24:25] op_sel_hi:[0,1]
	v_pk_fma_f32 v[8:9], v[62:63], s[28:29], v[6:7] neg_lo:[0,0,1] neg_hi:[0,0,1]
	v_pk_fma_f32 v[6:7], v[62:63], s[28:29], v[6:7] op_sel_hi:[0,1,1]
	v_mov_b32_e32 v9, v7
	s_waitcnt vmcnt(0)
	v_pk_add_f32 v[4:5], v[4:5], v[8:9]
	global_store_dwordx2 v[2:3], v[4:5], off
.LBB91_54:                              ;   in Loop: Header=BB91_4 Depth=1
	s_or_b64 exec, exec, s[4:5]
	s_and_b64 s[6:7], s[18:19], s[6:7]
	s_and_saveexec_b64 s[4:5], s[6:7]
	s_cbranch_execz .LBB91_56
; %bb.55:                               ;   in Loop: Header=BB91_4 Depth=1
	v_lshl_add_u64 v[0:1], v[14:15], 3, v[0:1]
	global_load_dwordx2 v[2:3], v[0:1], off
	v_pk_mul_f32 v[4:5], v[60:61], s[24:25] op_sel_hi:[0,1]
	v_pk_fma_f32 v[6:7], v[58:59], s[28:29], v[4:5] neg_lo:[0,0,1] neg_hi:[0,0,1]
	v_pk_fma_f32 v[4:5], v[58:59], s[28:29], v[4:5] op_sel_hi:[0,1,1]
	v_mov_b32_e32 v7, v5
	s_waitcnt vmcnt(0)
	v_pk_add_f32 v[2:3], v[2:3], v[6:7]
	global_store_dwordx2 v[0:1], v[2:3], off
.LBB91_56:                              ;   in Loop: Header=BB91_4 Depth=1
	s_or_b64 exec, exec, s[4:5]
	v_add_u32_e32 v0, 16, v28
	v_ashrrev_i32_e32 v1, 31, v0
	v_cmp_gt_i32_e64 s[6:7], s26, v0
	v_mul_lo_u32 v2, s20, v1
	v_mul_lo_u32 v3, s21, v0
	v_mad_u64_u32 v[0:1], s[4:5], s20, v0, 0
	v_add3_u32 v1, v1, v2, v3
	v_lshl_add_u64 v[0:1], v[0:1], 3, s[22:23]
	s_and_b64 s[8:9], s[16:17], s[6:7]
	s_and_saveexec_b64 s[4:5], s[8:9]
	s_cbranch_execz .LBB91_58
; %bb.57:                               ;   in Loop: Header=BB91_4 Depth=1
	v_lshl_add_u64 v[2:3], v[12:13], 3, v[0:1]
	global_load_dwordx2 v[4:5], v[2:3], off
	v_pk_mul_f32 v[6:7], v[56:57], s[24:25] op_sel_hi:[0,1]
	v_pk_fma_f32 v[8:9], v[54:55], s[28:29], v[6:7] neg_lo:[0,0,1] neg_hi:[0,0,1]
	v_pk_fma_f32 v[6:7], v[54:55], s[28:29], v[6:7] op_sel_hi:[0,1,1]
	v_mov_b32_e32 v9, v7
	s_waitcnt vmcnt(0)
	v_pk_add_f32 v[4:5], v[4:5], v[8:9]
	global_store_dwordx2 v[2:3], v[4:5], off
.LBB91_58:                              ;   in Loop: Header=BB91_4 Depth=1
	s_or_b64 exec, exec, s[4:5]
	s_and_b64 s[6:7], s[18:19], s[6:7]
	s_and_saveexec_b64 s[4:5], s[6:7]
	s_cbranch_execz .LBB91_3
; %bb.59:                               ;   in Loop: Header=BB91_4 Depth=1
	v_lshl_add_u64 v[0:1], v[14:15], 3, v[0:1]
	global_load_dwordx2 v[2:3], v[0:1], off
	v_pk_mul_f32 v[4:5], v[50:51], s[24:25] op_sel_hi:[0,1]
	v_pk_fma_f32 v[6:7], v[52:53], s[28:29], v[4:5] neg_lo:[0,0,1] neg_hi:[0,0,1]
	v_pk_fma_f32 v[4:5], v[52:53], s[28:29], v[4:5] op_sel_hi:[0,1,1]
	v_mov_b32_e32 v7, v5
	s_waitcnt vmcnt(0)
	v_pk_add_f32 v[2:3], v[2:3], v[6:7]
	global_store_dwordx2 v[0:1], v[2:3], off
	s_branch .LBB91_3
.LBB91_60:
	s_endpgm
	.section	.rodata,"a",@progbits
	.p2align	6, 0x0
	.amdhsa_kernel _ZL30rocblas_trmm_outofplace_kernelI19rocblas_complex_numIfELi32ELi2ELb0ELb1ELb1ELb0ES1_KS1_S1_Ev17rocblas_diagonal_iiT6_lPT7_lllS6_lllPT8_llli
		.amdhsa_group_segment_fixed_size 16384
		.amdhsa_private_segment_fixed_size 0
		.amdhsa_kernarg_size 392
		.amdhsa_user_sgpr_count 2
		.amdhsa_user_sgpr_dispatch_ptr 0
		.amdhsa_user_sgpr_queue_ptr 0
		.amdhsa_user_sgpr_kernarg_segment_ptr 1
		.amdhsa_user_sgpr_dispatch_id 0
		.amdhsa_user_sgpr_kernarg_preload_length 0
		.amdhsa_user_sgpr_kernarg_preload_offset 0
		.amdhsa_user_sgpr_private_segment_size 0
		.amdhsa_uses_dynamic_stack 0
		.amdhsa_enable_private_segment 0
		.amdhsa_system_sgpr_workgroup_id_x 1
		.amdhsa_system_sgpr_workgroup_id_y 1
		.amdhsa_system_sgpr_workgroup_id_z 1
		.amdhsa_system_sgpr_workgroup_info 0
		.amdhsa_system_vgpr_workitem_id 1
		.amdhsa_next_free_vgpr 86
		.amdhsa_next_free_sgpr 70
		.amdhsa_accum_offset 88
		.amdhsa_reserve_vcc 1
		.amdhsa_float_round_mode_32 0
		.amdhsa_float_round_mode_16_64 0
		.amdhsa_float_denorm_mode_32 3
		.amdhsa_float_denorm_mode_16_64 3
		.amdhsa_dx10_clamp 1
		.amdhsa_ieee_mode 1
		.amdhsa_fp16_overflow 0
		.amdhsa_tg_split 0
		.amdhsa_exception_fp_ieee_invalid_op 0
		.amdhsa_exception_fp_denorm_src 0
		.amdhsa_exception_fp_ieee_div_zero 0
		.amdhsa_exception_fp_ieee_overflow 0
		.amdhsa_exception_fp_ieee_underflow 0
		.amdhsa_exception_fp_ieee_inexact 0
		.amdhsa_exception_int_div_zero 0
	.end_amdhsa_kernel
	.section	.text._ZL30rocblas_trmm_outofplace_kernelI19rocblas_complex_numIfELi32ELi2ELb0ELb1ELb1ELb0ES1_KS1_S1_Ev17rocblas_diagonal_iiT6_lPT7_lllS6_lllPT8_llli,"axG",@progbits,_ZL30rocblas_trmm_outofplace_kernelI19rocblas_complex_numIfELi32ELi2ELb0ELb1ELb1ELb0ES1_KS1_S1_Ev17rocblas_diagonal_iiT6_lPT7_lllS6_lllPT8_llli,comdat
.Lfunc_end91:
	.size	_ZL30rocblas_trmm_outofplace_kernelI19rocblas_complex_numIfELi32ELi2ELb0ELb1ELb1ELb0ES1_KS1_S1_Ev17rocblas_diagonal_iiT6_lPT7_lllS6_lllPT8_llli, .Lfunc_end91-_ZL30rocblas_trmm_outofplace_kernelI19rocblas_complex_numIfELi32ELi2ELb0ELb1ELb1ELb0ES1_KS1_S1_Ev17rocblas_diagonal_iiT6_lPT7_lllS6_lllPT8_llli
                                        ; -- End function
	.set _ZL30rocblas_trmm_outofplace_kernelI19rocblas_complex_numIfELi32ELi2ELb0ELb1ELb1ELb0ES1_KS1_S1_Ev17rocblas_diagonal_iiT6_lPT7_lllS6_lllPT8_llli.num_vgpr, 86
	.set _ZL30rocblas_trmm_outofplace_kernelI19rocblas_complex_numIfELi32ELi2ELb0ELb1ELb1ELb0ES1_KS1_S1_Ev17rocblas_diagonal_iiT6_lPT7_lllS6_lllPT8_llli.num_agpr, 0
	.set _ZL30rocblas_trmm_outofplace_kernelI19rocblas_complex_numIfELi32ELi2ELb0ELb1ELb1ELb0ES1_KS1_S1_Ev17rocblas_diagonal_iiT6_lPT7_lllS6_lllPT8_llli.numbered_sgpr, 70
	.set _ZL30rocblas_trmm_outofplace_kernelI19rocblas_complex_numIfELi32ELi2ELb0ELb1ELb1ELb0ES1_KS1_S1_Ev17rocblas_diagonal_iiT6_lPT7_lllS6_lllPT8_llli.num_named_barrier, 0
	.set _ZL30rocblas_trmm_outofplace_kernelI19rocblas_complex_numIfELi32ELi2ELb0ELb1ELb1ELb0ES1_KS1_S1_Ev17rocblas_diagonal_iiT6_lPT7_lllS6_lllPT8_llli.private_seg_size, 0
	.set _ZL30rocblas_trmm_outofplace_kernelI19rocblas_complex_numIfELi32ELi2ELb0ELb1ELb1ELb0ES1_KS1_S1_Ev17rocblas_diagonal_iiT6_lPT7_lllS6_lllPT8_llli.uses_vcc, 1
	.set _ZL30rocblas_trmm_outofplace_kernelI19rocblas_complex_numIfELi32ELi2ELb0ELb1ELb1ELb0ES1_KS1_S1_Ev17rocblas_diagonal_iiT6_lPT7_lllS6_lllPT8_llli.uses_flat_scratch, 0
	.set _ZL30rocblas_trmm_outofplace_kernelI19rocblas_complex_numIfELi32ELi2ELb0ELb1ELb1ELb0ES1_KS1_S1_Ev17rocblas_diagonal_iiT6_lPT7_lllS6_lllPT8_llli.has_dyn_sized_stack, 0
	.set _ZL30rocblas_trmm_outofplace_kernelI19rocblas_complex_numIfELi32ELi2ELb0ELb1ELb1ELb0ES1_KS1_S1_Ev17rocblas_diagonal_iiT6_lPT7_lllS6_lllPT8_llli.has_recursion, 0
	.set _ZL30rocblas_trmm_outofplace_kernelI19rocblas_complex_numIfELi32ELi2ELb0ELb1ELb1ELb0ES1_KS1_S1_Ev17rocblas_diagonal_iiT6_lPT7_lllS6_lllPT8_llli.has_indirect_call, 0
	.section	.AMDGPU.csdata,"",@progbits
; Kernel info:
; codeLenInByte = 6280
; TotalNumSgprs: 76
; NumVgprs: 86
; NumAgprs: 0
; TotalNumVgprs: 86
; ScratchSize: 0
; MemoryBound: 1
; FloatMode: 240
; IeeeMode: 1
; LDSByteSize: 16384 bytes/workgroup (compile time only)
; SGPRBlocks: 9
; VGPRBlocks: 10
; NumSGPRsForWavesPerEU: 76
; NumVGPRsForWavesPerEU: 86
; AccumOffset: 88
; Occupancy: 5
; WaveLimiterHint : 0
; COMPUTE_PGM_RSRC2:SCRATCH_EN: 0
; COMPUTE_PGM_RSRC2:USER_SGPR: 2
; COMPUTE_PGM_RSRC2:TRAP_HANDLER: 0
; COMPUTE_PGM_RSRC2:TGID_X_EN: 1
; COMPUTE_PGM_RSRC2:TGID_Y_EN: 1
; COMPUTE_PGM_RSRC2:TGID_Z_EN: 1
; COMPUTE_PGM_RSRC2:TIDIG_COMP_CNT: 1
; COMPUTE_PGM_RSRC3_GFX90A:ACCUM_OFFSET: 21
; COMPUTE_PGM_RSRC3_GFX90A:TG_SPLIT: 0
	.section	.text._ZL30rocblas_trmm_outofplace_kernelI19rocblas_complex_numIfELi32ELi2ELb0ELb0ELb1ELb1EPKS1_S2_S1_Ev17rocblas_diagonal_iiT6_lPT7_lllS7_lllPT8_llli,"axG",@progbits,_ZL30rocblas_trmm_outofplace_kernelI19rocblas_complex_numIfELi32ELi2ELb0ELb0ELb1ELb1EPKS1_S2_S1_Ev17rocblas_diagonal_iiT6_lPT7_lllS7_lllPT8_llli,comdat
	.globl	_ZL30rocblas_trmm_outofplace_kernelI19rocblas_complex_numIfELi32ELi2ELb0ELb0ELb1ELb1EPKS1_S2_S1_Ev17rocblas_diagonal_iiT6_lPT7_lllS7_lllPT8_llli ; -- Begin function _ZL30rocblas_trmm_outofplace_kernelI19rocblas_complex_numIfELi32ELi2ELb0ELb0ELb1ELb1EPKS1_S2_S1_Ev17rocblas_diagonal_iiT6_lPT7_lllS7_lllPT8_llli
	.p2align	8
	.type	_ZL30rocblas_trmm_outofplace_kernelI19rocblas_complex_numIfELi32ELi2ELb0ELb0ELb1ELb1EPKS1_S2_S1_Ev17rocblas_diagonal_iiT6_lPT7_lllS7_lllPT8_llli,@function
_ZL30rocblas_trmm_outofplace_kernelI19rocblas_complex_numIfELi32ELi2ELb0ELb0ELb1ELb1EPKS1_S2_S1_Ev17rocblas_diagonal_iiT6_lPT7_lllS7_lllPT8_llli: ; @_ZL30rocblas_trmm_outofplace_kernelI19rocblas_complex_numIfELi32ELi2ELb0ELb0ELb1ELb1EPKS1_S2_S1_Ev17rocblas_diagonal_iiT6_lPT7_lllS7_lllPT8_llli
; %bb.0:
	s_load_dwordx16 s[16:31], s[0:1], 0x10
	s_waitcnt lgkmcnt(0)
	s_mul_i32 s5, s19, s4
	s_mul_hi_u32 s6, s18, s4
	s_add_i32 s7, s6, s5
	s_mul_i32 s6, s18, s4
	s_lshl_b64 s[6:7], s[6:7], 3
	s_add_u32 s6, s16, s6
	s_addc_u32 s7, s17, s7
	s_load_dwordx2 s[34:35], s[6:7], 0x0
	s_waitcnt lgkmcnt(0)
	s_or_b32 s5, s34, s35
	s_bitset0_b32 s5, 31
	s_cmp_eq_u32 s5, 0
	s_cbranch_scc1 .LBB92_59
; %bb.1:
	s_load_dwordx4 s[36:39], s[0:1], 0x0
	s_waitcnt lgkmcnt(0)
	s_add_i32 s5, s38, -1
	s_ashr_i32 s6, s5, 31
	s_lshr_b32 s6, s6, 27
	s_add_i32 s5, s5, s6
	s_ashr_i32 s33, s5, 5
	s_cmp_gt_i32 s3, s33
	s_cbranch_scc1 .LBB92_59
; %bb.2:
	s_mul_i32 s5, s27, s4
	s_mul_hi_u32 s6, s26, s4
	s_load_dwordx8 s[8:15], s[0:1], 0x50
	s_load_dwordx4 s[40:43], s[0:1], 0x70
	s_add_i32 s7, s6, s5
	s_mul_i32 s6, s26, s4
	s_lshl_b64 s[18:19], s[6:7], 3
	s_add_u32 s5, s20, s18
	s_addc_u32 s7, s21, s19
	s_lshl_b64 s[44:45], s[22:23], 3
	s_add_u32 s6, s5, s44
	s_waitcnt lgkmcnt(0)
	s_mul_i32 s5, s11, s4
	s_mul_hi_u32 s11, s10, s4
	s_addc_u32 s7, s7, s45
	s_add_i32 s11, s11, s5
	s_mul_i32 s10, s10, s4
	s_lshl_b64 s[10:11], s[10:11], 3
	s_add_u32 s5, s28, s10
	s_addc_u32 s16, s29, s11
	s_lshl_b64 s[10:11], s[30:31], 3
	s_add_u32 s10, s5, s10
	s_load_dword s48, s[0:1], 0x8c
	s_mul_i32 s0, s43, s4
	s_mul_hi_u32 s1, s42, s4
	s_addc_u32 s11, s16, s11
	s_add_i32 s1, s1, s0
	s_mul_i32 s0, s42, s4
	s_lshl_b64 s[0:1], s[0:1], 3
	s_add_u32 s4, s12, s0
	s_addc_u32 s5, s13, s1
	s_lshl_b64 s[0:1], s[14:15], 3
	s_add_u32 s22, s4, s0
	v_and_b32_e32 v14, 0x3ff, v0
	v_bfe_u32 v12, v0, 10, 10
	s_addc_u32 s23, s5, s1
	v_mad_u64_u32 v[0:1], s[0:1], s24, v14, 0
	v_mov_b32_e32 v2, v1
	v_mad_u64_u32 v[2:3], s[0:1], s25, v14, v[2:3]
	s_cmpk_eq_i32 s36, 0x84
	v_mov_b32_e32 v1, v2
	s_cselect_b64 s[26:27], -1, 0
	s_ashr_i32 s39, s38, 31
	s_ashr_i32 s0, s37, 31
	s_lshl_b64 s[28:29], s[24:25], 8
	s_lshl_b64 s[30:31], s[8:9], 8
	v_lshl_add_u64 v[18:19], v[0:1], 3, s[6:7]
	s_add_u32 s42, s38, -16
	v_sub_co_u32_e64 v24, s[6:7], 0, v14
	v_lshl_add_u32 v16, s2, 5, v14
	s_addc_u32 s43, s39, -1
	v_subb_co_u32_e64 v25, s[6:7], 0, 0, s[6:7]
	s_waitcnt lgkmcnt(0)
	s_lshl_b32 s2, s48, 5
	s_add_u32 s6, s20, s44
	s_addc_u32 s7, s21, s45
	v_ashrrev_i32_e32 v17, 31, v16
	v_mov_b32_e32 v1, s0
	v_sub_co_u32_e32 v0, vcc, s37, v16
	s_add_u32 s6, s6, s18
	v_lshlrev_b32_e32 v55, 8, v12
	v_lshlrev_b32_e32 v2, 3, v14
	v_subb_co_u32_e32 v1, vcc, v1, v17, vcc
	s_addc_u32 s7, s7, s19
	v_add_u32_e32 v57, v55, v2
	v_or_b32_e32 v59, 0x2000, v2
	v_cmp_gt_i64_e32 vcc, 1, v[0:1]
	v_cmp_gt_i64_e64 s[0:1], 17, v[0:1]
	v_add_u32_e32 v2, 0x80, v2
	v_mov_b64_e32 v[0:1], s[6:7]
	v_mad_u64_u32 v[28:29], s[6:7], s24, v2, v[0:1]
	v_mov_b32_e32 v0, v29
	v_mad_u64_u32 v[0:1], s[6:7], s25, v2, v[0:1]
	v_mov_b32_e32 v29, v0
	;; [unrolled: 2-line block ×4, first 2 shown]
	v_mov_b64_e32 v[2:3], 0x80
	v_lshl_add_u64 v[30:31], v[0:1], 3, v[2:3]
	v_mov_b32_e32 v0, 0x80
	v_lshl_add_u32 v1, v12, 3, v0
	v_mad_u64_u32 v[32:33], s[6:7], s8, v1, 0
	v_mov_b32_e32 v0, v33
	v_mov_b32_e32 v15, 0
	v_add_u32_e32 v22, 16, v16
	v_mad_u64_u32 v[0:1], s[6:7], s9, v1, v[0:1]
	v_mov_b32_e32 v13, v15
	v_lshl_add_u64 v[20:21], v[16:17], 3, s[10:11]
	v_add_u32_e32 v61, v59, v55
	v_cmp_gt_i32_e64 s[16:17], s37, v16
	v_cmp_gt_i32_e64 s[4:5], s37, v22
	v_ashrrev_i32_e32 v23, 31, v22
	s_mov_b32 s36, s35
	s_mov_b32 s37, s34
	v_lshl_add_u32 v26, s3, 5, v12
	v_mov_b32_e32 v33, v0
	v_mov_b32_e32 v70, v15
	;; [unrolled: 1-line block ×3, first 2 shown]
	v_mov_b32_e32 v34, 1.0
	v_mov_b32_e32 v35, v15
	v_add_u32_e32 v63, 0x800, v59
	v_add_u32_e32 v65, 0x1000, v59
	;; [unrolled: 1-line block ×3, first 2 shown]
	s_branch .LBB92_4
.LBB92_3:                               ;   in Loop: Header=BB92_4 Depth=1
	s_or_b64 exec, exec, s[6:7]
	s_add_i32 s3, s48, s3
	s_cmp_le_i32 s3, s33
	v_add_u32_e32 v26, s2, v26
	s_cbranch_scc0 .LBB92_59
.LBB92_4:                               ; =>This Loop Header: Depth=1
                                        ;     Child Loop BB92_7 Depth 2
	s_lshl_b32 s49, s3, 5
	v_add_u32_e32 v36, s49, v12
	v_ashrrev_i32_e32 v37, 31, v36
	s_cmp_lt_i32 s3, 0
	v_mov_b32_e32 v66, 0
	v_mov_b32_e32 v68, 0
	;; [unrolled: 1-line block ×8, first 2 shown]
	s_cbranch_scc1 .LBB92_51
; %bb.5:                                ;   in Loop: Header=BB92_4 Depth=1
	v_ashrrev_i32_e32 v27, 31, v26
	v_lshl_add_u64 v[38:39], v[24:25], 0, v[26:27]
	v_lshl_add_u64 v[42:43], v[36:37], 0, 16
	v_lshlrev_b64 v[40:41], 3, v[26:27]
	v_cmp_le_i32_e64 s[6:7], s38, v36
	v_cmp_le_i64_e64 s[8:9], s[38:39], v[42:43]
	v_lshl_add_u64 v[44:45], v[38:39], 0, 16
	v_lshl_add_u64 v[46:47], v[38:39], 0, -16
	v_mov_b32_e32 v54, 0
	s_mov_b64 s[20:21], 0
	v_mov_b64_e32 v[48:49], v[20:21]
	v_mov_b64_e32 v[50:51], v[18:19]
	;; [unrolled: 1-line block ×3, first 2 shown]
	v_mov_b32_e32 v56, 0
	v_mov_b32_e32 v60, 0
	;; [unrolled: 1-line block ×7, first 2 shown]
	s_branch .LBB92_7
.LBB92_6:                               ;   in Loop: Header=BB92_7 Depth=2
	s_or_b64 exec, exec, s[10:11]
	s_waitcnt lgkmcnt(0)
	s_barrier
	ds_read2_b64 v[72:75], v59 offset1:16
	ds_read_b128 v[76:79], v55
	ds_read_b128 v[8:11], v55 offset:16
	ds_read_b128 v[4:7], v55 offset:32
	;; [unrolled: 1-line block ×5, first 2 shown]
	s_waitcnt lgkmcnt(5)
	v_mul_f32_e32 v27, v77, v73
	v_mul_f32_e32 v69, v76, v73
	v_fma_f32 v27, v76, v72, -v27
	v_fmac_f32_e32 v69, v77, v72
	v_add_f32_e32 v27, v66, v27
	v_add_f32_e32 v66, v68, v69
	v_mul_f32_e32 v68, v77, v75
	v_fma_f32 v68, v76, v74, -v68
	ds_read2_b64 v[88:91], v59 offset0:32 offset1:48
	v_add_f32_e32 v62, v62, v68
	s_waitcnt lgkmcnt(2)
	v_mul_f32_e32 v68, v81, v73
	v_mul_f32_e32 v69, v76, v75
	v_fma_f32 v68, v80, v72, -v68
	v_fmac_f32_e32 v69, v77, v74
	v_add_f32_e32 v58, v58, v68
	v_mul_f32_e32 v68, v81, v75
	v_add_f32_e32 v64, v64, v69
	v_mul_f32_e32 v69, v80, v73
	v_fma_f32 v68, v80, v74, -v68
	v_fmac_f32_e32 v69, v81, v72
	v_add_f32_e32 v56, v56, v68
	s_waitcnt lgkmcnt(0)
	v_mul_f32_e32 v68, v79, v89
	v_add_f32_e32 v60, v60, v69
	v_mul_f32_e32 v69, v80, v75
	v_fma_f32 v68, v78, v88, -v68
	v_fmac_f32_e32 v69, v81, v74
	v_add_f32_e32 v27, v27, v68
	v_mul_f32_e32 v68, v79, v91
	v_add_f32_e32 v54, v54, v69
	v_mul_f32_e32 v69, v78, v89
	v_fma_f32 v68, v78, v90, -v68
	ds_read2_b64 v[72:75], v59 offset0:64 offset1:80
	v_fmac_f32_e32 v69, v79, v88
	v_add_f32_e32 v62, v62, v68
	v_mul_f32_e32 v68, v83, v89
	v_add_f32_e32 v66, v66, v69
	v_mul_f32_e32 v69, v78, v91
	v_fma_f32 v68, v82, v88, -v68
	v_fmac_f32_e32 v69, v79, v90
	v_add_f32_e32 v58, v58, v68
	v_mul_f32_e32 v68, v83, v91
	v_add_f32_e32 v64, v64, v69
	v_mul_f32_e32 v69, v82, v89
	v_fma_f32 v68, v82, v90, -v68
	v_fmac_f32_e32 v69, v83, v88
	v_add_f32_e32 v56, v56, v68
	s_waitcnt lgkmcnt(0)
	v_mul_f32_e32 v68, v9, v73
	v_add_f32_e32 v60, v60, v69
	v_mul_f32_e32 v69, v82, v91
	v_fma_f32 v68, v8, v72, -v68
	v_fmac_f32_e32 v69, v83, v90
	v_add_f32_e32 v27, v27, v68
	v_mul_f32_e32 v68, v9, v75
	v_add_f32_e32 v54, v54, v69
	v_mul_f32_e32 v69, v8, v73
	v_fma_f32 v68, v8, v74, -v68
	v_mul_f32_e32 v8, v8, v75
	v_fmac_f32_e32 v8, v9, v74
	ds_read2_b64 v[76:79], v59 offset0:96 offset1:112
	v_fmac_f32_e32 v69, v9, v72
	v_add_f32_e32 v9, v62, v68
	v_add_f32_e32 v8, v64, v8
	v_mul_f32_e32 v62, v85, v73
	v_mul_f32_e32 v64, v84, v73
	v_fma_f32 v62, v84, v72, -v62
	v_fmac_f32_e32 v64, v85, v72
	v_add_f32_e32 v58, v58, v62
	v_add_f32_e32 v60, v60, v64
	v_mul_f32_e32 v62, v85, v75
	v_mul_f32_e32 v64, v84, v75
	v_fma_f32 v62, v84, v74, -v62
	v_fmac_f32_e32 v64, v85, v74
	v_add_f32_e32 v56, v56, v62
	v_add_f32_e32 v54, v54, v64
	s_waitcnt lgkmcnt(0)
	v_mul_f32_e32 v62, v11, v77
	v_mul_f32_e32 v64, v10, v77
	v_add_f32_e32 v66, v66, v69
	v_fma_f32 v62, v10, v76, -v62
	v_fmac_f32_e32 v64, v11, v76
	v_add_f32_e32 v27, v27, v62
	v_add_f32_e32 v62, v66, v64
	v_mul_f32_e32 v64, v11, v79
	v_fma_f32 v64, v10, v78, -v64
	v_mul_f32_e32 v10, v10, v79
	v_fmac_f32_e32 v10, v11, v78
	v_add_f32_e32 v66, v8, v10
	v_mul_f32_e32 v8, v87, v77
	v_add_f32_e32 v64, v9, v64
	v_fma_f32 v8, v86, v76, -v8
	v_mul_f32_e32 v9, v86, v77
	v_fmac_f32_e32 v9, v87, v76
	v_add_f32_e32 v58, v58, v8
	v_mul_f32_e32 v8, v87, v79
	v_add_f32_e32 v60, v60, v9
	v_fma_f32 v68, v86, v78, -v8
	ds_read2_b64 v[8:11], v59 offset0:128 offset1:144
	ds_read_b128 v[72:75], v55 offset:4128
	v_add_f32_e32 v56, v56, v68
	v_mul_f32_e32 v69, v86, v79
	v_fmac_f32_e32 v69, v87, v78
	s_waitcnt lgkmcnt(1)
	v_mul_f32_e32 v68, v5, v9
	v_fma_f32 v68, v4, v8, -v68
	v_add_f32_e32 v27, v27, v68
	v_mul_f32_e32 v68, v5, v11
	v_add_f32_e32 v54, v54, v69
	v_mul_f32_e32 v69, v4, v9
	v_fma_f32 v68, v4, v10, -v68
	v_mul_f32_e32 v4, v4, v11
	ds_read2_b64 v[80:83], v59 offset0:160 offset1:176
	v_fmac_f32_e32 v69, v5, v8
	v_fmac_f32_e32 v4, v5, v10
	v_add_f32_e32 v5, v64, v68
	ds_read_b128 v[76:79], v55 offset:4144
	s_waitcnt lgkmcnt(2)
	v_mul_f32_e32 v64, v73, v9
	v_fma_f32 v64, v72, v8, -v64
	v_mul_f32_e32 v9, v72, v9
	v_fmac_f32_e32 v9, v73, v8
	v_add_f32_e32 v8, v58, v64
	v_mul_f32_e32 v58, v73, v11
	v_mul_f32_e32 v11, v72, v11
	v_fma_f32 v58, v72, v10, -v58
	v_fmac_f32_e32 v11, v73, v10
	v_add_f32_e32 v10, v56, v58
	v_add_f32_e32 v11, v54, v11
	s_waitcnt lgkmcnt(1)
	v_mul_f32_e32 v54, v7, v81
	v_mul_f32_e32 v56, v6, v81
	v_add_f32_e32 v62, v62, v69
	v_fma_f32 v54, v6, v80, -v54
	v_fmac_f32_e32 v56, v7, v80
	v_add_f32_e32 v27, v27, v54
	v_add_f32_e32 v54, v62, v56
	v_mul_f32_e32 v56, v7, v83
	v_fma_f32 v56, v6, v82, -v56
	v_mul_f32_e32 v6, v6, v83
	v_add_f32_e32 v4, v66, v4
	v_fmac_f32_e32 v6, v7, v82
	v_add_f32_e32 v58, v4, v6
	v_mul_f32_e32 v4, v75, v81
	v_add_f32_e32 v56, v5, v56
	v_fma_f32 v4, v74, v80, -v4
	v_mul_f32_e32 v5, v74, v81
	v_add_f32_e32 v9, v60, v9
	v_fmac_f32_e32 v5, v75, v80
	v_add_f32_e32 v8, v8, v4
	v_mul_f32_e32 v4, v75, v83
	v_add_f32_e32 v9, v9, v5
	v_fma_f32 v60, v74, v82, -v4
	ds_read2_b64 v[4:7], v59 offset0:192 offset1:208
	v_add_f32_e32 v60, v10, v60
	v_mul_f32_e32 v62, v74, v83
	v_fmac_f32_e32 v62, v75, v82
	v_add_f32_e32 v62, v11, v62
	s_waitcnt lgkmcnt(0)
	v_mul_f32_e32 v10, v1, v5
	v_fma_f32 v10, v0, v4, -v10
	v_add_f32_e32 v27, v27, v10
	v_mul_f32_e32 v10, v1, v7
	v_mul_f32_e32 v11, v0, v5
	v_fma_f32 v10, v0, v6, -v10
	v_mul_f32_e32 v0, v0, v7
	v_fmac_f32_e32 v11, v1, v4
	v_fmac_f32_e32 v0, v1, v6
	v_add_f32_e32 v1, v56, v10
	v_mul_f32_e32 v10, v77, v5
	v_fma_f32 v10, v76, v4, -v10
	v_mul_f32_e32 v5, v76, v5
	v_fmac_f32_e32 v5, v77, v4
	v_add_f32_e32 v4, v8, v10
	v_mul_f32_e32 v8, v77, v7
	v_add_f32_e32 v54, v54, v11
	v_add_f32_e32 v5, v9, v5
	v_fma_f32 v56, v76, v6, -v8
	ds_read2_b64 v[8:11], v59 offset0:224 offset1:240
	v_mul_f32_e32 v7, v76, v7
	v_fmac_f32_e32 v7, v77, v6
	v_add_f32_e32 v0, v58, v0
	v_add_f32_e32 v58, v62, v7
	s_waitcnt lgkmcnt(0)
	v_mul_f32_e32 v6, v3, v9
	v_fma_f32 v6, v2, v8, -v6
	v_add_f32_e32 v27, v27, v6
	v_mul_f32_e32 v6, v3, v11
	v_mul_f32_e32 v7, v2, v9
	v_fma_f32 v6, v2, v10, -v6
	v_mul_f32_e32 v2, v2, v11
	v_fmac_f32_e32 v2, v3, v10
	v_add_f32_e32 v62, v0, v2
	v_mul_f32_e32 v0, v79, v9
	v_add_f32_e32 v56, v60, v56
	v_add_f32_e32 v60, v1, v6
	v_fma_f32 v0, v78, v8, -v0
	v_mul_f32_e32 v1, v78, v9
	v_fmac_f32_e32 v7, v3, v8
	v_fmac_f32_e32 v1, v79, v8
	v_add_f32_e32 v64, v4, v0
	v_mul_f32_e32 v0, v79, v11
	v_add_f32_e32 v54, v54, v7
	v_add_f32_e32 v66, v5, v1
	v_fma_f32 v8, v78, v10, -v0
	ds_read_b128 v[0:3], v55 offset:64
	ds_read2_b64 v[4:7], v63 offset1:16
	v_mul_f32_e32 v9, v78, v11
	v_fmac_f32_e32 v9, v79, v10
	v_add_f32_e32 v56, v56, v8
	v_add_f32_e32 v58, v58, v9
	ds_read_b128 v[8:11], v55 offset:80
	ds_read_b128 v[72:75], v55 offset:4160
	s_waitcnt lgkmcnt(2)
	v_mul_f32_e32 v68, v1, v5
	v_fma_f32 v68, v0, v4, -v68
	v_add_f32_e32 v27, v27, v68
	v_mul_f32_e32 v68, v1, v7
	v_mul_f32_e32 v69, v0, v5
	v_fma_f32 v68, v0, v6, -v68
	v_mul_f32_e32 v0, v0, v7
	ds_read2_b64 v[80:83], v63 offset0:32 offset1:48
	v_fmac_f32_e32 v69, v1, v4
	v_fmac_f32_e32 v0, v1, v6
	v_add_f32_e32 v1, v60, v68
	s_waitcnt lgkmcnt(1)
	v_mul_f32_e32 v60, v73, v5
	v_fma_f32 v60, v72, v4, -v60
	v_mul_f32_e32 v5, v72, v5
	v_fmac_f32_e32 v5, v73, v4
	v_add_f32_e32 v4, v64, v60
	v_mul_f32_e32 v60, v73, v7
	v_fma_f32 v60, v72, v6, -v60
	v_mul_f32_e32 v7, v72, v7
	v_fmac_f32_e32 v7, v73, v6
	v_add_f32_e32 v6, v56, v60
	s_waitcnt lgkmcnt(0)
	v_mul_f32_e32 v56, v3, v81
	v_fma_f32 v56, v2, v80, -v56
	v_add_f32_e32 v27, v27, v56
	v_mul_f32_e32 v56, v3, v83
	v_add_f32_e32 v7, v58, v7
	v_mul_f32_e32 v58, v2, v81
	v_fma_f32 v56, v2, v82, -v56
	v_mul_f32_e32 v2, v2, v83
	v_add_f32_e32 v54, v54, v69
	v_add_f32_e32 v0, v62, v0
	v_fmac_f32_e32 v58, v3, v80
	v_fmac_f32_e32 v2, v3, v82
	v_add_f32_e32 v54, v54, v58
	v_add_f32_e32 v58, v0, v2
	v_mul_f32_e32 v0, v75, v81
	v_add_f32_e32 v56, v1, v56
	v_fma_f32 v0, v74, v80, -v0
	v_mul_f32_e32 v1, v74, v81
	v_add_f32_e32 v5, v66, v5
	v_fmac_f32_e32 v1, v75, v80
	v_add_f32_e32 v4, v4, v0
	v_mul_f32_e32 v0, v75, v83
	v_add_f32_e32 v5, v5, v1
	v_fma_f32 v60, v74, v82, -v0
	ds_read2_b64 v[0:3], v63 offset0:64 offset1:80
	ds_read_b128 v[76:79], v55 offset:4176
	v_mul_f32_e32 v62, v74, v83
	v_add_f32_e32 v60, v6, v60
	v_fmac_f32_e32 v62, v75, v82
	s_waitcnt lgkmcnt(1)
	v_mul_f32_e32 v6, v9, v1
	v_fma_f32 v6, v8, v0, -v6
	v_add_f32_e32 v62, v7, v62
	v_mul_f32_e32 v7, v8, v1
	v_add_f32_e32 v27, v27, v6
	v_mul_f32_e32 v6, v9, v3
	v_fmac_f32_e32 v7, v9, v0
	v_fma_f32 v6, v8, v2, -v6
	v_add_f32_e32 v54, v54, v7
	v_mul_f32_e32 v7, v8, v3
	v_add_f32_e32 v8, v56, v6
	s_waitcnt lgkmcnt(0)
	v_mul_f32_e32 v6, v77, v1
	v_fma_f32 v6, v76, v0, -v6
	v_mul_f32_e32 v1, v76, v1
	v_fmac_f32_e32 v7, v9, v2
	v_fmac_f32_e32 v1, v77, v0
	v_add_f32_e32 v0, v4, v6
	v_mul_f32_e32 v4, v77, v3
	v_add_f32_e32 v9, v58, v7
	v_add_f32_e32 v1, v5, v1
	v_fma_f32 v56, v76, v2, -v4
	ds_read2_b64 v[4:7], v63 offset0:96 offset1:112
	v_mul_f32_e32 v3, v76, v3
	v_fmac_f32_e32 v3, v77, v2
	v_add_f32_e32 v58, v62, v3
	v_add_f32_e32 v56, v60, v56
	s_waitcnt lgkmcnt(0)
	v_mul_f32_e32 v2, v11, v5
	v_fma_f32 v2, v10, v4, -v2
	v_mul_f32_e32 v3, v10, v5
	v_fmac_f32_e32 v3, v11, v4
	v_add_f32_e32 v27, v27, v2
	v_mul_f32_e32 v2, v11, v7
	v_add_f32_e32 v54, v54, v3
	v_fma_f32 v2, v10, v6, -v2
	v_mul_f32_e32 v3, v10, v7
	v_fmac_f32_e32 v3, v11, v6
	v_add_f32_e32 v60, v8, v2
	v_mul_f32_e32 v2, v79, v5
	v_add_f32_e32 v62, v9, v3
	;; [unrolled: 6-line block ×3, first 2 shown]
	v_fma_f32 v4, v78, v6, -v0
	ds_read_b128 v[0:3], v55 offset:96
	ds_read2_b64 v[8:11], v63 offset0:128 offset1:144
	v_mul_f32_e32 v5, v78, v7
	v_fmac_f32_e32 v5, v79, v6
	v_add_f32_e32 v56, v56, v4
	v_add_f32_e32 v58, v58, v5
	ds_read_b128 v[4:7], v55 offset:112
	ds_read_b128 v[72:75], v55 offset:4192
	s_waitcnt lgkmcnt(2)
	v_mul_f32_e32 v68, v1, v9
	v_fma_f32 v68, v0, v8, -v68
	v_add_f32_e32 v27, v27, v68
	v_mul_f32_e32 v68, v1, v11
	v_mul_f32_e32 v69, v0, v9
	v_fma_f32 v68, v0, v10, -v68
	v_mul_f32_e32 v0, v0, v11
	ds_read2_b64 v[80:83], v63 offset0:160 offset1:176
	v_fmac_f32_e32 v69, v1, v8
	v_fmac_f32_e32 v0, v1, v10
	v_add_f32_e32 v1, v60, v68
	s_waitcnt lgkmcnt(1)
	v_mul_f32_e32 v60, v73, v9
	v_fma_f32 v60, v72, v8, -v60
	v_mul_f32_e32 v9, v72, v9
	v_fmac_f32_e32 v9, v73, v8
	v_add_f32_e32 v8, v64, v60
	v_mul_f32_e32 v60, v73, v11
	v_fma_f32 v60, v72, v10, -v60
	v_mul_f32_e32 v11, v72, v11
	v_fmac_f32_e32 v11, v73, v10
	v_add_f32_e32 v10, v56, v60
	s_waitcnt lgkmcnt(0)
	v_mul_f32_e32 v56, v3, v81
	v_fma_f32 v56, v2, v80, -v56
	v_add_f32_e32 v27, v27, v56
	v_mul_f32_e32 v56, v3, v83
	v_add_f32_e32 v11, v58, v11
	v_mul_f32_e32 v58, v2, v81
	v_fma_f32 v56, v2, v82, -v56
	v_mul_f32_e32 v2, v2, v83
	v_add_f32_e32 v54, v54, v69
	v_add_f32_e32 v0, v62, v0
	v_fmac_f32_e32 v58, v3, v80
	v_fmac_f32_e32 v2, v3, v82
	v_add_f32_e32 v54, v54, v58
	v_add_f32_e32 v58, v0, v2
	v_mul_f32_e32 v0, v75, v81
	v_add_f32_e32 v56, v1, v56
	v_fma_f32 v0, v74, v80, -v0
	v_mul_f32_e32 v1, v74, v81
	v_add_f32_e32 v9, v66, v9
	v_fmac_f32_e32 v1, v75, v80
	v_add_f32_e32 v8, v8, v0
	v_mul_f32_e32 v0, v75, v83
	v_add_f32_e32 v9, v9, v1
	v_fma_f32 v60, v74, v82, -v0
	ds_read2_b64 v[0:3], v63 offset0:192 offset1:208
	ds_read_b128 v[76:79], v55 offset:4208
	v_add_f32_e32 v60, v10, v60
	v_mul_f32_e32 v62, v74, v83
	v_fmac_f32_e32 v62, v75, v82
	s_waitcnt lgkmcnt(1)
	v_mul_f32_e32 v10, v5, v1
	v_fma_f32 v10, v4, v0, -v10
	v_add_f32_e32 v27, v27, v10
	v_mul_f32_e32 v10, v5, v3
	v_add_f32_e32 v62, v11, v62
	v_mul_f32_e32 v11, v4, v1
	v_fma_f32 v10, v4, v2, -v10
	v_mul_f32_e32 v4, v4, v3
	v_fmac_f32_e32 v11, v5, v0
	v_fmac_f32_e32 v4, v5, v2
	v_add_f32_e32 v5, v56, v10
	s_waitcnt lgkmcnt(0)
	v_mul_f32_e32 v10, v77, v1
	v_fma_f32 v10, v76, v0, -v10
	v_mul_f32_e32 v1, v76, v1
	v_fmac_f32_e32 v1, v77, v0
	v_add_f32_e32 v0, v8, v10
	v_mul_f32_e32 v8, v77, v3
	v_add_f32_e32 v54, v54, v11
	v_add_f32_e32 v1, v9, v1
	v_fma_f32 v56, v76, v2, -v8
	ds_read2_b64 v[8:11], v63 offset0:224 offset1:240
	v_mul_f32_e32 v3, v76, v3
	v_fmac_f32_e32 v3, v77, v2
	v_add_f32_e32 v4, v58, v4
	v_add_f32_e32 v58, v62, v3
	s_waitcnt lgkmcnt(0)
	v_mul_f32_e32 v2, v7, v9
	v_fma_f32 v2, v6, v8, -v2
	v_mul_f32_e32 v3, v6, v9
	v_fmac_f32_e32 v3, v7, v8
	v_add_f32_e32 v27, v27, v2
	v_mul_f32_e32 v2, v7, v11
	v_add_f32_e32 v54, v54, v3
	v_fma_f32 v2, v6, v10, -v2
	v_mul_f32_e32 v3, v6, v11
	v_add_f32_e32 v56, v60, v56
	v_fmac_f32_e32 v3, v7, v10
	v_add_f32_e32 v60, v5, v2
	v_mul_f32_e32 v2, v79, v9
	v_add_f32_e32 v62, v4, v3
	v_fma_f32 v2, v78, v8, -v2
	v_mul_f32_e32 v3, v78, v9
	v_fmac_f32_e32 v3, v79, v8
	v_add_f32_e32 v64, v0, v2
	v_mul_f32_e32 v0, v79, v11
	v_add_f32_e32 v66, v1, v3
	v_fma_f32 v8, v78, v10, -v0
	ds_read_b128 v[0:3], v55 offset:128
	ds_read2_b64 v[4:7], v65 offset1:16
	v_mul_f32_e32 v9, v78, v11
	v_fmac_f32_e32 v9, v79, v10
	v_add_f32_e32 v56, v56, v8
	v_add_f32_e32 v58, v58, v9
	ds_read_b128 v[8:11], v55 offset:144
	ds_read_b128 v[72:75], v55 offset:4224
	s_waitcnt lgkmcnt(2)
	v_mul_f32_e32 v68, v1, v5
	v_fma_f32 v68, v0, v4, -v68
	v_add_f32_e32 v27, v27, v68
	v_mul_f32_e32 v68, v1, v7
	v_mul_f32_e32 v69, v0, v5
	v_fma_f32 v68, v0, v6, -v68
	v_mul_f32_e32 v0, v0, v7
	ds_read2_b64 v[80:83], v65 offset0:32 offset1:48
	v_fmac_f32_e32 v69, v1, v4
	v_fmac_f32_e32 v0, v1, v6
	v_add_f32_e32 v1, v60, v68
	s_waitcnt lgkmcnt(1)
	v_mul_f32_e32 v60, v73, v5
	v_fma_f32 v60, v72, v4, -v60
	v_mul_f32_e32 v5, v72, v5
	v_fmac_f32_e32 v5, v73, v4
	v_add_f32_e32 v4, v64, v60
	v_mul_f32_e32 v60, v73, v7
	v_fma_f32 v60, v72, v6, -v60
	v_mul_f32_e32 v7, v72, v7
	v_fmac_f32_e32 v7, v73, v6
	v_add_f32_e32 v6, v56, v60
	s_waitcnt lgkmcnt(0)
	v_mul_f32_e32 v56, v3, v81
	v_fma_f32 v56, v2, v80, -v56
	v_add_f32_e32 v27, v27, v56
	v_mul_f32_e32 v56, v3, v83
	v_add_f32_e32 v7, v58, v7
	v_mul_f32_e32 v58, v2, v81
	v_fma_f32 v56, v2, v82, -v56
	v_mul_f32_e32 v2, v2, v83
	v_add_f32_e32 v54, v54, v69
	v_add_f32_e32 v0, v62, v0
	v_fmac_f32_e32 v58, v3, v80
	v_fmac_f32_e32 v2, v3, v82
	v_add_f32_e32 v54, v54, v58
	v_add_f32_e32 v58, v0, v2
	v_mul_f32_e32 v0, v75, v81
	v_add_f32_e32 v56, v1, v56
	v_fma_f32 v0, v74, v80, -v0
	v_mul_f32_e32 v1, v74, v81
	v_add_f32_e32 v5, v66, v5
	v_fmac_f32_e32 v1, v75, v80
	v_add_f32_e32 v4, v4, v0
	v_mul_f32_e32 v0, v75, v83
	v_add_f32_e32 v5, v5, v1
	v_fma_f32 v60, v74, v82, -v0
	ds_read2_b64 v[0:3], v65 offset0:64 offset1:80
	ds_read_b128 v[76:79], v55 offset:4240
	v_mul_f32_e32 v62, v74, v83
	v_add_f32_e32 v60, v6, v60
	v_fmac_f32_e32 v62, v75, v82
	s_waitcnt lgkmcnt(1)
	v_mul_f32_e32 v6, v9, v1
	v_fma_f32 v6, v8, v0, -v6
	v_add_f32_e32 v62, v7, v62
	v_mul_f32_e32 v7, v8, v1
	v_add_f32_e32 v27, v27, v6
	v_mul_f32_e32 v6, v9, v3
	v_fmac_f32_e32 v7, v9, v0
	v_fma_f32 v6, v8, v2, -v6
	v_add_f32_e32 v54, v54, v7
	v_mul_f32_e32 v7, v8, v3
	v_add_f32_e32 v8, v56, v6
	s_waitcnt lgkmcnt(0)
	v_mul_f32_e32 v6, v77, v1
	v_fma_f32 v6, v76, v0, -v6
	v_mul_f32_e32 v1, v76, v1
	v_fmac_f32_e32 v7, v9, v2
	v_fmac_f32_e32 v1, v77, v0
	v_add_f32_e32 v0, v4, v6
	v_mul_f32_e32 v4, v77, v3
	v_add_f32_e32 v9, v58, v7
	v_add_f32_e32 v1, v5, v1
	v_fma_f32 v56, v76, v2, -v4
	ds_read2_b64 v[4:7], v65 offset0:96 offset1:112
	v_mul_f32_e32 v3, v76, v3
	v_fmac_f32_e32 v3, v77, v2
	v_add_f32_e32 v58, v62, v3
	v_add_f32_e32 v56, v60, v56
	s_waitcnt lgkmcnt(0)
	v_mul_f32_e32 v2, v11, v5
	v_fma_f32 v2, v10, v4, -v2
	v_mul_f32_e32 v3, v10, v5
	v_fmac_f32_e32 v3, v11, v4
	v_add_f32_e32 v27, v27, v2
	v_mul_f32_e32 v2, v11, v7
	v_add_f32_e32 v54, v54, v3
	v_fma_f32 v2, v10, v6, -v2
	v_mul_f32_e32 v3, v10, v7
	v_fmac_f32_e32 v3, v11, v6
	v_add_f32_e32 v60, v8, v2
	v_mul_f32_e32 v2, v79, v5
	v_add_f32_e32 v62, v9, v3
	v_fma_f32 v2, v78, v4, -v2
	v_mul_f32_e32 v3, v78, v5
	v_fmac_f32_e32 v3, v79, v4
	v_add_f32_e32 v64, v0, v2
	v_mul_f32_e32 v0, v79, v7
	v_add_f32_e32 v66, v1, v3
	v_fma_f32 v4, v78, v6, -v0
	ds_read_b128 v[0:3], v55 offset:160
	ds_read2_b64 v[8:11], v65 offset0:128 offset1:144
	v_mul_f32_e32 v5, v78, v7
	v_fmac_f32_e32 v5, v79, v6
	v_add_f32_e32 v56, v56, v4
	v_add_f32_e32 v58, v58, v5
	ds_read_b128 v[4:7], v55 offset:176
	ds_read_b128 v[72:75], v55 offset:4256
	s_waitcnt lgkmcnt(2)
	v_mul_f32_e32 v68, v1, v9
	v_fma_f32 v68, v0, v8, -v68
	v_add_f32_e32 v27, v27, v68
	v_mul_f32_e32 v68, v1, v11
	v_mul_f32_e32 v69, v0, v9
	v_fma_f32 v68, v0, v10, -v68
	v_mul_f32_e32 v0, v0, v11
	ds_read2_b64 v[80:83], v65 offset0:160 offset1:176
	v_fmac_f32_e32 v69, v1, v8
	v_fmac_f32_e32 v0, v1, v10
	v_add_f32_e32 v1, v60, v68
	s_waitcnt lgkmcnt(1)
	v_mul_f32_e32 v60, v73, v9
	v_fma_f32 v60, v72, v8, -v60
	v_mul_f32_e32 v9, v72, v9
	v_fmac_f32_e32 v9, v73, v8
	v_add_f32_e32 v8, v64, v60
	v_mul_f32_e32 v60, v73, v11
	v_fma_f32 v60, v72, v10, -v60
	v_mul_f32_e32 v11, v72, v11
	v_fmac_f32_e32 v11, v73, v10
	v_add_f32_e32 v10, v56, v60
	s_waitcnt lgkmcnt(0)
	v_mul_f32_e32 v56, v3, v81
	v_fma_f32 v56, v2, v80, -v56
	v_add_f32_e32 v27, v27, v56
	v_mul_f32_e32 v56, v3, v83
	v_add_f32_e32 v11, v58, v11
	v_mul_f32_e32 v58, v2, v81
	v_fma_f32 v56, v2, v82, -v56
	v_mul_f32_e32 v2, v2, v83
	v_add_f32_e32 v54, v54, v69
	v_add_f32_e32 v0, v62, v0
	v_fmac_f32_e32 v58, v3, v80
	v_fmac_f32_e32 v2, v3, v82
	v_add_f32_e32 v54, v54, v58
	v_add_f32_e32 v58, v0, v2
	v_mul_f32_e32 v0, v75, v81
	v_add_f32_e32 v56, v1, v56
	v_fma_f32 v0, v74, v80, -v0
	v_mul_f32_e32 v1, v74, v81
	v_add_f32_e32 v9, v66, v9
	v_fmac_f32_e32 v1, v75, v80
	v_add_f32_e32 v8, v8, v0
	v_mul_f32_e32 v0, v75, v83
	v_add_f32_e32 v9, v9, v1
	v_fma_f32 v60, v74, v82, -v0
	ds_read2_b64 v[0:3], v65 offset0:192 offset1:208
	ds_read_b128 v[76:79], v55 offset:4272
	v_add_f32_e32 v60, v10, v60
	v_mul_f32_e32 v62, v74, v83
	v_fmac_f32_e32 v62, v75, v82
	s_waitcnt lgkmcnt(1)
	v_mul_f32_e32 v10, v5, v1
	v_fma_f32 v10, v4, v0, -v10
	v_add_f32_e32 v27, v27, v10
	v_mul_f32_e32 v10, v5, v3
	v_add_f32_e32 v62, v11, v62
	v_mul_f32_e32 v11, v4, v1
	v_fma_f32 v10, v4, v2, -v10
	v_mul_f32_e32 v4, v4, v3
	v_fmac_f32_e32 v11, v5, v0
	v_fmac_f32_e32 v4, v5, v2
	v_add_f32_e32 v5, v56, v10
	s_waitcnt lgkmcnt(0)
	v_mul_f32_e32 v10, v77, v1
	v_fma_f32 v10, v76, v0, -v10
	v_mul_f32_e32 v1, v76, v1
	v_fmac_f32_e32 v1, v77, v0
	v_add_f32_e32 v0, v8, v10
	v_mul_f32_e32 v8, v77, v3
	v_add_f32_e32 v54, v54, v11
	v_add_f32_e32 v1, v9, v1
	v_fma_f32 v56, v76, v2, -v8
	ds_read2_b64 v[8:11], v65 offset0:224 offset1:240
	v_mul_f32_e32 v3, v76, v3
	v_fmac_f32_e32 v3, v77, v2
	v_add_f32_e32 v4, v58, v4
	v_add_f32_e32 v58, v62, v3
	s_waitcnt lgkmcnt(0)
	v_mul_f32_e32 v2, v7, v9
	v_fma_f32 v2, v6, v8, -v2
	v_mul_f32_e32 v3, v6, v9
	v_fmac_f32_e32 v3, v7, v8
	v_add_f32_e32 v27, v27, v2
	v_mul_f32_e32 v2, v7, v11
	v_add_f32_e32 v54, v54, v3
	v_fma_f32 v2, v6, v10, -v2
	v_mul_f32_e32 v3, v6, v11
	v_add_f32_e32 v56, v60, v56
	v_fmac_f32_e32 v3, v7, v10
	v_add_f32_e32 v60, v5, v2
	v_mul_f32_e32 v2, v79, v9
	v_add_f32_e32 v62, v4, v3
	v_fma_f32 v2, v78, v8, -v2
	v_mul_f32_e32 v3, v78, v9
	v_fmac_f32_e32 v3, v79, v8
	v_add_f32_e32 v64, v0, v2
	v_mul_f32_e32 v0, v79, v11
	v_add_f32_e32 v66, v1, v3
	v_fma_f32 v8, v78, v10, -v0
	ds_read_b128 v[0:3], v55 offset:192
	ds_read2_b64 v[4:7], v67 offset1:16
	v_mul_f32_e32 v9, v78, v11
	v_fmac_f32_e32 v9, v79, v10
	v_add_f32_e32 v56, v56, v8
	v_add_f32_e32 v58, v58, v9
	ds_read_b128 v[8:11], v55 offset:208
	ds_read_b128 v[72:75], v55 offset:4288
	s_waitcnt lgkmcnt(2)
	v_mul_f32_e32 v68, v1, v5
	v_fma_f32 v68, v0, v4, -v68
	v_add_f32_e32 v27, v27, v68
	v_mul_f32_e32 v68, v1, v7
	v_mul_f32_e32 v69, v0, v5
	v_fma_f32 v68, v0, v6, -v68
	v_mul_f32_e32 v0, v0, v7
	ds_read2_b64 v[80:83], v67 offset0:32 offset1:48
	v_fmac_f32_e32 v69, v1, v4
	v_fmac_f32_e32 v0, v1, v6
	v_add_f32_e32 v1, v60, v68
	s_waitcnt lgkmcnt(1)
	v_mul_f32_e32 v60, v73, v5
	v_fma_f32 v60, v72, v4, -v60
	v_mul_f32_e32 v5, v72, v5
	v_fmac_f32_e32 v5, v73, v4
	v_add_f32_e32 v4, v64, v60
	v_mul_f32_e32 v60, v73, v7
	v_fma_f32 v60, v72, v6, -v60
	v_mul_f32_e32 v7, v72, v7
	v_fmac_f32_e32 v7, v73, v6
	v_add_f32_e32 v6, v56, v60
	s_waitcnt lgkmcnt(0)
	v_mul_f32_e32 v56, v3, v81
	v_fma_f32 v56, v2, v80, -v56
	v_add_f32_e32 v27, v27, v56
	v_mul_f32_e32 v56, v3, v83
	v_add_f32_e32 v7, v58, v7
	v_mul_f32_e32 v58, v2, v81
	v_fma_f32 v56, v2, v82, -v56
	v_mul_f32_e32 v2, v2, v83
	v_add_f32_e32 v54, v54, v69
	v_add_f32_e32 v0, v62, v0
	v_fmac_f32_e32 v58, v3, v80
	v_fmac_f32_e32 v2, v3, v82
	v_add_f32_e32 v54, v54, v58
	v_add_f32_e32 v58, v0, v2
	v_mul_f32_e32 v0, v75, v81
	v_add_f32_e32 v56, v1, v56
	v_fma_f32 v0, v74, v80, -v0
	v_mul_f32_e32 v1, v74, v81
	v_add_f32_e32 v5, v66, v5
	v_fmac_f32_e32 v1, v75, v80
	v_add_f32_e32 v4, v4, v0
	v_mul_f32_e32 v0, v75, v83
	v_add_f32_e32 v5, v5, v1
	v_fma_f32 v60, v74, v82, -v0
	ds_read2_b64 v[0:3], v67 offset0:64 offset1:80
	ds_read_b128 v[76:79], v55 offset:4304
	v_mul_f32_e32 v62, v74, v83
	v_add_f32_e32 v60, v6, v60
	v_fmac_f32_e32 v62, v75, v82
	s_waitcnt lgkmcnt(1)
	v_mul_f32_e32 v6, v9, v1
	v_fma_f32 v6, v8, v0, -v6
	v_add_f32_e32 v62, v7, v62
	v_mul_f32_e32 v7, v8, v1
	v_add_f32_e32 v27, v27, v6
	v_mul_f32_e32 v6, v9, v3
	v_fmac_f32_e32 v7, v9, v0
	v_fma_f32 v6, v8, v2, -v6
	v_add_f32_e32 v54, v54, v7
	v_mul_f32_e32 v7, v8, v3
	v_add_f32_e32 v8, v56, v6
	s_waitcnt lgkmcnt(0)
	v_mul_f32_e32 v6, v77, v1
	v_fma_f32 v6, v76, v0, -v6
	v_mul_f32_e32 v1, v76, v1
	v_fmac_f32_e32 v7, v9, v2
	v_fmac_f32_e32 v1, v77, v0
	v_add_f32_e32 v0, v4, v6
	v_mul_f32_e32 v4, v77, v3
	v_add_f32_e32 v9, v58, v7
	v_add_f32_e32 v1, v5, v1
	v_fma_f32 v56, v76, v2, -v4
	ds_read2_b64 v[4:7], v67 offset0:96 offset1:112
	v_mul_f32_e32 v3, v76, v3
	v_fmac_f32_e32 v3, v77, v2
	v_add_f32_e32 v58, v62, v3
	v_add_f32_e32 v56, v60, v56
	s_waitcnt lgkmcnt(0)
	v_mul_f32_e32 v2, v11, v5
	v_fma_f32 v2, v10, v4, -v2
	v_mul_f32_e32 v3, v10, v5
	v_fmac_f32_e32 v3, v11, v4
	v_add_f32_e32 v27, v27, v2
	v_mul_f32_e32 v2, v11, v7
	v_add_f32_e32 v54, v54, v3
	v_fma_f32 v2, v10, v6, -v2
	v_mul_f32_e32 v3, v10, v7
	v_fmac_f32_e32 v3, v11, v6
	v_add_f32_e32 v60, v8, v2
	v_mul_f32_e32 v2, v79, v5
	v_add_f32_e32 v62, v9, v3
	;; [unrolled: 6-line block ×3, first 2 shown]
	v_fma_f32 v4, v78, v6, -v0
	ds_read_b128 v[0:3], v55 offset:224
	ds_read2_b64 v[8:11], v67 offset0:128 offset1:144
	v_mul_f32_e32 v5, v78, v7
	v_fmac_f32_e32 v5, v79, v6
	v_add_f32_e32 v56, v56, v4
	v_add_f32_e32 v58, v58, v5
	ds_read_b128 v[4:7], v55 offset:240
	ds_read_b128 v[72:75], v55 offset:4320
	s_waitcnt lgkmcnt(2)
	v_mul_f32_e32 v68, v1, v9
	v_fma_f32 v68, v0, v8, -v68
	v_add_f32_e32 v27, v27, v68
	v_mul_f32_e32 v68, v1, v11
	v_mul_f32_e32 v69, v0, v9
	v_fma_f32 v68, v0, v10, -v68
	v_mul_f32_e32 v0, v0, v11
	ds_read2_b64 v[80:83], v67 offset0:160 offset1:176
	v_fmac_f32_e32 v69, v1, v8
	v_fmac_f32_e32 v0, v1, v10
	v_add_f32_e32 v1, v60, v68
	s_waitcnt lgkmcnt(1)
	v_mul_f32_e32 v60, v73, v9
	v_fma_f32 v60, v72, v8, -v60
	v_mul_f32_e32 v9, v72, v9
	v_fmac_f32_e32 v9, v73, v8
	v_add_f32_e32 v8, v64, v60
	v_mul_f32_e32 v60, v73, v11
	v_fma_f32 v60, v72, v10, -v60
	v_mul_f32_e32 v11, v72, v11
	v_fmac_f32_e32 v11, v73, v10
	v_add_f32_e32 v10, v56, v60
	s_waitcnt lgkmcnt(0)
	v_mul_f32_e32 v56, v3, v81
	v_fma_f32 v56, v2, v80, -v56
	v_add_f32_e32 v27, v27, v56
	v_mul_f32_e32 v56, v3, v83
	v_add_f32_e32 v11, v58, v11
	v_mul_f32_e32 v58, v2, v81
	v_fma_f32 v56, v2, v82, -v56
	v_mul_f32_e32 v2, v2, v83
	v_add_f32_e32 v54, v54, v69
	v_add_f32_e32 v0, v62, v0
	v_fmac_f32_e32 v58, v3, v80
	v_fmac_f32_e32 v2, v3, v82
	v_add_f32_e32 v54, v54, v58
	v_add_f32_e32 v58, v0, v2
	v_mul_f32_e32 v0, v75, v81
	v_add_f32_e32 v56, v1, v56
	v_fma_f32 v0, v74, v80, -v0
	v_mul_f32_e32 v1, v74, v81
	v_add_f32_e32 v9, v66, v9
	v_fmac_f32_e32 v1, v75, v80
	v_add_f32_e32 v8, v8, v0
	v_mul_f32_e32 v0, v75, v83
	v_add_f32_e32 v9, v9, v1
	v_fma_f32 v60, v74, v82, -v0
	ds_read2_b64 v[0:3], v67 offset0:192 offset1:208
	ds_read_b128 v[76:79], v55 offset:4336
	v_add_f32_e32 v60, v10, v60
	v_mul_f32_e32 v62, v74, v83
	v_fmac_f32_e32 v62, v75, v82
	s_waitcnt lgkmcnt(1)
	v_mul_f32_e32 v10, v5, v1
	v_fma_f32 v10, v4, v0, -v10
	v_add_f32_e32 v27, v27, v10
	v_mul_f32_e32 v10, v5, v3
	v_add_f32_e32 v62, v11, v62
	v_mul_f32_e32 v11, v4, v1
	v_fma_f32 v10, v4, v2, -v10
	v_mul_f32_e32 v4, v4, v3
	v_fmac_f32_e32 v11, v5, v0
	v_fmac_f32_e32 v4, v5, v2
	v_add_f32_e32 v5, v56, v10
	s_waitcnt lgkmcnt(0)
	v_mul_f32_e32 v10, v77, v1
	v_fma_f32 v10, v76, v0, -v10
	v_mul_f32_e32 v1, v76, v1
	v_fmac_f32_e32 v1, v77, v0
	v_add_f32_e32 v0, v8, v10
	v_mul_f32_e32 v8, v77, v3
	v_add_f32_e32 v54, v54, v11
	v_add_f32_e32 v1, v9, v1
	v_fma_f32 v56, v76, v2, -v8
	ds_read2_b64 v[8:11], v67 offset0:224 offset1:240
	v_mul_f32_e32 v3, v76, v3
	v_fmac_f32_e32 v3, v77, v2
	v_add_f32_e32 v2, v60, v56
	v_add_f32_e32 v4, v58, v4
	s_waitcnt lgkmcnt(0)
	v_mul_f32_e32 v56, v7, v9
	v_fma_f32 v56, v6, v8, -v56
	v_add_f32_e32 v66, v27, v56
	v_mul_f32_e32 v27, v7, v11
	v_mul_f32_e32 v58, v6, v9
	v_fma_f32 v27, v6, v10, -v27
	v_mul_f32_e32 v6, v6, v11
	v_fmac_f32_e32 v6, v7, v10
	v_add_f32_e32 v3, v62, v3
	v_add_f32_e32 v62, v5, v27
	;; [unrolled: 1-line block ×3, first 2 shown]
	v_mul_f32_e32 v4, v79, v9
	v_mul_f32_e32 v5, v78, v9
	v_fmac_f32_e32 v58, v7, v8
	v_fma_f32 v4, v78, v8, -v4
	v_fmac_f32_e32 v5, v79, v8
	v_add_f32_e32 v68, v54, v58
	v_add_f32_e32 v58, v0, v4
	;; [unrolled: 1-line block ×3, first 2 shown]
	v_mul_f32_e32 v0, v79, v11
	v_mul_f32_e32 v1, v78, v11
	s_add_u32 s20, s20, 32
	v_fma_f32 v0, v78, v10, -v0
	v_fmac_f32_e32 v1, v79, v10
	s_addc_u32 s21, s21, 0
	s_sub_i32 s10, s20, 32
	v_add_f32_e32 v56, v2, v0
	v_add_f32_e32 v54, v3, v1
	v_lshl_add_u64 v[52:53], v[52:53], 0, s[28:29]
	v_lshl_add_u64 v[50:51], v[50:51], 0, s[28:29]
	s_cmp_ge_i32 s10, s49
	v_lshl_add_u64 v[48:49], v[48:49], 0, s[30:31]
	s_barrier
	s_cbranch_scc1 .LBB92_51
.LBB92_7:                               ;   Parent Loop BB92_4 Depth=1
                                        ; =>  This Inner Loop Header: Depth=2
	v_lshl_add_u64 v[2:3], v[14:15], 0, s[20:21]
	v_cmp_eq_u64_e64 s[10:11], s[20:21], v[38:39]
	s_and_b64 s[44:45], s[26:27], s[10:11]
	v_cmp_gt_i64_e64 s[10:11], v[2:3], v[36:37]
	s_or_b64 s[14:15], s[6:7], s[10:11]
	v_cmp_le_i64_e64 s[12:13], s[38:39], v[2:3]
	s_or_b64 s[14:15], s[14:15], s[44:45]
	v_lshl_add_u64 v[0:1], v[50:51], 0, v[40:41]
	s_nor_b64 s[14:15], s[12:13], s[14:15]
	s_and_saveexec_b64 s[18:19], s[14:15]
	s_xor_b64 s[14:15], exec, s[18:19]
	s_cbranch_execz .LBB92_9
; %bb.8:                                ;   in Loop: Header=BB92_7 Depth=2
	global_load_dwordx2 v[4:5], v[0:1], off
	s_waitcnt vmcnt(0)
	v_xor_b32_e32 v5, 0x80000000, v5
	ds_write_b64 v57, v[4:5]
.LBB92_9:                               ;   in Loop: Header=BB92_7 Depth=2
	s_or_saveexec_b64 s[14:15], s[14:15]
	s_xor_b64 s[24:25], s[44:45], -1
	s_xor_b64 exec, exec, s[14:15]
	s_cbranch_execz .LBB92_15
; %bb.10:                               ;   in Loop: Header=BB92_7 Depth=2
	s_and_saveexec_b64 s[18:19], s[24:25]
	s_xor_b64 s[18:19], exec, s[18:19]
; %bb.11:                               ;   in Loop: Header=BB92_7 Depth=2
	ds_write_b64 v57, v[70:71]
; %bb.12:                               ;   in Loop: Header=BB92_7 Depth=2
	s_andn2_saveexec_b64 s[18:19], s[18:19]
; %bb.13:                               ;   in Loop: Header=BB92_7 Depth=2
	ds_write_b64 v57, v[34:35]
; %bb.14:                               ;   in Loop: Header=BB92_7 Depth=2
	s_or_b64 exec, exec, s[18:19]
.LBB92_15:                              ;   in Loop: Header=BB92_7 Depth=2
	s_or_b64 exec, exec, s[14:15]
	v_lshl_add_u64 v[4:5], v[2:3], 0, 16
	v_cmp_eq_u64_e64 s[14:15], s[20:21], v[46:47]
	v_cmp_gt_i64_e64 s[18:19], v[4:5], v[36:37]
	s_and_b64 s[46:47], s[26:27], s[14:15]
	s_or_b64 s[18:19], s[6:7], s[18:19]
	v_cmp_le_i64_e64 s[14:15], s[38:39], v[4:5]
	s_or_b64 s[18:19], s[18:19], s[46:47]
	s_nor_b64 s[18:19], s[14:15], s[18:19]
	v_lshl_add_u64 v[4:5], v[52:53], 0, v[40:41]
	s_and_saveexec_b64 s[50:51], s[18:19]
	s_xor_b64 s[18:19], exec, s[50:51]
	s_cbranch_execz .LBB92_17
; %bb.16:                               ;   in Loop: Header=BB92_7 Depth=2
	global_load_dwordx2 v[6:7], v[4:5], off
	s_waitcnt vmcnt(0)
	v_xor_b32_e32 v7, 0x80000000, v7
	ds_write_b64 v57, v[6:7] offset:128
.LBB92_17:                              ;   in Loop: Header=BB92_7 Depth=2
	s_andn2_saveexec_b64 s[18:19], s[18:19]
	s_cbranch_execz .LBB92_23
; %bb.18:                               ;   in Loop: Header=BB92_7 Depth=2
	s_xor_b64 s[46:47], s[46:47], -1
	s_and_saveexec_b64 s[50:51], s[46:47]
	s_xor_b64 s[46:47], exec, s[50:51]
; %bb.19:                               ;   in Loop: Header=BB92_7 Depth=2
	ds_write_b64 v57, v[70:71] offset:128
; %bb.20:                               ;   in Loop: Header=BB92_7 Depth=2
	s_andn2_saveexec_b64 s[46:47], s[46:47]
; %bb.21:                               ;   in Loop: Header=BB92_7 Depth=2
	ds_write_b64 v57, v[34:35] offset:128
; %bb.22:                               ;   in Loop: Header=BB92_7 Depth=2
	s_or_b64 exec, exec, s[46:47]
.LBB92_23:                              ;   in Loop: Header=BB92_7 Depth=2
	s_or_b64 exec, exec, s[18:19]
	v_cmp_eq_u64_e64 s[18:19], s[20:21], v[44:45]
	s_and_b64 s[46:47], s[26:27], s[18:19]
	v_cmp_gt_i64_e64 s[18:19], v[2:3], v[42:43]
	s_or_b64 s[18:19], s[8:9], s[18:19]
	s_or_b64 s[18:19], s[18:19], s[46:47]
	s_nor_b64 s[12:13], s[12:13], s[18:19]
	s_and_saveexec_b64 s[18:19], s[12:13]
	s_xor_b64 s[12:13], exec, s[18:19]
	s_cbranch_execz .LBB92_25
; %bb.24:                               ;   in Loop: Header=BB92_7 Depth=2
	global_load_dwordx2 v[0:1], v[0:1], off offset:128
	s_waitcnt vmcnt(0)
	v_xor_b32_e32 v1, 0x80000000, v1
	ds_write_b64 v57, v[0:1] offset:4096
.LBB92_25:                              ;   in Loop: Header=BB92_7 Depth=2
	s_andn2_saveexec_b64 s[12:13], s[12:13]
	s_cbranch_execz .LBB92_31
; %bb.26:                               ;   in Loop: Header=BB92_7 Depth=2
	s_xor_b64 s[18:19], s[46:47], -1
	s_and_saveexec_b64 s[46:47], s[18:19]
	s_xor_b64 s[18:19], exec, s[46:47]
; %bb.27:                               ;   in Loop: Header=BB92_7 Depth=2
	ds_write_b64 v57, v[70:71] offset:4096
; %bb.28:                               ;   in Loop: Header=BB92_7 Depth=2
	s_andn2_saveexec_b64 s[18:19], s[18:19]
; %bb.29:                               ;   in Loop: Header=BB92_7 Depth=2
	ds_write_b64 v57, v[34:35] offset:4096
; %bb.30:                               ;   in Loop: Header=BB92_7 Depth=2
	s_or_b64 exec, exec, s[18:19]
.LBB92_31:                              ;   in Loop: Header=BB92_7 Depth=2
	s_or_b64 exec, exec, s[12:13]
	s_or_b64 s[10:11], s[8:9], s[10:11]
	s_or_b64 s[10:11], s[10:11], s[44:45]
	s_nor_b64 s[10:11], s[14:15], s[10:11]
	s_and_saveexec_b64 s[12:13], s[10:11]
	s_xor_b64 s[10:11], exec, s[12:13]
	s_cbranch_execz .LBB92_33
; %bb.32:                               ;   in Loop: Header=BB92_7 Depth=2
	global_load_dwordx2 v[0:1], v[4:5], off offset:128
	s_waitcnt vmcnt(0)
	v_xor_b32_e32 v1, 0x80000000, v1
	ds_write_b64 v57, v[0:1] offset:4224
.LBB92_33:                              ;   in Loop: Header=BB92_7 Depth=2
	s_andn2_saveexec_b64 s[10:11], s[10:11]
	s_cbranch_execz .LBB92_39
; %bb.34:                               ;   in Loop: Header=BB92_7 Depth=2
	s_and_saveexec_b64 s[12:13], s[24:25]
	s_xor_b64 s[12:13], exec, s[12:13]
; %bb.35:                               ;   in Loop: Header=BB92_7 Depth=2
	ds_write_b64 v57, v[70:71] offset:4224
; %bb.36:                               ;   in Loop: Header=BB92_7 Depth=2
	s_andn2_saveexec_b64 s[12:13], s[12:13]
; %bb.37:                               ;   in Loop: Header=BB92_7 Depth=2
	ds_write_b64 v57, v[34:35] offset:4224
; %bb.38:                               ;   in Loop: Header=BB92_7 Depth=2
	s_or_b64 exec, exec, s[12:13]
.LBB92_39:                              ;   in Loop: Header=BB92_7 Depth=2
	s_or_b64 exec, exec, s[10:11]
	v_lshl_add_u64 v[0:1], v[12:13], 0, s[20:21]
	v_cmp_le_i64_e64 s[10:11], s[38:39], v[0:1]
	v_lshl_add_u64 v[2:3], v[48:49], 0, v[30:31]
	s_nor_b64 s[14:15], s[10:11], vcc
	v_mov_b64_e32 v[4:5], 0
	s_and_saveexec_b64 s[12:13], s[14:15]
	s_cbranch_execz .LBB92_41
; %bb.40:                               ;   in Loop: Header=BB92_7 Depth=2
	global_load_dwordx2 v[4:5], v[2:3], off offset:-128
.LBB92_41:                              ;   in Loop: Header=BB92_7 Depth=2
	s_or_b64 exec, exec, s[12:13]
	s_nor_b64 s[10:11], s[10:11], s[0:1]
	s_waitcnt vmcnt(0)
	ds_write_b64 v61, v[4:5]
	s_and_saveexec_b64 s[12:13], s[10:11]
	s_xor_b64 s[10:11], exec, s[12:13]
	s_cbranch_execz .LBB92_43
; %bb.42:                               ;   in Loop: Header=BB92_7 Depth=2
	global_load_dwordx2 v[2:3], v[2:3], off
	s_waitcnt vmcnt(0)
	ds_write_b64 v61, v[2:3] offset:128
.LBB92_43:                              ;   in Loop: Header=BB92_7 Depth=2
	s_andn2_saveexec_b64 s[10:11], s[10:11]
; %bb.44:                               ;   in Loop: Header=BB92_7 Depth=2
	ds_write_b64 v61, v[70:71] offset:128
; %bb.45:                               ;   in Loop: Header=BB92_7 Depth=2
	s_or_b64 exec, exec, s[10:11]
	v_cmp_le_i64_e64 s[10:11], s[42:43], v[0:1]
	v_lshl_add_u64 v[0:1], v[48:49], 0, v[32:33]
	s_nor_b64 s[14:15], s[10:11], vcc
	v_mov_b64_e32 v[2:3], 0
	s_and_saveexec_b64 s[12:13], s[14:15]
	s_cbranch_execz .LBB92_47
; %bb.46:                               ;   in Loop: Header=BB92_7 Depth=2
	global_load_dwordx2 v[2:3], v[0:1], off
.LBB92_47:                              ;   in Loop: Header=BB92_7 Depth=2
	s_or_b64 exec, exec, s[12:13]
	s_nor_b64 s[10:11], s[10:11], s[0:1]
	s_waitcnt vmcnt(0)
	ds_write_b64 v61, v[2:3] offset:4096
	s_and_saveexec_b64 s[12:13], s[10:11]
	s_xor_b64 s[10:11], exec, s[12:13]
	s_cbranch_execz .LBB92_49
; %bb.48:                               ;   in Loop: Header=BB92_7 Depth=2
	global_load_dwordx2 v[0:1], v[0:1], off offset:128
	s_waitcnt vmcnt(0)
	ds_write_b64 v61, v[0:1] offset:4224
.LBB92_49:                              ;   in Loop: Header=BB92_7 Depth=2
	s_andn2_saveexec_b64 s[10:11], s[10:11]
	s_cbranch_execz .LBB92_6
; %bb.50:                               ;   in Loop: Header=BB92_7 Depth=2
	ds_write_b64 v61, v[70:71] offset:4224
	s_branch .LBB92_6
.LBB92_51:                              ;   in Loop: Header=BB92_4 Depth=1
	v_mul_lo_u32 v2, s41, v36
	v_mul_lo_u32 v3, s40, v37
	v_mad_u64_u32 v[0:1], s[8:9], s40, v36, 0
	v_cmp_gt_i32_e64 s[6:7], s38, v36
	v_add3_u32 v1, v1, v3, v2
	v_lshl_add_u64 v[0:1], v[0:1], 3, s[22:23]
	s_and_b64 s[10:11], s[16:17], s[6:7]
	s_and_saveexec_b64 s[8:9], s[10:11]
	s_cbranch_execz .LBB92_53
; %bb.52:                               ;   in Loop: Header=BB92_4 Depth=1
	v_lshl_add_u64 v[2:3], v[16:17], 3, v[0:1]
	global_load_dwordx2 v[4:5], v[2:3], off
	v_pk_mul_f32 v[6:7], v[68:69], s[36:37] op_sel_hi:[0,1]
	v_pk_fma_f32 v[8:9], v[66:67], s[34:35], v[6:7] neg_lo:[0,0,1] neg_hi:[0,0,1]
	v_pk_fma_f32 v[6:7], v[66:67], s[34:35], v[6:7] op_sel_hi:[0,1,1]
	v_mov_b32_e32 v9, v7
	s_waitcnt vmcnt(0)
	v_pk_add_f32 v[4:5], v[4:5], v[8:9]
	global_store_dwordx2 v[2:3], v[4:5], off
.LBB92_53:                              ;   in Loop: Header=BB92_4 Depth=1
	s_or_b64 exec, exec, s[8:9]
	s_and_b64 s[8:9], s[4:5], s[6:7]
	s_and_saveexec_b64 s[6:7], s[8:9]
	s_cbranch_execz .LBB92_55
; %bb.54:                               ;   in Loop: Header=BB92_4 Depth=1
	v_lshl_add_u64 v[0:1], v[22:23], 3, v[0:1]
	global_load_dwordx2 v[2:3], v[0:1], off
	v_pk_mul_f32 v[4:5], v[64:65], s[36:37] op_sel_hi:[0,1]
	v_pk_fma_f32 v[6:7], v[62:63], s[34:35], v[4:5] neg_lo:[0,0,1] neg_hi:[0,0,1]
	v_pk_fma_f32 v[4:5], v[62:63], s[34:35], v[4:5] op_sel_hi:[0,1,1]
	v_mov_b32_e32 v7, v5
	s_waitcnt vmcnt(0)
	v_pk_add_f32 v[2:3], v[2:3], v[6:7]
	global_store_dwordx2 v[0:1], v[2:3], off
.LBB92_55:                              ;   in Loop: Header=BB92_4 Depth=1
	s_or_b64 exec, exec, s[6:7]
	v_add_u32_e32 v0, 16, v36
	v_ashrrev_i32_e32 v1, 31, v0
	v_cmp_gt_i32_e64 s[6:7], s38, v0
	v_mul_lo_u32 v2, s40, v1
	v_mul_lo_u32 v3, s41, v0
	v_mad_u64_u32 v[0:1], s[8:9], s40, v0, 0
	v_add3_u32 v1, v1, v2, v3
	v_lshl_add_u64 v[0:1], v[0:1], 3, s[22:23]
	s_and_b64 s[10:11], s[16:17], s[6:7]
	s_and_saveexec_b64 s[8:9], s[10:11]
	s_cbranch_execz .LBB92_57
; %bb.56:                               ;   in Loop: Header=BB92_4 Depth=1
	v_lshl_add_u64 v[2:3], v[16:17], 3, v[0:1]
	global_load_dwordx2 v[4:5], v[2:3], off
	v_pk_mul_f32 v[6:7], v[60:61], s[36:37] op_sel_hi:[0,1]
	v_pk_fma_f32 v[8:9], v[58:59], s[34:35], v[6:7] neg_lo:[0,0,1] neg_hi:[0,0,1]
	v_pk_fma_f32 v[6:7], v[58:59], s[34:35], v[6:7] op_sel_hi:[0,1,1]
	v_mov_b32_e32 v9, v7
	s_waitcnt vmcnt(0)
	v_pk_add_f32 v[4:5], v[4:5], v[8:9]
	global_store_dwordx2 v[2:3], v[4:5], off
.LBB92_57:                              ;   in Loop: Header=BB92_4 Depth=1
	s_or_b64 exec, exec, s[8:9]
	s_and_b64 s[8:9], s[4:5], s[6:7]
	s_and_saveexec_b64 s[6:7], s[8:9]
	s_cbranch_execz .LBB92_3
; %bb.58:                               ;   in Loop: Header=BB92_4 Depth=1
	v_lshl_add_u64 v[0:1], v[22:23], 3, v[0:1]
	global_load_dwordx2 v[2:3], v[0:1], off
	v_pk_mul_f32 v[4:5], v[54:55], s[36:37] op_sel_hi:[0,1]
	v_pk_fma_f32 v[6:7], v[56:57], s[34:35], v[4:5] neg_lo:[0,0,1] neg_hi:[0,0,1]
	v_pk_fma_f32 v[4:5], v[56:57], s[34:35], v[4:5] op_sel_hi:[0,1,1]
	v_mov_b32_e32 v7, v5
	s_waitcnt vmcnt(0)
	v_pk_add_f32 v[2:3], v[2:3], v[6:7]
	global_store_dwordx2 v[0:1], v[2:3], off
	s_branch .LBB92_3
.LBB92_59:
	s_endpgm
	.section	.rodata,"a",@progbits
	.p2align	6, 0x0
	.amdhsa_kernel _ZL30rocblas_trmm_outofplace_kernelI19rocblas_complex_numIfELi32ELi2ELb0ELb0ELb1ELb1EPKS1_S2_S1_Ev17rocblas_diagonal_iiT6_lPT7_lllS7_lllPT8_llli
		.amdhsa_group_segment_fixed_size 16384
		.amdhsa_private_segment_fixed_size 0
		.amdhsa_kernarg_size 392
		.amdhsa_user_sgpr_count 2
		.amdhsa_user_sgpr_dispatch_ptr 0
		.amdhsa_user_sgpr_queue_ptr 0
		.amdhsa_user_sgpr_kernarg_segment_ptr 1
		.amdhsa_user_sgpr_dispatch_id 0
		.amdhsa_user_sgpr_kernarg_preload_length 0
		.amdhsa_user_sgpr_kernarg_preload_offset 0
		.amdhsa_user_sgpr_private_segment_size 0
		.amdhsa_uses_dynamic_stack 0
		.amdhsa_enable_private_segment 0
		.amdhsa_system_sgpr_workgroup_id_x 1
		.amdhsa_system_sgpr_workgroup_id_y 1
		.amdhsa_system_sgpr_workgroup_id_z 1
		.amdhsa_system_sgpr_workgroup_info 0
		.amdhsa_system_vgpr_workitem_id 1
		.amdhsa_next_free_vgpr 92
		.amdhsa_next_free_sgpr 52
		.amdhsa_accum_offset 92
		.amdhsa_reserve_vcc 1
		.amdhsa_float_round_mode_32 0
		.amdhsa_float_round_mode_16_64 0
		.amdhsa_float_denorm_mode_32 3
		.amdhsa_float_denorm_mode_16_64 3
		.amdhsa_dx10_clamp 1
		.amdhsa_ieee_mode 1
		.amdhsa_fp16_overflow 0
		.amdhsa_tg_split 0
		.amdhsa_exception_fp_ieee_invalid_op 0
		.amdhsa_exception_fp_denorm_src 0
		.amdhsa_exception_fp_ieee_div_zero 0
		.amdhsa_exception_fp_ieee_overflow 0
		.amdhsa_exception_fp_ieee_underflow 0
		.amdhsa_exception_fp_ieee_inexact 0
		.amdhsa_exception_int_div_zero 0
	.end_amdhsa_kernel
	.section	.text._ZL30rocblas_trmm_outofplace_kernelI19rocblas_complex_numIfELi32ELi2ELb0ELb0ELb1ELb1EPKS1_S2_S1_Ev17rocblas_diagonal_iiT6_lPT7_lllS7_lllPT8_llli,"axG",@progbits,_ZL30rocblas_trmm_outofplace_kernelI19rocblas_complex_numIfELi32ELi2ELb0ELb0ELb1ELb1EPKS1_S2_S1_Ev17rocblas_diagonal_iiT6_lPT7_lllS7_lllPT8_llli,comdat
.Lfunc_end92:
	.size	_ZL30rocblas_trmm_outofplace_kernelI19rocblas_complex_numIfELi32ELi2ELb0ELb0ELb1ELb1EPKS1_S2_S1_Ev17rocblas_diagonal_iiT6_lPT7_lllS7_lllPT8_llli, .Lfunc_end92-_ZL30rocblas_trmm_outofplace_kernelI19rocblas_complex_numIfELi32ELi2ELb0ELb0ELb1ELb1EPKS1_S2_S1_Ev17rocblas_diagonal_iiT6_lPT7_lllS7_lllPT8_llli
                                        ; -- End function
	.set _ZL30rocblas_trmm_outofplace_kernelI19rocblas_complex_numIfELi32ELi2ELb0ELb0ELb1ELb1EPKS1_S2_S1_Ev17rocblas_diagonal_iiT6_lPT7_lllS7_lllPT8_llli.num_vgpr, 92
	.set _ZL30rocblas_trmm_outofplace_kernelI19rocblas_complex_numIfELi32ELi2ELb0ELb0ELb1ELb1EPKS1_S2_S1_Ev17rocblas_diagonal_iiT6_lPT7_lllS7_lllPT8_llli.num_agpr, 0
	.set _ZL30rocblas_trmm_outofplace_kernelI19rocblas_complex_numIfELi32ELi2ELb0ELb0ELb1ELb1EPKS1_S2_S1_Ev17rocblas_diagonal_iiT6_lPT7_lllS7_lllPT8_llli.numbered_sgpr, 52
	.set _ZL30rocblas_trmm_outofplace_kernelI19rocblas_complex_numIfELi32ELi2ELb0ELb0ELb1ELb1EPKS1_S2_S1_Ev17rocblas_diagonal_iiT6_lPT7_lllS7_lllPT8_llli.num_named_barrier, 0
	.set _ZL30rocblas_trmm_outofplace_kernelI19rocblas_complex_numIfELi32ELi2ELb0ELb0ELb1ELb1EPKS1_S2_S1_Ev17rocblas_diagonal_iiT6_lPT7_lllS7_lllPT8_llli.private_seg_size, 0
	.set _ZL30rocblas_trmm_outofplace_kernelI19rocblas_complex_numIfELi32ELi2ELb0ELb0ELb1ELb1EPKS1_S2_S1_Ev17rocblas_diagonal_iiT6_lPT7_lllS7_lllPT8_llli.uses_vcc, 1
	.set _ZL30rocblas_trmm_outofplace_kernelI19rocblas_complex_numIfELi32ELi2ELb0ELb0ELb1ELb1EPKS1_S2_S1_Ev17rocblas_diagonal_iiT6_lPT7_lllS7_lllPT8_llli.uses_flat_scratch, 0
	.set _ZL30rocblas_trmm_outofplace_kernelI19rocblas_complex_numIfELi32ELi2ELb0ELb0ELb1ELb1EPKS1_S2_S1_Ev17rocblas_diagonal_iiT6_lPT7_lllS7_lllPT8_llli.has_dyn_sized_stack, 0
	.set _ZL30rocblas_trmm_outofplace_kernelI19rocblas_complex_numIfELi32ELi2ELb0ELb0ELb1ELb1EPKS1_S2_S1_Ev17rocblas_diagonal_iiT6_lPT7_lllS7_lllPT8_llli.has_recursion, 0
	.set _ZL30rocblas_trmm_outofplace_kernelI19rocblas_complex_numIfELi32ELi2ELb0ELb0ELb1ELb1EPKS1_S2_S1_Ev17rocblas_diagonal_iiT6_lPT7_lllS7_lllPT8_llli.has_indirect_call, 0
	.section	.AMDGPU.csdata,"",@progbits
; Kernel info:
; codeLenInByte = 6340
; TotalNumSgprs: 58
; NumVgprs: 92
; NumAgprs: 0
; TotalNumVgprs: 92
; ScratchSize: 0
; MemoryBound: 0
; FloatMode: 240
; IeeeMode: 1
; LDSByteSize: 16384 bytes/workgroup (compile time only)
; SGPRBlocks: 7
; VGPRBlocks: 11
; NumSGPRsForWavesPerEU: 58
; NumVGPRsForWavesPerEU: 92
; AccumOffset: 92
; Occupancy: 5
; WaveLimiterHint : 0
; COMPUTE_PGM_RSRC2:SCRATCH_EN: 0
; COMPUTE_PGM_RSRC2:USER_SGPR: 2
; COMPUTE_PGM_RSRC2:TRAP_HANDLER: 0
; COMPUTE_PGM_RSRC2:TGID_X_EN: 1
; COMPUTE_PGM_RSRC2:TGID_Y_EN: 1
; COMPUTE_PGM_RSRC2:TGID_Z_EN: 1
; COMPUTE_PGM_RSRC2:TIDIG_COMP_CNT: 1
; COMPUTE_PGM_RSRC3_GFX90A:ACCUM_OFFSET: 22
; COMPUTE_PGM_RSRC3_GFX90A:TG_SPLIT: 0
	.section	.text._ZL30rocblas_trmm_outofplace_kernelI19rocblas_complex_numIfELi32ELi2ELb0ELb0ELb1ELb1ES1_KS1_S1_Ev17rocblas_diagonal_iiT6_lPT7_lllS6_lllPT8_llli,"axG",@progbits,_ZL30rocblas_trmm_outofplace_kernelI19rocblas_complex_numIfELi32ELi2ELb0ELb0ELb1ELb1ES1_KS1_S1_Ev17rocblas_diagonal_iiT6_lPT7_lllS6_lllPT8_llli,comdat
	.globl	_ZL30rocblas_trmm_outofplace_kernelI19rocblas_complex_numIfELi32ELi2ELb0ELb0ELb1ELb1ES1_KS1_S1_Ev17rocblas_diagonal_iiT6_lPT7_lllS6_lllPT8_llli ; -- Begin function _ZL30rocblas_trmm_outofplace_kernelI19rocblas_complex_numIfELi32ELi2ELb0ELb0ELb1ELb1ES1_KS1_S1_Ev17rocblas_diagonal_iiT6_lPT7_lllS6_lllPT8_llli
	.p2align	8
	.type	_ZL30rocblas_trmm_outofplace_kernelI19rocblas_complex_numIfELi32ELi2ELb0ELb0ELb1ELb1ES1_KS1_S1_Ev17rocblas_diagonal_iiT6_lPT7_lllS6_lllPT8_llli,@function
_ZL30rocblas_trmm_outofplace_kernelI19rocblas_complex_numIfELi32ELi2ELb0ELb0ELb1ELb1ES1_KS1_S1_Ev17rocblas_diagonal_iiT6_lPT7_lllS6_lllPT8_llli: ; @_ZL30rocblas_trmm_outofplace_kernelI19rocblas_complex_numIfELi32ELi2ELb0ELb0ELb1ELb1ES1_KS1_S1_Ev17rocblas_diagonal_iiT6_lPT7_lllS6_lllPT8_llli
; %bb.0:
	s_load_dwordx4 s[36:39], s[0:1], 0x0
	s_load_dword s35, s[0:1], 0x10
	s_waitcnt lgkmcnt(0)
	s_or_b32 s5, s39, s35
	s_bitset0_b32 s5, 31
	s_cmp_eq_u32 s5, 0
	s_cbranch_scc1 .LBB93_59
; %bb.1:
	s_add_i32 s5, s38, -1
	s_ashr_i32 s6, s5, 31
	s_lshr_b32 s6, s6, 27
	s_add_i32 s5, s5, s6
	s_ashr_i32 s33, s5, 5
	s_cmp_gt_i32 s3, s33
	s_cbranch_scc1 .LBB93_59
; %bb.2:
	s_load_dwordx16 s[8:23], s[0:1], 0x20
	s_load_dwordx8 s[24:31], s[0:1], 0x60
	v_and_b32_e32 v14, 0x3ff, v0
	v_bfe_u32 v12, v0, 10, 10
	v_lshl_add_u32 v16, s2, 5, v14
	s_waitcnt lgkmcnt(0)
	s_mul_i32 s5, s15, s4
	s_mul_hi_u32 s6, s14, s4
	s_add_i32 s7, s6, s5
	s_mul_i32 s6, s14, s4
	s_lshl_b64 s[14:15], s[6:7], 3
	s_add_u32 s5, s8, s14
	s_addc_u32 s7, s9, s15
	s_lshl_b64 s[10:11], s[10:11], 3
	s_add_u32 s6, s5, s10
	s_mul_i32 s5, s23, s4
	s_mul_hi_u32 s23, s22, s4
	s_addc_u32 s7, s7, s11
	s_add_i32 s23, s23, s5
	s_mul_i32 s22, s22, s4
	s_lshl_b64 s[22:23], s[22:23], 3
	s_add_u32 s5, s16, s22
	s_addc_u32 s22, s17, s23
	s_lshl_b64 s[16:17], s[18:19], 3
	s_add_u32 s16, s5, s16
	s_mul_i32 s5, s31, s4
	s_mul_hi_u32 s18, s30, s4
	s_addc_u32 s17, s22, s17
	s_add_i32 s5, s18, s5
	s_mul_i32 s4, s30, s4
	s_lshl_b64 s[4:5], s[4:5], 3
	s_add_u32 s18, s24, s4
	s_addc_u32 s19, s25, s5
	s_lshl_b64 s[4:5], s[26:27], 3
	s_add_u32 s22, s18, s4
	s_addc_u32 s23, s19, s5
	v_mad_u64_u32 v[0:1], s[4:5], s12, v14, 0
	v_mov_b32_e32 v2, v1
	v_mad_u64_u32 v[2:3], s[4:5], s13, v14, v[2:3]
	s_cmpk_eq_i32 s36, 0x84
	v_mov_b32_e32 v1, v2
	s_cselect_b64 s[24:25], -1, 0
	s_ashr_i32 s2, s37, 31
	v_lshl_add_u64 v[18:19], v[0:1], 3, s[6:7]
	v_mov_b32_e32 v1, s2
	s_load_dword s2, s[0:1], 0x8c
	s_ashr_i32 s27, s38, 31
	s_lshl_b64 s[30:31], s[12:13], 8
	s_lshl_b64 s[40:41], s[20:21], 8
	v_ashrrev_i32_e32 v17, 31, v16
	s_add_u32 s42, s38, -16
	v_add_u32_e32 v22, 16, v16
	v_sub_co_u32_e64 v24, s[6:7], 0, v14
	s_mov_b32 s34, s39
	v_lshl_add_u64 v[20:21], v[16:17], 3, s[16:17]
	v_sub_co_u32_e32 v0, vcc, s37, v16
	s_addc_u32 s43, s27, -1
	v_cmp_gt_i32_e64 s[16:17], s37, v16
	v_cmp_gt_i32_e64 s[4:5], s37, v22
	s_mov_b32 s37, s39
	v_subb_co_u32_e64 v25, s[6:7], 0, 0, s[6:7]
	s_waitcnt lgkmcnt(0)
	s_lshl_b32 s39, s2, 5
	s_add_u32 s6, s8, s10
	s_addc_u32 s7, s9, s11
	s_add_u32 s6, s6, s14
	v_lshlrev_b32_e32 v55, 8, v12
	v_lshlrev_b32_e32 v2, 3, v14
	v_subb_co_u32_e32 v1, vcc, v1, v17, vcc
	s_addc_u32 s7, s7, s15
	v_add_u32_e32 v57, v55, v2
	v_or_b32_e32 v59, 0x2000, v2
	v_cmp_gt_i64_e32 vcc, 1, v[0:1]
	v_cmp_gt_i64_e64 s[0:1], 17, v[0:1]
	v_add_u32_e32 v2, 0x80, v2
	v_mov_b64_e32 v[0:1], s[6:7]
	v_mad_u64_u32 v[28:29], s[6:7], s12, v2, v[0:1]
	v_mov_b32_e32 v0, v29
	v_mad_u64_u32 v[0:1], s[6:7], s13, v2, v[0:1]
	v_mov_b32_e32 v29, v0
	;; [unrolled: 2-line block ×4, first 2 shown]
	v_mov_b64_e32 v[2:3], 0x80
	v_lshl_add_u64 v[30:31], v[0:1], 3, v[2:3]
	v_mov_b32_e32 v0, 0x80
	v_lshl_add_u32 v1, v12, 3, v0
	v_mad_u64_u32 v[32:33], s[6:7], s20, v1, 0
	v_mov_b32_e32 v0, v33
	v_mov_b32_e32 v15, 0
	v_mad_u64_u32 v[0:1], s[6:7], s21, v1, v[0:1]
	v_mov_b32_e32 v13, v15
	s_mov_b32 s26, s38
	v_add_u32_e32 v61, v59, v55
	v_ashrrev_i32_e32 v23, 31, v22
	s_mov_b32 s36, s35
	v_lshl_add_u32 v26, s3, 5, v12
	v_mov_b32_e32 v33, v0
	v_mov_b32_e32 v70, v15
	;; [unrolled: 1-line block ×3, first 2 shown]
	v_mov_b32_e32 v34, 1.0
	v_mov_b32_e32 v35, v15
	v_add_u32_e32 v63, 0x800, v59
	v_add_u32_e32 v65, 0x1000, v59
	v_add_u32_e32 v67, 0x1800, v59
	s_branch .LBB93_4
.LBB93_3:                               ;   in Loop: Header=BB93_4 Depth=1
	s_or_b64 exec, exec, s[6:7]
	s_add_i32 s3, s2, s3
	s_cmp_le_i32 s3, s33
	v_add_u32_e32 v26, s39, v26
	s_cbranch_scc0 .LBB93_59
.LBB93_4:                               ; =>This Loop Header: Depth=1
                                        ;     Child Loop BB93_7 Depth 2
	s_lshl_b32 s50, s3, 5
	v_add_u32_e32 v36, s50, v12
	v_ashrrev_i32_e32 v37, 31, v36
	s_cmp_lt_i32 s3, 0
	v_mov_b32_e32 v66, 0
	v_mov_b32_e32 v68, 0
	;; [unrolled: 1-line block ×8, first 2 shown]
	s_cbranch_scc1 .LBB93_51
; %bb.5:                                ;   in Loop: Header=BB93_4 Depth=1
	v_ashrrev_i32_e32 v27, 31, v26
	v_lshl_add_u64 v[38:39], v[24:25], 0, v[26:27]
	v_lshl_add_u64 v[42:43], v[36:37], 0, 16
	v_lshlrev_b64 v[40:41], 3, v[26:27]
	v_cmp_le_i32_e64 s[6:7], s38, v36
	v_cmp_le_i64_e64 s[8:9], s[26:27], v[42:43]
	v_lshl_add_u64 v[44:45], v[38:39], 0, 16
	v_lshl_add_u64 v[46:47], v[38:39], 0, -16
	v_mov_b32_e32 v54, 0
	s_mov_b64 s[20:21], 0
	v_mov_b64_e32 v[48:49], v[20:21]
	v_mov_b64_e32 v[50:51], v[18:19]
	;; [unrolled: 1-line block ×3, first 2 shown]
	v_mov_b32_e32 v56, 0
	v_mov_b32_e32 v60, 0
	v_mov_b32_e32 v58, 0
	v_mov_b32_e32 v64, 0
	v_mov_b32_e32 v62, 0
	v_mov_b32_e32 v68, 0
	v_mov_b32_e32 v66, 0
	s_branch .LBB93_7
.LBB93_6:                               ;   in Loop: Header=BB93_7 Depth=2
	s_or_b64 exec, exec, s[10:11]
	s_waitcnt lgkmcnt(0)
	s_barrier
	ds_read2_b64 v[72:75], v59 offset1:16
	ds_read_b128 v[76:79], v55
	ds_read_b128 v[8:11], v55 offset:16
	ds_read_b128 v[4:7], v55 offset:32
	ds_read_b128 v[0:3], v55 offset:48
	ds_read_b128 v[80:83], v55 offset:4096
	ds_read_b128 v[84:87], v55 offset:4112
	s_waitcnt lgkmcnt(5)
	v_mul_f32_e32 v27, v77, v73
	v_mul_f32_e32 v69, v76, v73
	v_fma_f32 v27, v76, v72, -v27
	v_fmac_f32_e32 v69, v77, v72
	v_add_f32_e32 v27, v66, v27
	v_add_f32_e32 v66, v68, v69
	v_mul_f32_e32 v68, v77, v75
	v_fma_f32 v68, v76, v74, -v68
	ds_read2_b64 v[88:91], v59 offset0:32 offset1:48
	v_add_f32_e32 v62, v62, v68
	s_waitcnt lgkmcnt(2)
	v_mul_f32_e32 v68, v81, v73
	v_mul_f32_e32 v69, v76, v75
	v_fma_f32 v68, v80, v72, -v68
	v_fmac_f32_e32 v69, v77, v74
	v_add_f32_e32 v58, v58, v68
	v_mul_f32_e32 v68, v81, v75
	v_add_f32_e32 v64, v64, v69
	v_mul_f32_e32 v69, v80, v73
	v_fma_f32 v68, v80, v74, -v68
	v_fmac_f32_e32 v69, v81, v72
	v_add_f32_e32 v56, v56, v68
	s_waitcnt lgkmcnt(0)
	v_mul_f32_e32 v68, v79, v89
	v_add_f32_e32 v60, v60, v69
	v_mul_f32_e32 v69, v80, v75
	v_fma_f32 v68, v78, v88, -v68
	v_fmac_f32_e32 v69, v81, v74
	v_add_f32_e32 v27, v27, v68
	v_mul_f32_e32 v68, v79, v91
	v_add_f32_e32 v54, v54, v69
	v_mul_f32_e32 v69, v78, v89
	v_fma_f32 v68, v78, v90, -v68
	ds_read2_b64 v[72:75], v59 offset0:64 offset1:80
	v_fmac_f32_e32 v69, v79, v88
	v_add_f32_e32 v62, v62, v68
	v_mul_f32_e32 v68, v83, v89
	v_add_f32_e32 v66, v66, v69
	v_mul_f32_e32 v69, v78, v91
	v_fma_f32 v68, v82, v88, -v68
	v_fmac_f32_e32 v69, v79, v90
	v_add_f32_e32 v58, v58, v68
	v_mul_f32_e32 v68, v83, v91
	v_add_f32_e32 v64, v64, v69
	v_mul_f32_e32 v69, v82, v89
	v_fma_f32 v68, v82, v90, -v68
	v_fmac_f32_e32 v69, v83, v88
	v_add_f32_e32 v56, v56, v68
	s_waitcnt lgkmcnt(0)
	v_mul_f32_e32 v68, v9, v73
	v_add_f32_e32 v60, v60, v69
	v_mul_f32_e32 v69, v82, v91
	v_fma_f32 v68, v8, v72, -v68
	v_fmac_f32_e32 v69, v83, v90
	v_add_f32_e32 v27, v27, v68
	v_mul_f32_e32 v68, v9, v75
	v_add_f32_e32 v54, v54, v69
	v_mul_f32_e32 v69, v8, v73
	v_fma_f32 v68, v8, v74, -v68
	v_mul_f32_e32 v8, v8, v75
	v_fmac_f32_e32 v8, v9, v74
	ds_read2_b64 v[76:79], v59 offset0:96 offset1:112
	v_fmac_f32_e32 v69, v9, v72
	v_add_f32_e32 v9, v62, v68
	v_add_f32_e32 v8, v64, v8
	v_mul_f32_e32 v62, v85, v73
	v_mul_f32_e32 v64, v84, v73
	v_fma_f32 v62, v84, v72, -v62
	v_fmac_f32_e32 v64, v85, v72
	v_add_f32_e32 v58, v58, v62
	v_add_f32_e32 v60, v60, v64
	v_mul_f32_e32 v62, v85, v75
	v_mul_f32_e32 v64, v84, v75
	v_fma_f32 v62, v84, v74, -v62
	v_fmac_f32_e32 v64, v85, v74
	v_add_f32_e32 v56, v56, v62
	v_add_f32_e32 v54, v54, v64
	s_waitcnt lgkmcnt(0)
	v_mul_f32_e32 v62, v11, v77
	v_mul_f32_e32 v64, v10, v77
	v_add_f32_e32 v66, v66, v69
	v_fma_f32 v62, v10, v76, -v62
	v_fmac_f32_e32 v64, v11, v76
	v_add_f32_e32 v27, v27, v62
	v_add_f32_e32 v62, v66, v64
	v_mul_f32_e32 v64, v11, v79
	v_fma_f32 v64, v10, v78, -v64
	v_mul_f32_e32 v10, v10, v79
	v_fmac_f32_e32 v10, v11, v78
	v_add_f32_e32 v66, v8, v10
	v_mul_f32_e32 v8, v87, v77
	v_add_f32_e32 v64, v9, v64
	v_fma_f32 v8, v86, v76, -v8
	v_mul_f32_e32 v9, v86, v77
	v_fmac_f32_e32 v9, v87, v76
	v_add_f32_e32 v58, v58, v8
	v_mul_f32_e32 v8, v87, v79
	v_add_f32_e32 v60, v60, v9
	v_fma_f32 v68, v86, v78, -v8
	ds_read2_b64 v[8:11], v59 offset0:128 offset1:144
	ds_read_b128 v[72:75], v55 offset:4128
	v_add_f32_e32 v56, v56, v68
	v_mul_f32_e32 v69, v86, v79
	v_fmac_f32_e32 v69, v87, v78
	s_waitcnt lgkmcnt(1)
	v_mul_f32_e32 v68, v5, v9
	v_fma_f32 v68, v4, v8, -v68
	v_add_f32_e32 v27, v27, v68
	v_mul_f32_e32 v68, v5, v11
	v_add_f32_e32 v54, v54, v69
	v_mul_f32_e32 v69, v4, v9
	v_fma_f32 v68, v4, v10, -v68
	v_mul_f32_e32 v4, v4, v11
	ds_read2_b64 v[80:83], v59 offset0:160 offset1:176
	v_fmac_f32_e32 v69, v5, v8
	v_fmac_f32_e32 v4, v5, v10
	v_add_f32_e32 v5, v64, v68
	ds_read_b128 v[76:79], v55 offset:4144
	s_waitcnt lgkmcnt(2)
	v_mul_f32_e32 v64, v73, v9
	v_fma_f32 v64, v72, v8, -v64
	v_mul_f32_e32 v9, v72, v9
	v_fmac_f32_e32 v9, v73, v8
	v_add_f32_e32 v8, v58, v64
	v_mul_f32_e32 v58, v73, v11
	v_mul_f32_e32 v11, v72, v11
	v_fma_f32 v58, v72, v10, -v58
	v_fmac_f32_e32 v11, v73, v10
	v_add_f32_e32 v10, v56, v58
	v_add_f32_e32 v11, v54, v11
	s_waitcnt lgkmcnt(1)
	v_mul_f32_e32 v54, v7, v81
	v_mul_f32_e32 v56, v6, v81
	v_add_f32_e32 v62, v62, v69
	v_fma_f32 v54, v6, v80, -v54
	v_fmac_f32_e32 v56, v7, v80
	v_add_f32_e32 v27, v27, v54
	v_add_f32_e32 v54, v62, v56
	v_mul_f32_e32 v56, v7, v83
	v_fma_f32 v56, v6, v82, -v56
	v_mul_f32_e32 v6, v6, v83
	v_add_f32_e32 v4, v66, v4
	v_fmac_f32_e32 v6, v7, v82
	v_add_f32_e32 v58, v4, v6
	v_mul_f32_e32 v4, v75, v81
	v_add_f32_e32 v56, v5, v56
	v_fma_f32 v4, v74, v80, -v4
	v_mul_f32_e32 v5, v74, v81
	v_add_f32_e32 v9, v60, v9
	v_fmac_f32_e32 v5, v75, v80
	v_add_f32_e32 v8, v8, v4
	v_mul_f32_e32 v4, v75, v83
	v_add_f32_e32 v9, v9, v5
	v_fma_f32 v60, v74, v82, -v4
	ds_read2_b64 v[4:7], v59 offset0:192 offset1:208
	v_add_f32_e32 v60, v10, v60
	v_mul_f32_e32 v62, v74, v83
	v_fmac_f32_e32 v62, v75, v82
	v_add_f32_e32 v62, v11, v62
	s_waitcnt lgkmcnt(0)
	v_mul_f32_e32 v10, v1, v5
	v_fma_f32 v10, v0, v4, -v10
	v_add_f32_e32 v27, v27, v10
	v_mul_f32_e32 v10, v1, v7
	v_mul_f32_e32 v11, v0, v5
	v_fma_f32 v10, v0, v6, -v10
	v_mul_f32_e32 v0, v0, v7
	v_fmac_f32_e32 v11, v1, v4
	v_fmac_f32_e32 v0, v1, v6
	v_add_f32_e32 v1, v56, v10
	v_mul_f32_e32 v10, v77, v5
	v_fma_f32 v10, v76, v4, -v10
	v_mul_f32_e32 v5, v76, v5
	v_fmac_f32_e32 v5, v77, v4
	v_add_f32_e32 v4, v8, v10
	v_mul_f32_e32 v8, v77, v7
	v_add_f32_e32 v54, v54, v11
	v_add_f32_e32 v5, v9, v5
	v_fma_f32 v56, v76, v6, -v8
	ds_read2_b64 v[8:11], v59 offset0:224 offset1:240
	v_mul_f32_e32 v7, v76, v7
	v_fmac_f32_e32 v7, v77, v6
	v_add_f32_e32 v0, v58, v0
	v_add_f32_e32 v58, v62, v7
	s_waitcnt lgkmcnt(0)
	v_mul_f32_e32 v6, v3, v9
	v_fma_f32 v6, v2, v8, -v6
	v_add_f32_e32 v27, v27, v6
	v_mul_f32_e32 v6, v3, v11
	v_mul_f32_e32 v7, v2, v9
	v_fma_f32 v6, v2, v10, -v6
	v_mul_f32_e32 v2, v2, v11
	v_fmac_f32_e32 v2, v3, v10
	v_add_f32_e32 v62, v0, v2
	v_mul_f32_e32 v0, v79, v9
	v_add_f32_e32 v56, v60, v56
	v_add_f32_e32 v60, v1, v6
	v_fma_f32 v0, v78, v8, -v0
	v_mul_f32_e32 v1, v78, v9
	v_fmac_f32_e32 v7, v3, v8
	v_fmac_f32_e32 v1, v79, v8
	v_add_f32_e32 v64, v4, v0
	v_mul_f32_e32 v0, v79, v11
	v_add_f32_e32 v54, v54, v7
	v_add_f32_e32 v66, v5, v1
	v_fma_f32 v8, v78, v10, -v0
	ds_read_b128 v[0:3], v55 offset:64
	ds_read2_b64 v[4:7], v63 offset1:16
	v_mul_f32_e32 v9, v78, v11
	v_fmac_f32_e32 v9, v79, v10
	v_add_f32_e32 v56, v56, v8
	v_add_f32_e32 v58, v58, v9
	ds_read_b128 v[8:11], v55 offset:80
	ds_read_b128 v[72:75], v55 offset:4160
	s_waitcnt lgkmcnt(2)
	v_mul_f32_e32 v68, v1, v5
	v_fma_f32 v68, v0, v4, -v68
	v_add_f32_e32 v27, v27, v68
	v_mul_f32_e32 v68, v1, v7
	v_mul_f32_e32 v69, v0, v5
	v_fma_f32 v68, v0, v6, -v68
	v_mul_f32_e32 v0, v0, v7
	ds_read2_b64 v[80:83], v63 offset0:32 offset1:48
	v_fmac_f32_e32 v69, v1, v4
	v_fmac_f32_e32 v0, v1, v6
	v_add_f32_e32 v1, v60, v68
	s_waitcnt lgkmcnt(1)
	v_mul_f32_e32 v60, v73, v5
	v_fma_f32 v60, v72, v4, -v60
	v_mul_f32_e32 v5, v72, v5
	v_fmac_f32_e32 v5, v73, v4
	v_add_f32_e32 v4, v64, v60
	v_mul_f32_e32 v60, v73, v7
	v_fma_f32 v60, v72, v6, -v60
	v_mul_f32_e32 v7, v72, v7
	v_fmac_f32_e32 v7, v73, v6
	v_add_f32_e32 v6, v56, v60
	s_waitcnt lgkmcnt(0)
	v_mul_f32_e32 v56, v3, v81
	v_fma_f32 v56, v2, v80, -v56
	v_add_f32_e32 v27, v27, v56
	v_mul_f32_e32 v56, v3, v83
	v_add_f32_e32 v7, v58, v7
	v_mul_f32_e32 v58, v2, v81
	v_fma_f32 v56, v2, v82, -v56
	v_mul_f32_e32 v2, v2, v83
	v_add_f32_e32 v54, v54, v69
	v_add_f32_e32 v0, v62, v0
	v_fmac_f32_e32 v58, v3, v80
	v_fmac_f32_e32 v2, v3, v82
	v_add_f32_e32 v54, v54, v58
	v_add_f32_e32 v58, v0, v2
	v_mul_f32_e32 v0, v75, v81
	v_add_f32_e32 v56, v1, v56
	v_fma_f32 v0, v74, v80, -v0
	v_mul_f32_e32 v1, v74, v81
	v_add_f32_e32 v5, v66, v5
	v_fmac_f32_e32 v1, v75, v80
	v_add_f32_e32 v4, v4, v0
	v_mul_f32_e32 v0, v75, v83
	v_add_f32_e32 v5, v5, v1
	v_fma_f32 v60, v74, v82, -v0
	ds_read2_b64 v[0:3], v63 offset0:64 offset1:80
	ds_read_b128 v[76:79], v55 offset:4176
	v_mul_f32_e32 v62, v74, v83
	v_add_f32_e32 v60, v6, v60
	v_fmac_f32_e32 v62, v75, v82
	s_waitcnt lgkmcnt(1)
	v_mul_f32_e32 v6, v9, v1
	v_fma_f32 v6, v8, v0, -v6
	v_add_f32_e32 v62, v7, v62
	v_mul_f32_e32 v7, v8, v1
	v_add_f32_e32 v27, v27, v6
	v_mul_f32_e32 v6, v9, v3
	v_fmac_f32_e32 v7, v9, v0
	v_fma_f32 v6, v8, v2, -v6
	v_add_f32_e32 v54, v54, v7
	v_mul_f32_e32 v7, v8, v3
	v_add_f32_e32 v8, v56, v6
	s_waitcnt lgkmcnt(0)
	v_mul_f32_e32 v6, v77, v1
	v_fma_f32 v6, v76, v0, -v6
	v_mul_f32_e32 v1, v76, v1
	v_fmac_f32_e32 v7, v9, v2
	v_fmac_f32_e32 v1, v77, v0
	v_add_f32_e32 v0, v4, v6
	v_mul_f32_e32 v4, v77, v3
	v_add_f32_e32 v9, v58, v7
	v_add_f32_e32 v1, v5, v1
	v_fma_f32 v56, v76, v2, -v4
	ds_read2_b64 v[4:7], v63 offset0:96 offset1:112
	v_mul_f32_e32 v3, v76, v3
	v_fmac_f32_e32 v3, v77, v2
	v_add_f32_e32 v58, v62, v3
	v_add_f32_e32 v56, v60, v56
	s_waitcnt lgkmcnt(0)
	v_mul_f32_e32 v2, v11, v5
	v_fma_f32 v2, v10, v4, -v2
	v_mul_f32_e32 v3, v10, v5
	v_fmac_f32_e32 v3, v11, v4
	v_add_f32_e32 v27, v27, v2
	v_mul_f32_e32 v2, v11, v7
	v_add_f32_e32 v54, v54, v3
	v_fma_f32 v2, v10, v6, -v2
	v_mul_f32_e32 v3, v10, v7
	v_fmac_f32_e32 v3, v11, v6
	v_add_f32_e32 v60, v8, v2
	v_mul_f32_e32 v2, v79, v5
	v_add_f32_e32 v62, v9, v3
	;; [unrolled: 6-line block ×3, first 2 shown]
	v_fma_f32 v4, v78, v6, -v0
	ds_read_b128 v[0:3], v55 offset:96
	ds_read2_b64 v[8:11], v63 offset0:128 offset1:144
	v_mul_f32_e32 v5, v78, v7
	v_fmac_f32_e32 v5, v79, v6
	v_add_f32_e32 v56, v56, v4
	v_add_f32_e32 v58, v58, v5
	ds_read_b128 v[4:7], v55 offset:112
	ds_read_b128 v[72:75], v55 offset:4192
	s_waitcnt lgkmcnt(2)
	v_mul_f32_e32 v68, v1, v9
	v_fma_f32 v68, v0, v8, -v68
	v_add_f32_e32 v27, v27, v68
	v_mul_f32_e32 v68, v1, v11
	v_mul_f32_e32 v69, v0, v9
	v_fma_f32 v68, v0, v10, -v68
	v_mul_f32_e32 v0, v0, v11
	ds_read2_b64 v[80:83], v63 offset0:160 offset1:176
	v_fmac_f32_e32 v69, v1, v8
	v_fmac_f32_e32 v0, v1, v10
	v_add_f32_e32 v1, v60, v68
	s_waitcnt lgkmcnt(1)
	v_mul_f32_e32 v60, v73, v9
	v_fma_f32 v60, v72, v8, -v60
	v_mul_f32_e32 v9, v72, v9
	v_fmac_f32_e32 v9, v73, v8
	v_add_f32_e32 v8, v64, v60
	v_mul_f32_e32 v60, v73, v11
	v_fma_f32 v60, v72, v10, -v60
	v_mul_f32_e32 v11, v72, v11
	v_fmac_f32_e32 v11, v73, v10
	v_add_f32_e32 v10, v56, v60
	s_waitcnt lgkmcnt(0)
	v_mul_f32_e32 v56, v3, v81
	v_fma_f32 v56, v2, v80, -v56
	v_add_f32_e32 v27, v27, v56
	v_mul_f32_e32 v56, v3, v83
	v_add_f32_e32 v11, v58, v11
	v_mul_f32_e32 v58, v2, v81
	v_fma_f32 v56, v2, v82, -v56
	v_mul_f32_e32 v2, v2, v83
	v_add_f32_e32 v54, v54, v69
	v_add_f32_e32 v0, v62, v0
	v_fmac_f32_e32 v58, v3, v80
	v_fmac_f32_e32 v2, v3, v82
	v_add_f32_e32 v54, v54, v58
	v_add_f32_e32 v58, v0, v2
	v_mul_f32_e32 v0, v75, v81
	v_add_f32_e32 v56, v1, v56
	v_fma_f32 v0, v74, v80, -v0
	v_mul_f32_e32 v1, v74, v81
	v_add_f32_e32 v9, v66, v9
	v_fmac_f32_e32 v1, v75, v80
	v_add_f32_e32 v8, v8, v0
	v_mul_f32_e32 v0, v75, v83
	v_add_f32_e32 v9, v9, v1
	v_fma_f32 v60, v74, v82, -v0
	ds_read2_b64 v[0:3], v63 offset0:192 offset1:208
	ds_read_b128 v[76:79], v55 offset:4208
	v_add_f32_e32 v60, v10, v60
	v_mul_f32_e32 v62, v74, v83
	v_fmac_f32_e32 v62, v75, v82
	s_waitcnt lgkmcnt(1)
	v_mul_f32_e32 v10, v5, v1
	v_fma_f32 v10, v4, v0, -v10
	v_add_f32_e32 v27, v27, v10
	v_mul_f32_e32 v10, v5, v3
	v_add_f32_e32 v62, v11, v62
	v_mul_f32_e32 v11, v4, v1
	v_fma_f32 v10, v4, v2, -v10
	v_mul_f32_e32 v4, v4, v3
	v_fmac_f32_e32 v11, v5, v0
	v_fmac_f32_e32 v4, v5, v2
	v_add_f32_e32 v5, v56, v10
	s_waitcnt lgkmcnt(0)
	v_mul_f32_e32 v10, v77, v1
	v_fma_f32 v10, v76, v0, -v10
	v_mul_f32_e32 v1, v76, v1
	v_fmac_f32_e32 v1, v77, v0
	v_add_f32_e32 v0, v8, v10
	v_mul_f32_e32 v8, v77, v3
	v_add_f32_e32 v54, v54, v11
	v_add_f32_e32 v1, v9, v1
	v_fma_f32 v56, v76, v2, -v8
	ds_read2_b64 v[8:11], v63 offset0:224 offset1:240
	v_mul_f32_e32 v3, v76, v3
	v_fmac_f32_e32 v3, v77, v2
	v_add_f32_e32 v4, v58, v4
	v_add_f32_e32 v58, v62, v3
	s_waitcnt lgkmcnt(0)
	v_mul_f32_e32 v2, v7, v9
	v_fma_f32 v2, v6, v8, -v2
	v_mul_f32_e32 v3, v6, v9
	v_fmac_f32_e32 v3, v7, v8
	v_add_f32_e32 v27, v27, v2
	v_mul_f32_e32 v2, v7, v11
	v_add_f32_e32 v54, v54, v3
	v_fma_f32 v2, v6, v10, -v2
	v_mul_f32_e32 v3, v6, v11
	v_add_f32_e32 v56, v60, v56
	v_fmac_f32_e32 v3, v7, v10
	v_add_f32_e32 v60, v5, v2
	v_mul_f32_e32 v2, v79, v9
	v_add_f32_e32 v62, v4, v3
	v_fma_f32 v2, v78, v8, -v2
	v_mul_f32_e32 v3, v78, v9
	v_fmac_f32_e32 v3, v79, v8
	v_add_f32_e32 v64, v0, v2
	v_mul_f32_e32 v0, v79, v11
	v_add_f32_e32 v66, v1, v3
	v_fma_f32 v8, v78, v10, -v0
	ds_read_b128 v[0:3], v55 offset:128
	ds_read2_b64 v[4:7], v65 offset1:16
	v_mul_f32_e32 v9, v78, v11
	v_fmac_f32_e32 v9, v79, v10
	v_add_f32_e32 v56, v56, v8
	v_add_f32_e32 v58, v58, v9
	ds_read_b128 v[8:11], v55 offset:144
	ds_read_b128 v[72:75], v55 offset:4224
	s_waitcnt lgkmcnt(2)
	v_mul_f32_e32 v68, v1, v5
	v_fma_f32 v68, v0, v4, -v68
	v_add_f32_e32 v27, v27, v68
	v_mul_f32_e32 v68, v1, v7
	v_mul_f32_e32 v69, v0, v5
	v_fma_f32 v68, v0, v6, -v68
	v_mul_f32_e32 v0, v0, v7
	ds_read2_b64 v[80:83], v65 offset0:32 offset1:48
	v_fmac_f32_e32 v69, v1, v4
	v_fmac_f32_e32 v0, v1, v6
	v_add_f32_e32 v1, v60, v68
	s_waitcnt lgkmcnt(1)
	v_mul_f32_e32 v60, v73, v5
	v_fma_f32 v60, v72, v4, -v60
	v_mul_f32_e32 v5, v72, v5
	v_fmac_f32_e32 v5, v73, v4
	v_add_f32_e32 v4, v64, v60
	v_mul_f32_e32 v60, v73, v7
	v_fma_f32 v60, v72, v6, -v60
	v_mul_f32_e32 v7, v72, v7
	v_fmac_f32_e32 v7, v73, v6
	v_add_f32_e32 v6, v56, v60
	s_waitcnt lgkmcnt(0)
	v_mul_f32_e32 v56, v3, v81
	v_fma_f32 v56, v2, v80, -v56
	v_add_f32_e32 v27, v27, v56
	v_mul_f32_e32 v56, v3, v83
	v_add_f32_e32 v7, v58, v7
	v_mul_f32_e32 v58, v2, v81
	v_fma_f32 v56, v2, v82, -v56
	v_mul_f32_e32 v2, v2, v83
	v_add_f32_e32 v54, v54, v69
	v_add_f32_e32 v0, v62, v0
	v_fmac_f32_e32 v58, v3, v80
	v_fmac_f32_e32 v2, v3, v82
	v_add_f32_e32 v54, v54, v58
	v_add_f32_e32 v58, v0, v2
	v_mul_f32_e32 v0, v75, v81
	v_add_f32_e32 v56, v1, v56
	v_fma_f32 v0, v74, v80, -v0
	v_mul_f32_e32 v1, v74, v81
	v_add_f32_e32 v5, v66, v5
	v_fmac_f32_e32 v1, v75, v80
	v_add_f32_e32 v4, v4, v0
	v_mul_f32_e32 v0, v75, v83
	v_add_f32_e32 v5, v5, v1
	v_fma_f32 v60, v74, v82, -v0
	ds_read2_b64 v[0:3], v65 offset0:64 offset1:80
	ds_read_b128 v[76:79], v55 offset:4240
	v_mul_f32_e32 v62, v74, v83
	v_add_f32_e32 v60, v6, v60
	v_fmac_f32_e32 v62, v75, v82
	s_waitcnt lgkmcnt(1)
	v_mul_f32_e32 v6, v9, v1
	v_fma_f32 v6, v8, v0, -v6
	v_add_f32_e32 v62, v7, v62
	v_mul_f32_e32 v7, v8, v1
	v_add_f32_e32 v27, v27, v6
	v_mul_f32_e32 v6, v9, v3
	v_fmac_f32_e32 v7, v9, v0
	v_fma_f32 v6, v8, v2, -v6
	v_add_f32_e32 v54, v54, v7
	v_mul_f32_e32 v7, v8, v3
	v_add_f32_e32 v8, v56, v6
	s_waitcnt lgkmcnt(0)
	v_mul_f32_e32 v6, v77, v1
	v_fma_f32 v6, v76, v0, -v6
	v_mul_f32_e32 v1, v76, v1
	v_fmac_f32_e32 v7, v9, v2
	v_fmac_f32_e32 v1, v77, v0
	v_add_f32_e32 v0, v4, v6
	v_mul_f32_e32 v4, v77, v3
	v_add_f32_e32 v9, v58, v7
	v_add_f32_e32 v1, v5, v1
	v_fma_f32 v56, v76, v2, -v4
	ds_read2_b64 v[4:7], v65 offset0:96 offset1:112
	v_mul_f32_e32 v3, v76, v3
	v_fmac_f32_e32 v3, v77, v2
	v_add_f32_e32 v58, v62, v3
	v_add_f32_e32 v56, v60, v56
	s_waitcnt lgkmcnt(0)
	v_mul_f32_e32 v2, v11, v5
	v_fma_f32 v2, v10, v4, -v2
	v_mul_f32_e32 v3, v10, v5
	v_fmac_f32_e32 v3, v11, v4
	v_add_f32_e32 v27, v27, v2
	v_mul_f32_e32 v2, v11, v7
	v_add_f32_e32 v54, v54, v3
	v_fma_f32 v2, v10, v6, -v2
	v_mul_f32_e32 v3, v10, v7
	v_fmac_f32_e32 v3, v11, v6
	v_add_f32_e32 v60, v8, v2
	v_mul_f32_e32 v2, v79, v5
	v_add_f32_e32 v62, v9, v3
	;; [unrolled: 6-line block ×3, first 2 shown]
	v_fma_f32 v4, v78, v6, -v0
	ds_read_b128 v[0:3], v55 offset:160
	ds_read2_b64 v[8:11], v65 offset0:128 offset1:144
	v_mul_f32_e32 v5, v78, v7
	v_fmac_f32_e32 v5, v79, v6
	v_add_f32_e32 v56, v56, v4
	v_add_f32_e32 v58, v58, v5
	ds_read_b128 v[4:7], v55 offset:176
	ds_read_b128 v[72:75], v55 offset:4256
	s_waitcnt lgkmcnt(2)
	v_mul_f32_e32 v68, v1, v9
	v_fma_f32 v68, v0, v8, -v68
	v_add_f32_e32 v27, v27, v68
	v_mul_f32_e32 v68, v1, v11
	v_mul_f32_e32 v69, v0, v9
	v_fma_f32 v68, v0, v10, -v68
	v_mul_f32_e32 v0, v0, v11
	ds_read2_b64 v[80:83], v65 offset0:160 offset1:176
	v_fmac_f32_e32 v69, v1, v8
	v_fmac_f32_e32 v0, v1, v10
	v_add_f32_e32 v1, v60, v68
	s_waitcnt lgkmcnt(1)
	v_mul_f32_e32 v60, v73, v9
	v_fma_f32 v60, v72, v8, -v60
	v_mul_f32_e32 v9, v72, v9
	v_fmac_f32_e32 v9, v73, v8
	v_add_f32_e32 v8, v64, v60
	v_mul_f32_e32 v60, v73, v11
	v_fma_f32 v60, v72, v10, -v60
	v_mul_f32_e32 v11, v72, v11
	v_fmac_f32_e32 v11, v73, v10
	v_add_f32_e32 v10, v56, v60
	s_waitcnt lgkmcnt(0)
	v_mul_f32_e32 v56, v3, v81
	v_fma_f32 v56, v2, v80, -v56
	v_add_f32_e32 v27, v27, v56
	v_mul_f32_e32 v56, v3, v83
	v_add_f32_e32 v11, v58, v11
	v_mul_f32_e32 v58, v2, v81
	v_fma_f32 v56, v2, v82, -v56
	v_mul_f32_e32 v2, v2, v83
	v_add_f32_e32 v54, v54, v69
	v_add_f32_e32 v0, v62, v0
	v_fmac_f32_e32 v58, v3, v80
	v_fmac_f32_e32 v2, v3, v82
	v_add_f32_e32 v54, v54, v58
	v_add_f32_e32 v58, v0, v2
	v_mul_f32_e32 v0, v75, v81
	v_add_f32_e32 v56, v1, v56
	v_fma_f32 v0, v74, v80, -v0
	v_mul_f32_e32 v1, v74, v81
	v_add_f32_e32 v9, v66, v9
	v_fmac_f32_e32 v1, v75, v80
	v_add_f32_e32 v8, v8, v0
	v_mul_f32_e32 v0, v75, v83
	v_add_f32_e32 v9, v9, v1
	v_fma_f32 v60, v74, v82, -v0
	ds_read2_b64 v[0:3], v65 offset0:192 offset1:208
	ds_read_b128 v[76:79], v55 offset:4272
	v_add_f32_e32 v60, v10, v60
	v_mul_f32_e32 v62, v74, v83
	v_fmac_f32_e32 v62, v75, v82
	s_waitcnt lgkmcnt(1)
	v_mul_f32_e32 v10, v5, v1
	v_fma_f32 v10, v4, v0, -v10
	v_add_f32_e32 v27, v27, v10
	v_mul_f32_e32 v10, v5, v3
	v_add_f32_e32 v62, v11, v62
	v_mul_f32_e32 v11, v4, v1
	v_fma_f32 v10, v4, v2, -v10
	v_mul_f32_e32 v4, v4, v3
	v_fmac_f32_e32 v11, v5, v0
	v_fmac_f32_e32 v4, v5, v2
	v_add_f32_e32 v5, v56, v10
	s_waitcnt lgkmcnt(0)
	v_mul_f32_e32 v10, v77, v1
	v_fma_f32 v10, v76, v0, -v10
	v_mul_f32_e32 v1, v76, v1
	v_fmac_f32_e32 v1, v77, v0
	v_add_f32_e32 v0, v8, v10
	v_mul_f32_e32 v8, v77, v3
	v_add_f32_e32 v54, v54, v11
	v_add_f32_e32 v1, v9, v1
	v_fma_f32 v56, v76, v2, -v8
	ds_read2_b64 v[8:11], v65 offset0:224 offset1:240
	v_mul_f32_e32 v3, v76, v3
	v_fmac_f32_e32 v3, v77, v2
	v_add_f32_e32 v4, v58, v4
	v_add_f32_e32 v58, v62, v3
	s_waitcnt lgkmcnt(0)
	v_mul_f32_e32 v2, v7, v9
	v_fma_f32 v2, v6, v8, -v2
	v_mul_f32_e32 v3, v6, v9
	v_fmac_f32_e32 v3, v7, v8
	v_add_f32_e32 v27, v27, v2
	v_mul_f32_e32 v2, v7, v11
	v_add_f32_e32 v54, v54, v3
	v_fma_f32 v2, v6, v10, -v2
	v_mul_f32_e32 v3, v6, v11
	v_add_f32_e32 v56, v60, v56
	v_fmac_f32_e32 v3, v7, v10
	v_add_f32_e32 v60, v5, v2
	v_mul_f32_e32 v2, v79, v9
	v_add_f32_e32 v62, v4, v3
	v_fma_f32 v2, v78, v8, -v2
	v_mul_f32_e32 v3, v78, v9
	v_fmac_f32_e32 v3, v79, v8
	v_add_f32_e32 v64, v0, v2
	v_mul_f32_e32 v0, v79, v11
	v_add_f32_e32 v66, v1, v3
	v_fma_f32 v8, v78, v10, -v0
	ds_read_b128 v[0:3], v55 offset:192
	ds_read2_b64 v[4:7], v67 offset1:16
	v_mul_f32_e32 v9, v78, v11
	v_fmac_f32_e32 v9, v79, v10
	v_add_f32_e32 v56, v56, v8
	v_add_f32_e32 v58, v58, v9
	ds_read_b128 v[8:11], v55 offset:208
	ds_read_b128 v[72:75], v55 offset:4288
	s_waitcnt lgkmcnt(2)
	v_mul_f32_e32 v68, v1, v5
	v_fma_f32 v68, v0, v4, -v68
	v_add_f32_e32 v27, v27, v68
	v_mul_f32_e32 v68, v1, v7
	v_mul_f32_e32 v69, v0, v5
	v_fma_f32 v68, v0, v6, -v68
	v_mul_f32_e32 v0, v0, v7
	ds_read2_b64 v[80:83], v67 offset0:32 offset1:48
	v_fmac_f32_e32 v69, v1, v4
	v_fmac_f32_e32 v0, v1, v6
	v_add_f32_e32 v1, v60, v68
	s_waitcnt lgkmcnt(1)
	v_mul_f32_e32 v60, v73, v5
	v_fma_f32 v60, v72, v4, -v60
	v_mul_f32_e32 v5, v72, v5
	v_fmac_f32_e32 v5, v73, v4
	v_add_f32_e32 v4, v64, v60
	v_mul_f32_e32 v60, v73, v7
	v_fma_f32 v60, v72, v6, -v60
	v_mul_f32_e32 v7, v72, v7
	v_fmac_f32_e32 v7, v73, v6
	v_add_f32_e32 v6, v56, v60
	s_waitcnt lgkmcnt(0)
	v_mul_f32_e32 v56, v3, v81
	v_fma_f32 v56, v2, v80, -v56
	v_add_f32_e32 v27, v27, v56
	v_mul_f32_e32 v56, v3, v83
	v_add_f32_e32 v7, v58, v7
	v_mul_f32_e32 v58, v2, v81
	v_fma_f32 v56, v2, v82, -v56
	v_mul_f32_e32 v2, v2, v83
	v_add_f32_e32 v54, v54, v69
	v_add_f32_e32 v0, v62, v0
	v_fmac_f32_e32 v58, v3, v80
	v_fmac_f32_e32 v2, v3, v82
	v_add_f32_e32 v54, v54, v58
	v_add_f32_e32 v58, v0, v2
	v_mul_f32_e32 v0, v75, v81
	v_add_f32_e32 v56, v1, v56
	v_fma_f32 v0, v74, v80, -v0
	v_mul_f32_e32 v1, v74, v81
	v_add_f32_e32 v5, v66, v5
	v_fmac_f32_e32 v1, v75, v80
	v_add_f32_e32 v4, v4, v0
	v_mul_f32_e32 v0, v75, v83
	v_add_f32_e32 v5, v5, v1
	v_fma_f32 v60, v74, v82, -v0
	ds_read2_b64 v[0:3], v67 offset0:64 offset1:80
	ds_read_b128 v[76:79], v55 offset:4304
	v_mul_f32_e32 v62, v74, v83
	v_add_f32_e32 v60, v6, v60
	v_fmac_f32_e32 v62, v75, v82
	s_waitcnt lgkmcnt(1)
	v_mul_f32_e32 v6, v9, v1
	v_fma_f32 v6, v8, v0, -v6
	v_add_f32_e32 v62, v7, v62
	v_mul_f32_e32 v7, v8, v1
	v_add_f32_e32 v27, v27, v6
	v_mul_f32_e32 v6, v9, v3
	v_fmac_f32_e32 v7, v9, v0
	v_fma_f32 v6, v8, v2, -v6
	v_add_f32_e32 v54, v54, v7
	v_mul_f32_e32 v7, v8, v3
	v_add_f32_e32 v8, v56, v6
	s_waitcnt lgkmcnt(0)
	v_mul_f32_e32 v6, v77, v1
	v_fma_f32 v6, v76, v0, -v6
	v_mul_f32_e32 v1, v76, v1
	v_fmac_f32_e32 v7, v9, v2
	v_fmac_f32_e32 v1, v77, v0
	v_add_f32_e32 v0, v4, v6
	v_mul_f32_e32 v4, v77, v3
	v_add_f32_e32 v9, v58, v7
	v_add_f32_e32 v1, v5, v1
	v_fma_f32 v56, v76, v2, -v4
	ds_read2_b64 v[4:7], v67 offset0:96 offset1:112
	v_mul_f32_e32 v3, v76, v3
	v_fmac_f32_e32 v3, v77, v2
	v_add_f32_e32 v58, v62, v3
	v_add_f32_e32 v56, v60, v56
	s_waitcnt lgkmcnt(0)
	v_mul_f32_e32 v2, v11, v5
	v_fma_f32 v2, v10, v4, -v2
	v_mul_f32_e32 v3, v10, v5
	v_fmac_f32_e32 v3, v11, v4
	v_add_f32_e32 v27, v27, v2
	v_mul_f32_e32 v2, v11, v7
	v_add_f32_e32 v54, v54, v3
	v_fma_f32 v2, v10, v6, -v2
	v_mul_f32_e32 v3, v10, v7
	v_fmac_f32_e32 v3, v11, v6
	v_add_f32_e32 v60, v8, v2
	v_mul_f32_e32 v2, v79, v5
	v_add_f32_e32 v62, v9, v3
	;; [unrolled: 6-line block ×3, first 2 shown]
	v_fma_f32 v4, v78, v6, -v0
	ds_read_b128 v[0:3], v55 offset:224
	ds_read2_b64 v[8:11], v67 offset0:128 offset1:144
	v_mul_f32_e32 v5, v78, v7
	v_fmac_f32_e32 v5, v79, v6
	v_add_f32_e32 v56, v56, v4
	v_add_f32_e32 v58, v58, v5
	ds_read_b128 v[4:7], v55 offset:240
	ds_read_b128 v[72:75], v55 offset:4320
	s_waitcnt lgkmcnt(2)
	v_mul_f32_e32 v68, v1, v9
	v_fma_f32 v68, v0, v8, -v68
	v_add_f32_e32 v27, v27, v68
	v_mul_f32_e32 v68, v1, v11
	v_mul_f32_e32 v69, v0, v9
	v_fma_f32 v68, v0, v10, -v68
	v_mul_f32_e32 v0, v0, v11
	ds_read2_b64 v[80:83], v67 offset0:160 offset1:176
	v_fmac_f32_e32 v69, v1, v8
	v_fmac_f32_e32 v0, v1, v10
	v_add_f32_e32 v1, v60, v68
	s_waitcnt lgkmcnt(1)
	v_mul_f32_e32 v60, v73, v9
	v_fma_f32 v60, v72, v8, -v60
	v_mul_f32_e32 v9, v72, v9
	v_fmac_f32_e32 v9, v73, v8
	v_add_f32_e32 v8, v64, v60
	v_mul_f32_e32 v60, v73, v11
	v_fma_f32 v60, v72, v10, -v60
	v_mul_f32_e32 v11, v72, v11
	v_fmac_f32_e32 v11, v73, v10
	v_add_f32_e32 v10, v56, v60
	s_waitcnt lgkmcnt(0)
	v_mul_f32_e32 v56, v3, v81
	v_fma_f32 v56, v2, v80, -v56
	v_add_f32_e32 v27, v27, v56
	v_mul_f32_e32 v56, v3, v83
	v_add_f32_e32 v11, v58, v11
	v_mul_f32_e32 v58, v2, v81
	v_fma_f32 v56, v2, v82, -v56
	v_mul_f32_e32 v2, v2, v83
	v_add_f32_e32 v54, v54, v69
	v_add_f32_e32 v0, v62, v0
	v_fmac_f32_e32 v58, v3, v80
	v_fmac_f32_e32 v2, v3, v82
	v_add_f32_e32 v54, v54, v58
	v_add_f32_e32 v58, v0, v2
	v_mul_f32_e32 v0, v75, v81
	v_add_f32_e32 v56, v1, v56
	v_fma_f32 v0, v74, v80, -v0
	v_mul_f32_e32 v1, v74, v81
	v_add_f32_e32 v9, v66, v9
	v_fmac_f32_e32 v1, v75, v80
	v_add_f32_e32 v8, v8, v0
	v_mul_f32_e32 v0, v75, v83
	v_add_f32_e32 v9, v9, v1
	v_fma_f32 v60, v74, v82, -v0
	ds_read2_b64 v[0:3], v67 offset0:192 offset1:208
	ds_read_b128 v[76:79], v55 offset:4336
	v_add_f32_e32 v60, v10, v60
	v_mul_f32_e32 v62, v74, v83
	v_fmac_f32_e32 v62, v75, v82
	s_waitcnt lgkmcnt(1)
	v_mul_f32_e32 v10, v5, v1
	v_fma_f32 v10, v4, v0, -v10
	v_add_f32_e32 v27, v27, v10
	v_mul_f32_e32 v10, v5, v3
	v_add_f32_e32 v62, v11, v62
	v_mul_f32_e32 v11, v4, v1
	v_fma_f32 v10, v4, v2, -v10
	v_mul_f32_e32 v4, v4, v3
	v_fmac_f32_e32 v11, v5, v0
	v_fmac_f32_e32 v4, v5, v2
	v_add_f32_e32 v5, v56, v10
	s_waitcnt lgkmcnt(0)
	v_mul_f32_e32 v10, v77, v1
	v_fma_f32 v10, v76, v0, -v10
	v_mul_f32_e32 v1, v76, v1
	v_fmac_f32_e32 v1, v77, v0
	v_add_f32_e32 v0, v8, v10
	v_mul_f32_e32 v8, v77, v3
	v_add_f32_e32 v54, v54, v11
	v_add_f32_e32 v1, v9, v1
	v_fma_f32 v56, v76, v2, -v8
	ds_read2_b64 v[8:11], v67 offset0:224 offset1:240
	v_mul_f32_e32 v3, v76, v3
	v_fmac_f32_e32 v3, v77, v2
	v_add_f32_e32 v2, v60, v56
	v_add_f32_e32 v4, v58, v4
	s_waitcnt lgkmcnt(0)
	v_mul_f32_e32 v56, v7, v9
	v_fma_f32 v56, v6, v8, -v56
	v_add_f32_e32 v66, v27, v56
	v_mul_f32_e32 v27, v7, v11
	v_mul_f32_e32 v58, v6, v9
	v_fma_f32 v27, v6, v10, -v27
	v_mul_f32_e32 v6, v6, v11
	v_fmac_f32_e32 v6, v7, v10
	v_add_f32_e32 v3, v62, v3
	v_add_f32_e32 v62, v5, v27
	;; [unrolled: 1-line block ×3, first 2 shown]
	v_mul_f32_e32 v4, v79, v9
	v_mul_f32_e32 v5, v78, v9
	v_fmac_f32_e32 v58, v7, v8
	v_fma_f32 v4, v78, v8, -v4
	v_fmac_f32_e32 v5, v79, v8
	v_add_f32_e32 v68, v54, v58
	v_add_f32_e32 v58, v0, v4
	;; [unrolled: 1-line block ×3, first 2 shown]
	v_mul_f32_e32 v0, v79, v11
	v_mul_f32_e32 v1, v78, v11
	s_add_u32 s20, s20, 32
	v_fma_f32 v0, v78, v10, -v0
	v_fmac_f32_e32 v1, v79, v10
	s_addc_u32 s21, s21, 0
	s_sub_i32 s10, s20, 32
	v_add_f32_e32 v56, v2, v0
	v_add_f32_e32 v54, v3, v1
	v_lshl_add_u64 v[52:53], v[52:53], 0, s[30:31]
	v_lshl_add_u64 v[50:51], v[50:51], 0, s[30:31]
	s_cmp_ge_i32 s10, s50
	v_lshl_add_u64 v[48:49], v[48:49], 0, s[40:41]
	s_barrier
	s_cbranch_scc1 .LBB93_51
.LBB93_7:                               ;   Parent Loop BB93_4 Depth=1
                                        ; =>  This Inner Loop Header: Depth=2
	v_lshl_add_u64 v[2:3], v[14:15], 0, s[20:21]
	v_cmp_eq_u64_e64 s[10:11], s[20:21], v[38:39]
	s_and_b64 s[46:47], s[24:25], s[10:11]
	v_cmp_gt_i64_e64 s[10:11], v[2:3], v[36:37]
	s_or_b64 s[14:15], s[6:7], s[10:11]
	v_cmp_le_i64_e64 s[12:13], s[26:27], v[2:3]
	s_or_b64 s[14:15], s[14:15], s[46:47]
	v_lshl_add_u64 v[0:1], v[50:51], 0, v[40:41]
	s_nor_b64 s[14:15], s[12:13], s[14:15]
	s_and_saveexec_b64 s[18:19], s[14:15]
	s_xor_b64 s[14:15], exec, s[18:19]
	s_cbranch_execz .LBB93_9
; %bb.8:                                ;   in Loop: Header=BB93_7 Depth=2
	global_load_dwordx2 v[4:5], v[0:1], off
	s_waitcnt vmcnt(0)
	v_xor_b32_e32 v5, 0x80000000, v5
	ds_write_b64 v57, v[4:5]
.LBB93_9:                               ;   in Loop: Header=BB93_7 Depth=2
	s_or_saveexec_b64 s[14:15], s[14:15]
	s_xor_b64 s[44:45], s[46:47], -1
	s_xor_b64 exec, exec, s[14:15]
	s_cbranch_execz .LBB93_15
; %bb.10:                               ;   in Loop: Header=BB93_7 Depth=2
	s_and_saveexec_b64 s[18:19], s[44:45]
	s_xor_b64 s[18:19], exec, s[18:19]
; %bb.11:                               ;   in Loop: Header=BB93_7 Depth=2
	ds_write_b64 v57, v[70:71]
; %bb.12:                               ;   in Loop: Header=BB93_7 Depth=2
	s_andn2_saveexec_b64 s[18:19], s[18:19]
; %bb.13:                               ;   in Loop: Header=BB93_7 Depth=2
	ds_write_b64 v57, v[34:35]
; %bb.14:                               ;   in Loop: Header=BB93_7 Depth=2
	s_or_b64 exec, exec, s[18:19]
.LBB93_15:                              ;   in Loop: Header=BB93_7 Depth=2
	s_or_b64 exec, exec, s[14:15]
	v_lshl_add_u64 v[4:5], v[2:3], 0, 16
	v_cmp_eq_u64_e64 s[14:15], s[20:21], v[46:47]
	v_cmp_gt_i64_e64 s[18:19], v[4:5], v[36:37]
	s_and_b64 s[48:49], s[24:25], s[14:15]
	s_or_b64 s[18:19], s[6:7], s[18:19]
	v_cmp_le_i64_e64 s[14:15], s[26:27], v[4:5]
	s_or_b64 s[18:19], s[18:19], s[48:49]
	s_nor_b64 s[18:19], s[14:15], s[18:19]
	v_lshl_add_u64 v[4:5], v[52:53], 0, v[40:41]
	s_and_saveexec_b64 s[52:53], s[18:19]
	s_xor_b64 s[18:19], exec, s[52:53]
	s_cbranch_execz .LBB93_17
; %bb.16:                               ;   in Loop: Header=BB93_7 Depth=2
	global_load_dwordx2 v[6:7], v[4:5], off
	s_waitcnt vmcnt(0)
	v_xor_b32_e32 v7, 0x80000000, v7
	ds_write_b64 v57, v[6:7] offset:128
.LBB93_17:                              ;   in Loop: Header=BB93_7 Depth=2
	s_andn2_saveexec_b64 s[18:19], s[18:19]
	s_cbranch_execz .LBB93_23
; %bb.18:                               ;   in Loop: Header=BB93_7 Depth=2
	s_xor_b64 s[48:49], s[48:49], -1
	s_and_saveexec_b64 s[52:53], s[48:49]
	s_xor_b64 s[48:49], exec, s[52:53]
; %bb.19:                               ;   in Loop: Header=BB93_7 Depth=2
	ds_write_b64 v57, v[70:71] offset:128
; %bb.20:                               ;   in Loop: Header=BB93_7 Depth=2
	s_andn2_saveexec_b64 s[48:49], s[48:49]
; %bb.21:                               ;   in Loop: Header=BB93_7 Depth=2
	ds_write_b64 v57, v[34:35] offset:128
; %bb.22:                               ;   in Loop: Header=BB93_7 Depth=2
	s_or_b64 exec, exec, s[48:49]
.LBB93_23:                              ;   in Loop: Header=BB93_7 Depth=2
	s_or_b64 exec, exec, s[18:19]
	v_cmp_eq_u64_e64 s[18:19], s[20:21], v[44:45]
	s_and_b64 s[48:49], s[24:25], s[18:19]
	v_cmp_gt_i64_e64 s[18:19], v[2:3], v[42:43]
	s_or_b64 s[18:19], s[8:9], s[18:19]
	s_or_b64 s[18:19], s[18:19], s[48:49]
	s_nor_b64 s[12:13], s[12:13], s[18:19]
	s_and_saveexec_b64 s[18:19], s[12:13]
	s_xor_b64 s[12:13], exec, s[18:19]
	s_cbranch_execz .LBB93_25
; %bb.24:                               ;   in Loop: Header=BB93_7 Depth=2
	global_load_dwordx2 v[0:1], v[0:1], off offset:128
	s_waitcnt vmcnt(0)
	v_xor_b32_e32 v1, 0x80000000, v1
	ds_write_b64 v57, v[0:1] offset:4096
.LBB93_25:                              ;   in Loop: Header=BB93_7 Depth=2
	s_andn2_saveexec_b64 s[12:13], s[12:13]
	s_cbranch_execz .LBB93_31
; %bb.26:                               ;   in Loop: Header=BB93_7 Depth=2
	s_xor_b64 s[18:19], s[48:49], -1
	s_and_saveexec_b64 s[48:49], s[18:19]
	s_xor_b64 s[18:19], exec, s[48:49]
; %bb.27:                               ;   in Loop: Header=BB93_7 Depth=2
	ds_write_b64 v57, v[70:71] offset:4096
; %bb.28:                               ;   in Loop: Header=BB93_7 Depth=2
	s_andn2_saveexec_b64 s[18:19], s[18:19]
; %bb.29:                               ;   in Loop: Header=BB93_7 Depth=2
	ds_write_b64 v57, v[34:35] offset:4096
; %bb.30:                               ;   in Loop: Header=BB93_7 Depth=2
	s_or_b64 exec, exec, s[18:19]
.LBB93_31:                              ;   in Loop: Header=BB93_7 Depth=2
	s_or_b64 exec, exec, s[12:13]
	s_or_b64 s[10:11], s[8:9], s[10:11]
	s_or_b64 s[10:11], s[10:11], s[46:47]
	s_nor_b64 s[10:11], s[14:15], s[10:11]
	s_and_saveexec_b64 s[12:13], s[10:11]
	s_xor_b64 s[10:11], exec, s[12:13]
	s_cbranch_execz .LBB93_33
; %bb.32:                               ;   in Loop: Header=BB93_7 Depth=2
	global_load_dwordx2 v[0:1], v[4:5], off offset:128
	s_waitcnt vmcnt(0)
	v_xor_b32_e32 v1, 0x80000000, v1
	ds_write_b64 v57, v[0:1] offset:4224
.LBB93_33:                              ;   in Loop: Header=BB93_7 Depth=2
	s_andn2_saveexec_b64 s[10:11], s[10:11]
	s_cbranch_execz .LBB93_39
; %bb.34:                               ;   in Loop: Header=BB93_7 Depth=2
	s_and_saveexec_b64 s[12:13], s[44:45]
	s_xor_b64 s[12:13], exec, s[12:13]
; %bb.35:                               ;   in Loop: Header=BB93_7 Depth=2
	ds_write_b64 v57, v[70:71] offset:4224
; %bb.36:                               ;   in Loop: Header=BB93_7 Depth=2
	s_andn2_saveexec_b64 s[12:13], s[12:13]
; %bb.37:                               ;   in Loop: Header=BB93_7 Depth=2
	ds_write_b64 v57, v[34:35] offset:4224
; %bb.38:                               ;   in Loop: Header=BB93_7 Depth=2
	s_or_b64 exec, exec, s[12:13]
.LBB93_39:                              ;   in Loop: Header=BB93_7 Depth=2
	s_or_b64 exec, exec, s[10:11]
	v_lshl_add_u64 v[0:1], v[12:13], 0, s[20:21]
	v_cmp_le_i64_e64 s[10:11], s[26:27], v[0:1]
	v_lshl_add_u64 v[2:3], v[48:49], 0, v[30:31]
	s_nor_b64 s[14:15], s[10:11], vcc
	v_mov_b64_e32 v[4:5], 0
	s_and_saveexec_b64 s[12:13], s[14:15]
	s_cbranch_execz .LBB93_41
; %bb.40:                               ;   in Loop: Header=BB93_7 Depth=2
	global_load_dwordx2 v[4:5], v[2:3], off offset:-128
.LBB93_41:                              ;   in Loop: Header=BB93_7 Depth=2
	s_or_b64 exec, exec, s[12:13]
	s_nor_b64 s[10:11], s[10:11], s[0:1]
	s_waitcnt vmcnt(0)
	ds_write_b64 v61, v[4:5]
	s_and_saveexec_b64 s[12:13], s[10:11]
	s_xor_b64 s[10:11], exec, s[12:13]
	s_cbranch_execz .LBB93_43
; %bb.42:                               ;   in Loop: Header=BB93_7 Depth=2
	global_load_dwordx2 v[2:3], v[2:3], off
	s_waitcnt vmcnt(0)
	ds_write_b64 v61, v[2:3] offset:128
.LBB93_43:                              ;   in Loop: Header=BB93_7 Depth=2
	s_andn2_saveexec_b64 s[10:11], s[10:11]
; %bb.44:                               ;   in Loop: Header=BB93_7 Depth=2
	ds_write_b64 v61, v[70:71] offset:128
; %bb.45:                               ;   in Loop: Header=BB93_7 Depth=2
	s_or_b64 exec, exec, s[10:11]
	v_cmp_le_i64_e64 s[10:11], s[42:43], v[0:1]
	v_lshl_add_u64 v[0:1], v[48:49], 0, v[32:33]
	s_nor_b64 s[14:15], s[10:11], vcc
	v_mov_b64_e32 v[2:3], 0
	s_and_saveexec_b64 s[12:13], s[14:15]
	s_cbranch_execz .LBB93_47
; %bb.46:                               ;   in Loop: Header=BB93_7 Depth=2
	global_load_dwordx2 v[2:3], v[0:1], off
.LBB93_47:                              ;   in Loop: Header=BB93_7 Depth=2
	s_or_b64 exec, exec, s[12:13]
	s_nor_b64 s[10:11], s[10:11], s[0:1]
	s_waitcnt vmcnt(0)
	ds_write_b64 v61, v[2:3] offset:4096
	s_and_saveexec_b64 s[12:13], s[10:11]
	s_xor_b64 s[10:11], exec, s[12:13]
	s_cbranch_execz .LBB93_49
; %bb.48:                               ;   in Loop: Header=BB93_7 Depth=2
	global_load_dwordx2 v[0:1], v[0:1], off offset:128
	s_waitcnt vmcnt(0)
	ds_write_b64 v61, v[0:1] offset:4224
.LBB93_49:                              ;   in Loop: Header=BB93_7 Depth=2
	s_andn2_saveexec_b64 s[10:11], s[10:11]
	s_cbranch_execz .LBB93_6
; %bb.50:                               ;   in Loop: Header=BB93_7 Depth=2
	ds_write_b64 v61, v[70:71] offset:4224
	s_branch .LBB93_6
.LBB93_51:                              ;   in Loop: Header=BB93_4 Depth=1
	v_mul_lo_u32 v2, s29, v36
	v_mul_lo_u32 v3, s28, v37
	v_mad_u64_u32 v[0:1], s[8:9], s28, v36, 0
	v_cmp_gt_i32_e64 s[6:7], s38, v36
	v_add3_u32 v1, v1, v3, v2
	v_lshl_add_u64 v[0:1], v[0:1], 3, s[22:23]
	s_and_b64 s[10:11], s[16:17], s[6:7]
	s_and_saveexec_b64 s[8:9], s[10:11]
	s_cbranch_execz .LBB93_53
; %bb.52:                               ;   in Loop: Header=BB93_4 Depth=1
	v_lshl_add_u64 v[2:3], v[16:17], 3, v[0:1]
	global_load_dwordx2 v[4:5], v[2:3], off
	v_pk_mul_f32 v[6:7], v[68:69], s[36:37] op_sel_hi:[0,1]
	v_pk_fma_f32 v[8:9], v[66:67], s[34:35], v[6:7] neg_lo:[0,0,1] neg_hi:[0,0,1]
	v_pk_fma_f32 v[6:7], v[66:67], s[34:35], v[6:7] op_sel_hi:[0,1,1]
	v_mov_b32_e32 v9, v7
	s_waitcnt vmcnt(0)
	v_pk_add_f32 v[4:5], v[4:5], v[8:9]
	global_store_dwordx2 v[2:3], v[4:5], off
.LBB93_53:                              ;   in Loop: Header=BB93_4 Depth=1
	s_or_b64 exec, exec, s[8:9]
	s_and_b64 s[8:9], s[4:5], s[6:7]
	s_and_saveexec_b64 s[6:7], s[8:9]
	s_cbranch_execz .LBB93_55
; %bb.54:                               ;   in Loop: Header=BB93_4 Depth=1
	v_lshl_add_u64 v[0:1], v[22:23], 3, v[0:1]
	global_load_dwordx2 v[2:3], v[0:1], off
	v_pk_mul_f32 v[4:5], v[64:65], s[36:37] op_sel_hi:[0,1]
	v_pk_fma_f32 v[6:7], v[62:63], s[34:35], v[4:5] neg_lo:[0,0,1] neg_hi:[0,0,1]
	v_pk_fma_f32 v[4:5], v[62:63], s[34:35], v[4:5] op_sel_hi:[0,1,1]
	v_mov_b32_e32 v7, v5
	s_waitcnt vmcnt(0)
	v_pk_add_f32 v[2:3], v[2:3], v[6:7]
	global_store_dwordx2 v[0:1], v[2:3], off
.LBB93_55:                              ;   in Loop: Header=BB93_4 Depth=1
	s_or_b64 exec, exec, s[6:7]
	v_add_u32_e32 v0, 16, v36
	v_ashrrev_i32_e32 v1, 31, v0
	v_cmp_gt_i32_e64 s[6:7], s38, v0
	v_mul_lo_u32 v2, s28, v1
	v_mul_lo_u32 v3, s29, v0
	v_mad_u64_u32 v[0:1], s[8:9], s28, v0, 0
	v_add3_u32 v1, v1, v2, v3
	v_lshl_add_u64 v[0:1], v[0:1], 3, s[22:23]
	s_and_b64 s[10:11], s[16:17], s[6:7]
	s_and_saveexec_b64 s[8:9], s[10:11]
	s_cbranch_execz .LBB93_57
; %bb.56:                               ;   in Loop: Header=BB93_4 Depth=1
	v_lshl_add_u64 v[2:3], v[16:17], 3, v[0:1]
	global_load_dwordx2 v[4:5], v[2:3], off
	v_pk_mul_f32 v[6:7], v[60:61], s[36:37] op_sel_hi:[0,1]
	v_pk_fma_f32 v[8:9], v[58:59], s[34:35], v[6:7] neg_lo:[0,0,1] neg_hi:[0,0,1]
	v_pk_fma_f32 v[6:7], v[58:59], s[34:35], v[6:7] op_sel_hi:[0,1,1]
	v_mov_b32_e32 v9, v7
	s_waitcnt vmcnt(0)
	v_pk_add_f32 v[4:5], v[4:5], v[8:9]
	global_store_dwordx2 v[2:3], v[4:5], off
.LBB93_57:                              ;   in Loop: Header=BB93_4 Depth=1
	s_or_b64 exec, exec, s[8:9]
	s_and_b64 s[8:9], s[4:5], s[6:7]
	s_and_saveexec_b64 s[6:7], s[8:9]
	s_cbranch_execz .LBB93_3
; %bb.58:                               ;   in Loop: Header=BB93_4 Depth=1
	v_lshl_add_u64 v[0:1], v[22:23], 3, v[0:1]
	global_load_dwordx2 v[2:3], v[0:1], off
	v_pk_mul_f32 v[4:5], v[54:55], s[36:37] op_sel_hi:[0,1]
	v_pk_fma_f32 v[6:7], v[56:57], s[34:35], v[4:5] neg_lo:[0,0,1] neg_hi:[0,0,1]
	v_pk_fma_f32 v[4:5], v[56:57], s[34:35], v[4:5] op_sel_hi:[0,1,1]
	v_mov_b32_e32 v7, v5
	s_waitcnt vmcnt(0)
	v_pk_add_f32 v[2:3], v[2:3], v[6:7]
	global_store_dwordx2 v[0:1], v[2:3], off
	s_branch .LBB93_3
.LBB93_59:
	s_endpgm
	.section	.rodata,"a",@progbits
	.p2align	6, 0x0
	.amdhsa_kernel _ZL30rocblas_trmm_outofplace_kernelI19rocblas_complex_numIfELi32ELi2ELb0ELb0ELb1ELb1ES1_KS1_S1_Ev17rocblas_diagonal_iiT6_lPT7_lllS6_lllPT8_llli
		.amdhsa_group_segment_fixed_size 16384
		.amdhsa_private_segment_fixed_size 0
		.amdhsa_kernarg_size 392
		.amdhsa_user_sgpr_count 2
		.amdhsa_user_sgpr_dispatch_ptr 0
		.amdhsa_user_sgpr_queue_ptr 0
		.amdhsa_user_sgpr_kernarg_segment_ptr 1
		.amdhsa_user_sgpr_dispatch_id 0
		.amdhsa_user_sgpr_kernarg_preload_length 0
		.amdhsa_user_sgpr_kernarg_preload_offset 0
		.amdhsa_user_sgpr_private_segment_size 0
		.amdhsa_uses_dynamic_stack 0
		.amdhsa_enable_private_segment 0
		.amdhsa_system_sgpr_workgroup_id_x 1
		.amdhsa_system_sgpr_workgroup_id_y 1
		.amdhsa_system_sgpr_workgroup_id_z 1
		.amdhsa_system_sgpr_workgroup_info 0
		.amdhsa_system_vgpr_workitem_id 1
		.amdhsa_next_free_vgpr 92
		.amdhsa_next_free_sgpr 54
		.amdhsa_accum_offset 92
		.amdhsa_reserve_vcc 1
		.amdhsa_float_round_mode_32 0
		.amdhsa_float_round_mode_16_64 0
		.amdhsa_float_denorm_mode_32 3
		.amdhsa_float_denorm_mode_16_64 3
		.amdhsa_dx10_clamp 1
		.amdhsa_ieee_mode 1
		.amdhsa_fp16_overflow 0
		.amdhsa_tg_split 0
		.amdhsa_exception_fp_ieee_invalid_op 0
		.amdhsa_exception_fp_denorm_src 0
		.amdhsa_exception_fp_ieee_div_zero 0
		.amdhsa_exception_fp_ieee_overflow 0
		.amdhsa_exception_fp_ieee_underflow 0
		.amdhsa_exception_fp_ieee_inexact 0
		.amdhsa_exception_int_div_zero 0
	.end_amdhsa_kernel
	.section	.text._ZL30rocblas_trmm_outofplace_kernelI19rocblas_complex_numIfELi32ELi2ELb0ELb0ELb1ELb1ES1_KS1_S1_Ev17rocblas_diagonal_iiT6_lPT7_lllS6_lllPT8_llli,"axG",@progbits,_ZL30rocblas_trmm_outofplace_kernelI19rocblas_complex_numIfELi32ELi2ELb0ELb0ELb1ELb1ES1_KS1_S1_Ev17rocblas_diagonal_iiT6_lPT7_lllS6_lllPT8_llli,comdat
.Lfunc_end93:
	.size	_ZL30rocblas_trmm_outofplace_kernelI19rocblas_complex_numIfELi32ELi2ELb0ELb0ELb1ELb1ES1_KS1_S1_Ev17rocblas_diagonal_iiT6_lPT7_lllS6_lllPT8_llli, .Lfunc_end93-_ZL30rocblas_trmm_outofplace_kernelI19rocblas_complex_numIfELi32ELi2ELb0ELb0ELb1ELb1ES1_KS1_S1_Ev17rocblas_diagonal_iiT6_lPT7_lllS6_lllPT8_llli
                                        ; -- End function
	.set _ZL30rocblas_trmm_outofplace_kernelI19rocblas_complex_numIfELi32ELi2ELb0ELb0ELb1ELb1ES1_KS1_S1_Ev17rocblas_diagonal_iiT6_lPT7_lllS6_lllPT8_llli.num_vgpr, 92
	.set _ZL30rocblas_trmm_outofplace_kernelI19rocblas_complex_numIfELi32ELi2ELb0ELb0ELb1ELb1ES1_KS1_S1_Ev17rocblas_diagonal_iiT6_lPT7_lllS6_lllPT8_llli.num_agpr, 0
	.set _ZL30rocblas_trmm_outofplace_kernelI19rocblas_complex_numIfELi32ELi2ELb0ELb0ELb1ELb1ES1_KS1_S1_Ev17rocblas_diagonal_iiT6_lPT7_lllS6_lllPT8_llli.numbered_sgpr, 54
	.set _ZL30rocblas_trmm_outofplace_kernelI19rocblas_complex_numIfELi32ELi2ELb0ELb0ELb1ELb1ES1_KS1_S1_Ev17rocblas_diagonal_iiT6_lPT7_lllS6_lllPT8_llli.num_named_barrier, 0
	.set _ZL30rocblas_trmm_outofplace_kernelI19rocblas_complex_numIfELi32ELi2ELb0ELb0ELb1ELb1ES1_KS1_S1_Ev17rocblas_diagonal_iiT6_lPT7_lllS6_lllPT8_llli.private_seg_size, 0
	.set _ZL30rocblas_trmm_outofplace_kernelI19rocblas_complex_numIfELi32ELi2ELb0ELb0ELb1ELb1ES1_KS1_S1_Ev17rocblas_diagonal_iiT6_lPT7_lllS6_lllPT8_llli.uses_vcc, 1
	.set _ZL30rocblas_trmm_outofplace_kernelI19rocblas_complex_numIfELi32ELi2ELb0ELb0ELb1ELb1ES1_KS1_S1_Ev17rocblas_diagonal_iiT6_lPT7_lllS6_lllPT8_llli.uses_flat_scratch, 0
	.set _ZL30rocblas_trmm_outofplace_kernelI19rocblas_complex_numIfELi32ELi2ELb0ELb0ELb1ELb1ES1_KS1_S1_Ev17rocblas_diagonal_iiT6_lPT7_lllS6_lllPT8_llli.has_dyn_sized_stack, 0
	.set _ZL30rocblas_trmm_outofplace_kernelI19rocblas_complex_numIfELi32ELi2ELb0ELb0ELb1ELb1ES1_KS1_S1_Ev17rocblas_diagonal_iiT6_lPT7_lllS6_lllPT8_llli.has_recursion, 0
	.set _ZL30rocblas_trmm_outofplace_kernelI19rocblas_complex_numIfELi32ELi2ELb0ELb0ELb1ELb1ES1_KS1_S1_Ev17rocblas_diagonal_iiT6_lPT7_lllS6_lllPT8_llli.has_indirect_call, 0
	.section	.AMDGPU.csdata,"",@progbits
; Kernel info:
; codeLenInByte = 6304
; TotalNumSgprs: 60
; NumVgprs: 92
; NumAgprs: 0
; TotalNumVgprs: 92
; ScratchSize: 0
; MemoryBound: 0
; FloatMode: 240
; IeeeMode: 1
; LDSByteSize: 16384 bytes/workgroup (compile time only)
; SGPRBlocks: 7
; VGPRBlocks: 11
; NumSGPRsForWavesPerEU: 60
; NumVGPRsForWavesPerEU: 92
; AccumOffset: 92
; Occupancy: 5
; WaveLimiterHint : 0
; COMPUTE_PGM_RSRC2:SCRATCH_EN: 0
; COMPUTE_PGM_RSRC2:USER_SGPR: 2
; COMPUTE_PGM_RSRC2:TRAP_HANDLER: 0
; COMPUTE_PGM_RSRC2:TGID_X_EN: 1
; COMPUTE_PGM_RSRC2:TGID_Y_EN: 1
; COMPUTE_PGM_RSRC2:TGID_Z_EN: 1
; COMPUTE_PGM_RSRC2:TIDIG_COMP_CNT: 1
; COMPUTE_PGM_RSRC3_GFX90A:ACCUM_OFFSET: 22
; COMPUTE_PGM_RSRC3_GFX90A:TG_SPLIT: 0
	.section	.text._ZL30rocblas_trmm_outofplace_kernelI19rocblas_complex_numIfELi32ELi2ELb0ELb1ELb1ELb1EPKS1_S2_S1_Ev17rocblas_diagonal_iiT6_lPT7_lllS7_lllPT8_llli,"axG",@progbits,_ZL30rocblas_trmm_outofplace_kernelI19rocblas_complex_numIfELi32ELi2ELb0ELb1ELb1ELb1EPKS1_S2_S1_Ev17rocblas_diagonal_iiT6_lPT7_lllS7_lllPT8_llli,comdat
	.globl	_ZL30rocblas_trmm_outofplace_kernelI19rocblas_complex_numIfELi32ELi2ELb0ELb1ELb1ELb1EPKS1_S2_S1_Ev17rocblas_diagonal_iiT6_lPT7_lllS7_lllPT8_llli ; -- Begin function _ZL30rocblas_trmm_outofplace_kernelI19rocblas_complex_numIfELi32ELi2ELb0ELb1ELb1ELb1EPKS1_S2_S1_Ev17rocblas_diagonal_iiT6_lPT7_lllS7_lllPT8_llli
	.p2align	8
	.type	_ZL30rocblas_trmm_outofplace_kernelI19rocblas_complex_numIfELi32ELi2ELb0ELb1ELb1ELb1EPKS1_S2_S1_Ev17rocblas_diagonal_iiT6_lPT7_lllS7_lllPT8_llli,@function
_ZL30rocblas_trmm_outofplace_kernelI19rocblas_complex_numIfELi32ELi2ELb0ELb1ELb1ELb1EPKS1_S2_S1_Ev17rocblas_diagonal_iiT6_lPT7_lllS7_lllPT8_llli: ; @_ZL30rocblas_trmm_outofplace_kernelI19rocblas_complex_numIfELi32ELi2ELb0ELb1ELb1ELb1EPKS1_S2_S1_Ev17rocblas_diagonal_iiT6_lPT7_lllS7_lllPT8_llli
; %bb.0:
	s_load_dwordx16 s[16:31], s[0:1], 0x10
	s_waitcnt lgkmcnt(0)
	s_mul_i32 s5, s19, s4
	s_mul_hi_u32 s6, s18, s4
	s_add_i32 s7, s6, s5
	s_mul_i32 s6, s18, s4
	s_lshl_b64 s[6:7], s[6:7], 3
	s_add_u32 s6, s16, s6
	s_addc_u32 s7, s17, s7
	s_load_dwordx2 s[34:35], s[6:7], 0x0
	s_waitcnt lgkmcnt(0)
	s_or_b32 s5, s34, s35
	s_bitset0_b32 s5, 31
	s_cmp_eq_u32 s5, 0
	s_cbranch_scc1 .LBB94_60
; %bb.1:
	s_load_dwordx4 s[44:47], s[0:1], 0x0
	s_waitcnt lgkmcnt(0)
	s_add_i32 s5, s46, -1
	s_ashr_i32 s6, s5, 31
	s_lshr_b32 s6, s6, 27
	s_add_i32 s5, s5, s6
	s_ashr_i32 s33, s5, 5
	s_cmp_gt_i32 s3, s33
	s_cbranch_scc1 .LBB94_60
; %bb.2:
	s_load_dwordx4 s[48:51], s[0:1], 0x70
	s_load_dwordx8 s[36:43], s[0:1], 0x50
	s_load_dword s64, s[0:1], 0x8c
	v_bfe_u32 v55, v0, 10, 10
	v_and_b32_e32 v2, 0x3ff, v0
	v_lshl_add_u32 v16, s2, 5, v2
	s_waitcnt lgkmcnt(0)
	s_mul_i32 s0, s51, s4
	s_mul_hi_u32 s1, s50, s4
	s_add_i32 s1, s1, s0
	s_mul_i32 s0, s50, s4
	s_lshl_b64 s[0:1], s[0:1], 3
	s_add_u32 s5, s40, s0
	s_addc_u32 s6, s41, s1
	s_lshl_b64 s[0:1], s[42:43], 3
	s_add_u32 s40, s5, s0
	s_addc_u32 s41, s6, s1
	s_cmpk_eq_i32 s44, 0x84
	s_cselect_b64 s[42:43], -1, 0
	s_ashr_i32 s47, s46, 31
	s_ashr_i32 s0, s45, 31
	s_lshl_b64 s[50:51], s[24:25], 8
	s_lshl_b64 s[52:53], s[36:37], 8
	s_add_u32 s54, s46, -16
	s_addc_u32 s55, s47, -1
	s_lshl_b32 s5, s3, 5
	v_add_u32_e32 v20, s5, v2
	v_add_u32_e32 v22, s5, v55
	s_mul_i32 s5, s27, s4
	s_mul_hi_u32 s6, s26, s4
	s_add_i32 s7, s6, s5
	s_mul_i32 s6, s26, s4
	s_lshl_b32 s2, s64, 5
	s_lshl_b64 s[6:7], s[6:7], 3
	s_lshl_b64 s[8:9], s[22:23], 3
	s_add_u32 s5, s6, s8
	s_addc_u32 s6, s7, s9
	s_add_u32 s20, s20, s5
	s_addc_u32 s21, s21, s6
	s_lshl_b64 s[22:23], s[24:25], 3
	s_add_u32 s56, s28, 0x80
	s_mul_i32 s5, s39, s4
	s_mul_hi_u32 s6, s38, s4
	s_addc_u32 s57, s29, 0
	s_add_i32 s5, s6, s5
	s_mul_i32 s4, s38, s4
	s_lshl_b64 s[58:59], s[36:37], 3
	s_lshl_b64 s[4:5], s[4:5], 3
	;; [unrolled: 1-line block ×3, first 2 shown]
	v_ashrrev_i32_e32 v17, 31, v16
	v_lshlrev_b32_e32 v3, 3, v2
	v_mov_b32_e32 v1, s0
	v_sub_co_u32_e32 v0, vcc, s45, v16
	s_add_u32 s4, s4, s6
	v_lshlrev_b32_e32 v57, 8, v55
	v_subb_co_u32_e32 v1, vcc, v1, v17, vcc
	v_or_b32_e32 v61, 0x2000, v3
	v_add_u32_e32 v18, 16, v16
	s_addc_u32 s5, s5, s7
	v_mov_b32_e32 v28, 0
	v_add_u32_e32 v59, v57, v3
	v_add_u32_e32 v63, v61, v57
	v_cmp_gt_i64_e32 vcc, 1, v[0:1]
	v_cmp_gt_i64_e64 s[0:1], 17, v[0:1]
	v_cmp_gt_i32_e64 s[16:17], s45, v16
	v_cmp_gt_i32_e64 s[18:19], s45, v18
	v_ashrrev_i32_e32 v19, 31, v18
	s_mov_b32 s44, s35
	s_mov_b32 s45, s34
	s_mov_b64 s[26:27], 0x80
	v_lshl_add_u64 v[24:25], v[16:17], 3, s[4:5]
	v_mov_b64_e32 v[26:27], 0x80
	v_mov_b32_e32 v29, v28
	v_mov_b32_e32 v30, 1.0
	v_mov_b32_e32 v31, v28
	v_add_u32_e32 v65, 0x800, v61
	v_add_u32_e32 v66, 0x1000, v61
	;; [unrolled: 1-line block ×3, first 2 shown]
	s_branch .LBB94_4
.LBB94_3:                               ;   in Loop: Header=BB94_4 Depth=1
	s_or_b64 exec, exec, s[4:5]
	s_add_i32 s3, s64, s3
	v_add_u32_e32 v20, s2, v20
	s_cmp_le_i32 s3, s33
	v_add_u32_e32 v22, s2, v22
	s_cbranch_scc0 .LBB94_60
.LBB94_4:                               ; =>This Loop Header: Depth=1
                                        ;     Child Loop BB94_7 Depth 2
	s_lshl_b32 s4, s3, 5
	v_add_u32_e32 v32, s4, v55
	s_sub_i32 s65, s46, s4
	v_ashrrev_i32_e32 v21, 31, v20
	v_ashrrev_i32_e32 v23, 31, v22
	s_cmp_lt_i32 s65, 1
	v_ashrrev_i32_e32 v33, 31, v32
	s_cbranch_scc1 .LBB94_51
; %bb.5:                                ;   in Loop: Header=BB94_4 Depth=1
	v_sub_co_u32_e64 v34, s[4:5], v22, v20
	v_lshl_add_u64 v[0:1], v[20:21], 3, v[26:27]
	v_mov_b64_e32 v[2:3], s[20:21]
	v_subb_co_u32_e64 v35, s[4:5], v23, v21, s[4:5]
	v_mul_lo_u32 v1, s24, v1
	v_mul_lo_u32 v4, s25, v0
	v_mad_u64_u32 v[38:39], s[4:5], s24, v0, v[2:3]
	v_add3_u32 v39, v4, v39, v1
	v_mad_u64_u32 v[40:41], s[4:5], s22, v20, v[2:3]
	v_mul_lo_u32 v0, s22, v21
	v_mul_lo_u32 v1, s23, v20
	v_add3_u32 v41, v1, v41, v0
	v_mov_b64_e32 v[0:1], s[56:57]
	v_lshlrev_b64 v[36:37], 3, v[22:23]
	v_mad_u64_u32 v[42:43], s[4:5], s58, v22, v[0:1]
	v_mul_lo_u32 v0, s58, v23
	v_mul_lo_u32 v1, s59, v22
	v_add3_u32 v43, v1, v43, v0
	v_lshl_add_u64 v[0:1], v[36:37], 0, s[26:27]
	v_mov_b64_e32 v[2:3], s[28:29]
	v_mul_lo_u32 v1, s36, v1
	v_mul_lo_u32 v4, s37, v0
	v_mad_u64_u32 v[44:45], s[4:5], s36, v0, v[2:3]
	v_lshl_add_u64 v[46:47], v[32:33], 0, 16
	v_add3_u32 v45, v4, v45, v1
	v_cmp_le_i32_e64 s[6:7], s46, v32
	v_cmp_le_i64_e64 s[8:9], s[46:47], v[46:47]
	v_lshl_add_u64 v[48:49], v[34:35], 0, 16
	v_lshl_add_u64 v[50:51], v[34:35], 0, -16
	v_mov_b32_e32 v12, 0
	s_mov_b64 s[30:31], 0
	v_mov_b64_e32 v[52:53], v[24:25]
	v_mov_b32_e32 v14, 0
	v_mov_b32_e32 v56, 0
	;; [unrolled: 1-line block ×7, first 2 shown]
	s_branch .LBB94_7
.LBB94_6:                               ;   in Loop: Header=BB94_7 Depth=2
	s_or_b64 exec, exec, s[4:5]
	s_waitcnt lgkmcnt(0)
	s_barrier
	ds_read_b128 v[68:71], v57
	ds_read_b128 v[8:11], v57 offset:16
	ds_read_b128 v[4:7], v57 offset:32
	;; [unrolled: 1-line block ×3, first 2 shown]
	ds_read2_b64 v[72:75], v61 offset1:16
	ds_read_b128 v[76:79], v57 offset:4096
	s_add_u32 s30, s30, 32
	s_addc_u32 s31, s31, 0
	v_lshl_add_u64 v[38:39], v[38:39], 0, s[50:51]
	s_waitcnt lgkmcnt(1)
	v_mul_f32_e32 v13, v69, v73
	v_mul_f32_e32 v15, v68, v73
	v_fma_f32 v13, v68, v72, -v13
	v_fmac_f32_e32 v15, v69, v72
	v_add_f32_e32 v62, v62, v13
	v_add_f32_e32 v64, v64, v15
	v_mul_f32_e32 v13, v69, v75
	v_mul_f32_e32 v15, v68, v75
	v_fma_f32 v13, v68, v74, -v13
	v_fmac_f32_e32 v15, v69, v74
	v_add_f32_e32 v58, v58, v13
	v_add_f32_e32 v60, v60, v15
	s_waitcnt lgkmcnt(0)
	v_mul_f32_e32 v13, v77, v73
	v_mul_f32_e32 v15, v76, v73
	v_fma_f32 v13, v76, v72, -v13
	v_fmac_f32_e32 v15, v77, v72
	v_add_f32_e32 v54, v54, v13
	v_add_f32_e32 v56, v56, v15
	v_mul_f32_e32 v13, v77, v75
	v_mul_f32_e32 v15, v76, v75
	v_fma_f32 v13, v76, v74, -v13
	v_fmac_f32_e32 v15, v77, v74
	v_add_f32_e32 v68, v14, v13
	v_add_f32_e32 v69, v12, v15
	ds_read2_b64 v[12:15], v61 offset0:32 offset1:48
	v_lshl_add_u64 v[40:41], v[40:41], 0, s[50:51]
	v_lshl_add_u64 v[52:53], v[52:53], 0, s[52:53]
	s_cmp_ge_i32 s30, s65
	s_waitcnt lgkmcnt(0)
	v_mul_f32_e32 v72, v71, v13
	v_fma_f32 v72, v70, v12, -v72
	v_add_f32_e32 v62, v62, v72
	v_mul_f32_e32 v72, v71, v15
	v_mul_f32_e32 v73, v70, v13
	v_fma_f32 v72, v70, v14, -v72
	v_mul_f32_e32 v70, v70, v15
	v_fmac_f32_e32 v70, v71, v14
	v_add_f32_e32 v60, v60, v70
	v_mul_f32_e32 v70, v79, v13
	v_mul_f32_e32 v13, v78, v13
	v_fmac_f32_e32 v13, v79, v12
	v_fmac_f32_e32 v73, v71, v12
	v_fma_f32 v70, v78, v12, -v70
	v_add_f32_e32 v56, v56, v13
	v_mul_f32_e32 v12, v79, v15
	v_mul_f32_e32 v13, v78, v15
	v_fma_f32 v12, v78, v14, -v12
	v_fmac_f32_e32 v13, v79, v14
	v_add_f32_e32 v64, v64, v73
	v_add_f32_e32 v58, v58, v72
	;; [unrolled: 1-line block ×4, first 2 shown]
	ds_read2_b64 v[12:15], v61 offset0:64 offset1:80
	v_add_f32_e32 v54, v54, v70
	s_waitcnt lgkmcnt(0)
	v_mul_f32_e32 v68, v9, v13
	v_fma_f32 v68, v8, v12, -v68
	v_mul_f32_e32 v69, v8, v13
	v_add_f32_e32 v62, v62, v68
	v_mul_f32_e32 v68, v9, v15
	v_fmac_f32_e32 v69, v9, v12
	v_fma_f32 v68, v8, v14, -v68
	v_mul_f32_e32 v8, v8, v15
	v_add_f32_e32 v64, v64, v69
	v_fmac_f32_e32 v8, v9, v14
	v_add_f32_e32 v9, v58, v68
	ds_read_b128 v[68:71], v57 offset:4112
	v_add_f32_e32 v8, v60, v8
	s_waitcnt lgkmcnt(0)
	v_mul_f32_e32 v58, v69, v13
	v_mul_f32_e32 v13, v68, v13
	v_fmac_f32_e32 v13, v69, v12
	v_fma_f32 v58, v68, v12, -v58
	v_add_f32_e32 v56, v56, v13
	v_mul_f32_e32 v12, v69, v15
	v_mul_f32_e32 v13, v68, v15
	v_fma_f32 v12, v68, v14, -v12
	v_fmac_f32_e32 v13, v69, v14
	v_add_f32_e32 v54, v54, v58
	v_add_f32_e32 v58, v72, v12
	;; [unrolled: 1-line block ×3, first 2 shown]
	ds_read2_b64 v[12:15], v61 offset0:96 offset1:112
	s_waitcnt lgkmcnt(0)
	v_mul_f32_e32 v68, v11, v13
	v_fma_f32 v68, v10, v12, -v68
	v_add_f32_e32 v62, v62, v68
	v_mul_f32_e32 v68, v11, v15
	v_mul_f32_e32 v69, v10, v13
	v_fma_f32 v68, v10, v14, -v68
	v_mul_f32_e32 v10, v10, v15
	v_fmac_f32_e32 v69, v11, v12
	v_fmac_f32_e32 v10, v11, v14
	v_add_f32_e32 v64, v64, v69
	v_add_f32_e32 v68, v9, v68
	;; [unrolled: 1-line block ×3, first 2 shown]
	v_mul_f32_e32 v8, v71, v13
	v_mul_f32_e32 v9, v70, v13
	v_fma_f32 v8, v70, v12, -v8
	v_fmac_f32_e32 v9, v71, v12
	v_add_f32_e32 v54, v54, v8
	v_add_f32_e32 v56, v56, v9
	v_mul_f32_e32 v8, v71, v15
	v_mul_f32_e32 v9, v70, v15
	v_fma_f32 v8, v70, v14, -v8
	v_fmac_f32_e32 v9, v71, v14
	v_add_f32_e32 v58, v58, v8
	v_add_f32_e32 v60, v60, v9
	ds_read2_b64 v[8:11], v61 offset0:128 offset1:144
	s_waitcnt lgkmcnt(0)
	v_mul_f32_e32 v12, v5, v9
	v_fma_f32 v12, v4, v8, -v12
	v_mul_f32_e32 v13, v4, v9
	v_add_f32_e32 v62, v62, v12
	v_mul_f32_e32 v12, v5, v11
	v_fmac_f32_e32 v13, v5, v8
	v_fma_f32 v12, v4, v10, -v12
	v_mul_f32_e32 v4, v4, v11
	v_add_f32_e32 v64, v64, v13
	v_fmac_f32_e32 v4, v5, v10
	v_add_f32_e32 v5, v68, v12
	ds_read_b128 v[12:15], v57 offset:4128
	v_add_f32_e32 v4, v69, v4
	s_waitcnt lgkmcnt(0)
	v_mul_f32_e32 v68, v13, v9
	v_mul_f32_e32 v9, v12, v9
	v_fmac_f32_e32 v9, v13, v8
	v_fma_f32 v68, v12, v8, -v68
	v_add_f32_e32 v56, v56, v9
	v_mul_f32_e32 v8, v13, v11
	v_mul_f32_e32 v9, v12, v11
	v_fma_f32 v8, v12, v10, -v8
	v_fmac_f32_e32 v9, v13, v10
	v_add_f32_e32 v12, v58, v8
	v_add_f32_e32 v13, v60, v9
	ds_read2_b64 v[8:11], v61 offset0:160 offset1:176
	v_add_f32_e32 v54, v54, v68
	s_waitcnt lgkmcnt(0)
	v_mul_f32_e32 v58, v7, v9
	v_fma_f32 v58, v6, v8, -v58
	v_add_f32_e32 v58, v62, v58
	v_mul_f32_e32 v62, v7, v11
	v_mul_f32_e32 v60, v6, v9
	v_fma_f32 v62, v6, v10, -v62
	v_mul_f32_e32 v6, v6, v11
	v_fmac_f32_e32 v60, v7, v8
	v_fmac_f32_e32 v6, v7, v10
	v_add_f32_e32 v60, v64, v60
	v_add_f32_e32 v62, v5, v62
	;; [unrolled: 1-line block ×3, first 2 shown]
	v_mul_f32_e32 v4, v15, v9
	v_mul_f32_e32 v5, v14, v9
	v_fma_f32 v4, v14, v8, -v4
	v_fmac_f32_e32 v5, v15, v8
	v_add_f32_e32 v54, v54, v4
	v_add_f32_e32 v56, v56, v5
	v_mul_f32_e32 v4, v15, v11
	v_mul_f32_e32 v5, v14, v11
	v_fma_f32 v4, v14, v10, -v4
	v_fmac_f32_e32 v5, v15, v10
	v_add_f32_e32 v12, v12, v4
	v_add_f32_e32 v13, v13, v5
	ds_read2_b64 v[4:7], v61 offset0:192 offset1:208
	s_waitcnt lgkmcnt(0)
	v_mul_f32_e32 v8, v1, v5
	v_fma_f32 v8, v0, v4, -v8
	v_mul_f32_e32 v9, v0, v5
	v_add_f32_e32 v14, v58, v8
	v_mul_f32_e32 v8, v1, v7
	v_fmac_f32_e32 v9, v1, v4
	v_fma_f32 v8, v0, v6, -v8
	v_mul_f32_e32 v0, v0, v7
	v_add_f32_e32 v15, v60, v9
	v_fmac_f32_e32 v0, v1, v6
	v_add_f32_e32 v1, v62, v8
	ds_read_b128 v[8:11], v57 offset:4144
	v_add_f32_e32 v0, v64, v0
	s_waitcnt lgkmcnt(0)
	v_mul_f32_e32 v58, v9, v5
	v_mul_f32_e32 v5, v8, v5
	v_fmac_f32_e32 v5, v9, v4
	v_fma_f32 v58, v8, v4, -v58
	v_add_f32_e32 v56, v56, v5
	v_mul_f32_e32 v4, v9, v7
	v_mul_f32_e32 v5, v8, v7
	v_fma_f32 v4, v8, v6, -v4
	v_fmac_f32_e32 v5, v9, v6
	v_add_f32_e32 v8, v12, v4
	v_add_f32_e32 v9, v13, v5
	ds_read2_b64 v[4:7], v61 offset0:224 offset1:240
	v_add_f32_e32 v54, v54, v58
	s_waitcnt lgkmcnt(0)
	v_mul_f32_e32 v12, v3, v5
	v_fma_f32 v12, v2, v4, -v12
	v_add_f32_e32 v12, v14, v12
	v_mul_f32_e32 v14, v3, v7
	v_mul_f32_e32 v13, v2, v5
	v_fma_f32 v14, v2, v6, -v14
	v_mul_f32_e32 v2, v2, v7
	v_fmac_f32_e32 v13, v3, v4
	v_fmac_f32_e32 v2, v3, v6
	v_add_f32_e32 v13, v15, v13
	v_add_f32_e32 v14, v1, v14
	;; [unrolled: 1-line block ×3, first 2 shown]
	v_mul_f32_e32 v0, v11, v5
	v_mul_f32_e32 v1, v10, v5
	v_fma_f32 v0, v10, v4, -v0
	v_fmac_f32_e32 v1, v11, v4
	v_add_f32_e32 v54, v54, v0
	v_add_f32_e32 v56, v56, v1
	v_mul_f32_e32 v0, v11, v7
	v_mul_f32_e32 v1, v10, v7
	v_fma_f32 v0, v10, v6, -v0
	v_fmac_f32_e32 v1, v11, v6
	v_add_f32_e32 v58, v8, v0
	v_add_f32_e32 v60, v9, v1
	ds_read_b128 v[0:3], v57 offset:64
	ds_read2_b64 v[4:7], v65 offset1:16
	s_waitcnt lgkmcnt(0)
	v_mul_f32_e32 v8, v1, v5
	v_fma_f32 v8, v0, v4, -v8
	v_mul_f32_e32 v9, v0, v5
	v_add_f32_e32 v12, v12, v8
	v_mul_f32_e32 v8, v1, v7
	v_fmac_f32_e32 v9, v1, v4
	v_fma_f32 v8, v0, v6, -v8
	v_mul_f32_e32 v0, v0, v7
	v_add_f32_e32 v13, v13, v9
	v_fmac_f32_e32 v0, v1, v6
	v_add_f32_e32 v1, v14, v8
	ds_read_b128 v[8:11], v57 offset:4160
	v_add_f32_e32 v0, v15, v0
	s_waitcnt lgkmcnt(0)
	v_mul_f32_e32 v14, v9, v5
	v_mul_f32_e32 v5, v8, v5
	v_fmac_f32_e32 v5, v9, v4
	v_fma_f32 v14, v8, v4, -v14
	v_add_f32_e32 v15, v56, v5
	v_mul_f32_e32 v4, v9, v7
	v_mul_f32_e32 v5, v8, v7
	v_fma_f32 v4, v8, v6, -v4
	v_fmac_f32_e32 v5, v9, v6
	v_add_f32_e32 v8, v58, v4
	v_add_f32_e32 v9, v60, v5
	ds_read2_b64 v[4:7], v65 offset0:32 offset1:48
	v_add_f32_e32 v14, v54, v14
	s_waitcnt lgkmcnt(0)
	v_mul_f32_e32 v54, v3, v5
	v_fma_f32 v54, v2, v4, -v54
	v_add_f32_e32 v12, v12, v54
	v_mul_f32_e32 v54, v3, v7
	v_mul_f32_e32 v56, v2, v5
	v_fma_f32 v54, v2, v6, -v54
	v_mul_f32_e32 v2, v2, v7
	v_fmac_f32_e32 v56, v3, v4
	v_fmac_f32_e32 v2, v3, v6
	v_add_f32_e32 v13, v13, v56
	v_add_f32_e32 v54, v1, v54
	v_add_f32_e32 v56, v0, v2
	v_mul_f32_e32 v0, v11, v5
	v_mul_f32_e32 v1, v10, v5
	v_fma_f32 v0, v10, v4, -v0
	v_fmac_f32_e32 v1, v11, v4
	v_add_f32_e32 v14, v14, v0
	v_add_f32_e32 v15, v15, v1
	v_mul_f32_e32 v0, v11, v7
	v_mul_f32_e32 v1, v10, v7
	v_fma_f32 v0, v10, v6, -v0
	v_fmac_f32_e32 v1, v11, v6
	v_add_f32_e32 v58, v8, v0
	v_add_f32_e32 v60, v9, v1
	ds_read_b128 v[0:3], v57 offset:80
	ds_read2_b64 v[4:7], v65 offset0:64 offset1:80
	s_waitcnt lgkmcnt(0)
	v_mul_f32_e32 v8, v1, v5
	v_fma_f32 v8, v0, v4, -v8
	v_mul_f32_e32 v9, v0, v5
	v_add_f32_e32 v12, v12, v8
	v_mul_f32_e32 v8, v1, v7
	v_fmac_f32_e32 v9, v1, v4
	v_fma_f32 v8, v0, v6, -v8
	v_mul_f32_e32 v0, v0, v7
	v_add_f32_e32 v13, v13, v9
	v_fmac_f32_e32 v0, v1, v6
	v_add_f32_e32 v1, v54, v8
	ds_read_b128 v[8:11], v57 offset:4176
	v_add_f32_e32 v0, v56, v0
	s_waitcnt lgkmcnt(0)
	v_mul_f32_e32 v54, v9, v5
	v_mul_f32_e32 v5, v8, v5
	v_fmac_f32_e32 v5, v9, v4
	v_fma_f32 v54, v8, v4, -v54
	v_add_f32_e32 v15, v15, v5
	v_mul_f32_e32 v4, v9, v7
	v_mul_f32_e32 v5, v8, v7
	v_fma_f32 v4, v8, v6, -v4
	v_fmac_f32_e32 v5, v9, v6
	v_add_f32_e32 v8, v58, v4
	v_add_f32_e32 v9, v60, v5
	ds_read2_b64 v[4:7], v65 offset0:96 offset1:112
	v_add_f32_e32 v14, v14, v54
	s_waitcnt lgkmcnt(0)
	v_mul_f32_e32 v54, v3, v5
	v_fma_f32 v54, v2, v4, -v54
	v_add_f32_e32 v12, v12, v54
	v_mul_f32_e32 v54, v3, v7
	v_mul_f32_e32 v56, v2, v5
	v_fma_f32 v54, v2, v6, -v54
	v_mul_f32_e32 v2, v2, v7
	v_fmac_f32_e32 v56, v3, v4
	v_fmac_f32_e32 v2, v3, v6
	v_add_f32_e32 v13, v13, v56
	v_add_f32_e32 v54, v1, v54
	v_add_f32_e32 v56, v0, v2
	v_mul_f32_e32 v0, v11, v5
	v_mul_f32_e32 v1, v10, v5
	v_fma_f32 v0, v10, v4, -v0
	v_fmac_f32_e32 v1, v11, v4
	v_add_f32_e32 v14, v14, v0
	v_add_f32_e32 v15, v15, v1
	v_mul_f32_e32 v0, v11, v7
	v_mul_f32_e32 v1, v10, v7
	v_fma_f32 v0, v10, v6, -v0
	v_fmac_f32_e32 v1, v11, v6
	v_add_f32_e32 v58, v8, v0
	v_add_f32_e32 v60, v9, v1
	ds_read_b128 v[0:3], v57 offset:96
	ds_read2_b64 v[4:7], v65 offset0:128 offset1:144
	;; [unrolled: 55-line block ×3, first 2 shown]
	s_waitcnt lgkmcnt(0)
	v_mul_f32_e32 v8, v1, v5
	v_fma_f32 v8, v0, v4, -v8
	v_mul_f32_e32 v9, v0, v5
	v_add_f32_e32 v12, v12, v8
	v_mul_f32_e32 v8, v1, v7
	v_fmac_f32_e32 v9, v1, v4
	v_fma_f32 v8, v0, v6, -v8
	v_mul_f32_e32 v0, v0, v7
	v_add_f32_e32 v13, v13, v9
	v_fmac_f32_e32 v0, v1, v6
	v_add_f32_e32 v1, v54, v8
	ds_read_b128 v[8:11], v57 offset:4208
	v_add_f32_e32 v0, v56, v0
	s_waitcnt lgkmcnt(0)
	v_mul_f32_e32 v54, v9, v5
	v_mul_f32_e32 v5, v8, v5
	v_fmac_f32_e32 v5, v9, v4
	v_fma_f32 v54, v8, v4, -v54
	v_add_f32_e32 v15, v15, v5
	v_mul_f32_e32 v4, v9, v7
	v_mul_f32_e32 v5, v8, v7
	v_fma_f32 v4, v8, v6, -v4
	v_fmac_f32_e32 v5, v9, v6
	v_add_f32_e32 v8, v58, v4
	v_add_f32_e32 v9, v60, v5
	ds_read2_b64 v[4:7], v65 offset0:224 offset1:240
	v_add_f32_e32 v14, v14, v54
	s_waitcnt lgkmcnt(0)
	v_mul_f32_e32 v54, v3, v5
	v_fma_f32 v54, v2, v4, -v54
	v_add_f32_e32 v12, v12, v54
	v_mul_f32_e32 v54, v3, v7
	v_mul_f32_e32 v56, v2, v5
	v_fma_f32 v54, v2, v6, -v54
	v_mul_f32_e32 v2, v2, v7
	v_fmac_f32_e32 v56, v3, v4
	v_fmac_f32_e32 v2, v3, v6
	v_add_f32_e32 v13, v13, v56
	v_add_f32_e32 v54, v1, v54
	;; [unrolled: 1-line block ×3, first 2 shown]
	v_mul_f32_e32 v0, v11, v5
	v_mul_f32_e32 v1, v10, v5
	v_fma_f32 v0, v10, v4, -v0
	v_fmac_f32_e32 v1, v11, v4
	v_add_f32_e32 v14, v14, v0
	v_add_f32_e32 v15, v15, v1
	v_mul_f32_e32 v0, v11, v7
	v_mul_f32_e32 v1, v10, v7
	v_fma_f32 v0, v10, v6, -v0
	v_fmac_f32_e32 v1, v11, v6
	v_add_f32_e32 v58, v8, v0
	v_add_f32_e32 v60, v9, v1
	ds_read_b128 v[0:3], v57 offset:128
	ds_read2_b64 v[4:7], v66 offset1:16
	s_waitcnt lgkmcnt(0)
	v_mul_f32_e32 v8, v1, v5
	v_fma_f32 v8, v0, v4, -v8
	v_mul_f32_e32 v9, v0, v5
	v_add_f32_e32 v12, v12, v8
	v_mul_f32_e32 v8, v1, v7
	v_fmac_f32_e32 v9, v1, v4
	v_fma_f32 v8, v0, v6, -v8
	v_mul_f32_e32 v0, v0, v7
	v_add_f32_e32 v13, v13, v9
	v_fmac_f32_e32 v0, v1, v6
	v_add_f32_e32 v1, v54, v8
	ds_read_b128 v[8:11], v57 offset:4224
	v_add_f32_e32 v0, v56, v0
	s_waitcnt lgkmcnt(0)
	v_mul_f32_e32 v54, v9, v5
	v_mul_f32_e32 v5, v8, v5
	v_fmac_f32_e32 v5, v9, v4
	v_fma_f32 v54, v8, v4, -v54
	v_add_f32_e32 v15, v15, v5
	v_mul_f32_e32 v4, v9, v7
	v_mul_f32_e32 v5, v8, v7
	v_fma_f32 v4, v8, v6, -v4
	v_fmac_f32_e32 v5, v9, v6
	v_add_f32_e32 v8, v58, v4
	v_add_f32_e32 v9, v60, v5
	ds_read2_b64 v[4:7], v66 offset0:32 offset1:48
	v_add_f32_e32 v14, v14, v54
	s_waitcnt lgkmcnt(0)
	v_mul_f32_e32 v54, v3, v5
	v_fma_f32 v54, v2, v4, -v54
	v_add_f32_e32 v12, v12, v54
	v_mul_f32_e32 v54, v3, v7
	v_mul_f32_e32 v56, v2, v5
	v_fma_f32 v54, v2, v6, -v54
	v_mul_f32_e32 v2, v2, v7
	v_fmac_f32_e32 v56, v3, v4
	v_fmac_f32_e32 v2, v3, v6
	v_add_f32_e32 v13, v13, v56
	v_add_f32_e32 v54, v1, v54
	v_add_f32_e32 v56, v0, v2
	v_mul_f32_e32 v0, v11, v5
	v_mul_f32_e32 v1, v10, v5
	v_fma_f32 v0, v10, v4, -v0
	v_fmac_f32_e32 v1, v11, v4
	v_add_f32_e32 v14, v14, v0
	v_add_f32_e32 v15, v15, v1
	v_mul_f32_e32 v0, v11, v7
	v_mul_f32_e32 v1, v10, v7
	v_fma_f32 v0, v10, v6, -v0
	v_fmac_f32_e32 v1, v11, v6
	v_add_f32_e32 v58, v8, v0
	v_add_f32_e32 v60, v9, v1
	ds_read_b128 v[0:3], v57 offset:144
	ds_read2_b64 v[4:7], v66 offset0:64 offset1:80
	s_waitcnt lgkmcnt(0)
	v_mul_f32_e32 v8, v1, v5
	v_fma_f32 v8, v0, v4, -v8
	v_mul_f32_e32 v9, v0, v5
	v_add_f32_e32 v12, v12, v8
	v_mul_f32_e32 v8, v1, v7
	v_fmac_f32_e32 v9, v1, v4
	v_fma_f32 v8, v0, v6, -v8
	v_mul_f32_e32 v0, v0, v7
	v_add_f32_e32 v13, v13, v9
	v_fmac_f32_e32 v0, v1, v6
	v_add_f32_e32 v1, v54, v8
	ds_read_b128 v[8:11], v57 offset:4240
	v_add_f32_e32 v0, v56, v0
	s_waitcnt lgkmcnt(0)
	v_mul_f32_e32 v54, v9, v5
	v_mul_f32_e32 v5, v8, v5
	v_fmac_f32_e32 v5, v9, v4
	v_fma_f32 v54, v8, v4, -v54
	v_add_f32_e32 v15, v15, v5
	v_mul_f32_e32 v4, v9, v7
	v_mul_f32_e32 v5, v8, v7
	v_fma_f32 v4, v8, v6, -v4
	v_fmac_f32_e32 v5, v9, v6
	v_add_f32_e32 v8, v58, v4
	v_add_f32_e32 v9, v60, v5
	ds_read2_b64 v[4:7], v66 offset0:96 offset1:112
	v_add_f32_e32 v14, v14, v54
	s_waitcnt lgkmcnt(0)
	v_mul_f32_e32 v54, v3, v5
	v_fma_f32 v54, v2, v4, -v54
	v_add_f32_e32 v12, v12, v54
	v_mul_f32_e32 v54, v3, v7
	v_mul_f32_e32 v56, v2, v5
	v_fma_f32 v54, v2, v6, -v54
	v_mul_f32_e32 v2, v2, v7
	v_fmac_f32_e32 v56, v3, v4
	v_fmac_f32_e32 v2, v3, v6
	v_add_f32_e32 v13, v13, v56
	v_add_f32_e32 v54, v1, v54
	v_add_f32_e32 v56, v0, v2
	v_mul_f32_e32 v0, v11, v5
	v_mul_f32_e32 v1, v10, v5
	v_fma_f32 v0, v10, v4, -v0
	v_fmac_f32_e32 v1, v11, v4
	v_add_f32_e32 v14, v14, v0
	v_add_f32_e32 v15, v15, v1
	v_mul_f32_e32 v0, v11, v7
	v_mul_f32_e32 v1, v10, v7
	v_fma_f32 v0, v10, v6, -v0
	v_fmac_f32_e32 v1, v11, v6
	v_add_f32_e32 v58, v8, v0
	v_add_f32_e32 v60, v9, v1
	ds_read_b128 v[0:3], v57 offset:160
	ds_read2_b64 v[4:7], v66 offset0:128 offset1:144
	s_waitcnt lgkmcnt(0)
	v_mul_f32_e32 v8, v1, v5
	v_fma_f32 v8, v0, v4, -v8
	v_mul_f32_e32 v9, v0, v5
	v_add_f32_e32 v12, v12, v8
	v_mul_f32_e32 v8, v1, v7
	v_fmac_f32_e32 v9, v1, v4
	v_fma_f32 v8, v0, v6, -v8
	v_mul_f32_e32 v0, v0, v7
	v_add_f32_e32 v13, v13, v9
	v_fmac_f32_e32 v0, v1, v6
	v_add_f32_e32 v1, v54, v8
	ds_read_b128 v[8:11], v57 offset:4256
	v_add_f32_e32 v0, v56, v0
	s_waitcnt lgkmcnt(0)
	v_mul_f32_e32 v54, v9, v5
	v_mul_f32_e32 v5, v8, v5
	v_fmac_f32_e32 v5, v9, v4
	v_fma_f32 v54, v8, v4, -v54
	v_add_f32_e32 v15, v15, v5
	v_mul_f32_e32 v4, v9, v7
	v_mul_f32_e32 v5, v8, v7
	v_fma_f32 v4, v8, v6, -v4
	v_fmac_f32_e32 v5, v9, v6
	v_add_f32_e32 v8, v58, v4
	v_add_f32_e32 v9, v60, v5
	ds_read2_b64 v[4:7], v66 offset0:160 offset1:176
	v_add_f32_e32 v14, v14, v54
	s_waitcnt lgkmcnt(0)
	v_mul_f32_e32 v54, v3, v5
	v_fma_f32 v54, v2, v4, -v54
	v_add_f32_e32 v12, v12, v54
	v_mul_f32_e32 v54, v3, v7
	v_mul_f32_e32 v56, v2, v5
	v_fma_f32 v54, v2, v6, -v54
	v_mul_f32_e32 v2, v2, v7
	v_fmac_f32_e32 v56, v3, v4
	v_fmac_f32_e32 v2, v3, v6
	v_add_f32_e32 v13, v13, v56
	v_add_f32_e32 v54, v1, v54
	v_add_f32_e32 v56, v0, v2
	v_mul_f32_e32 v0, v11, v5
	v_mul_f32_e32 v1, v10, v5
	v_fma_f32 v0, v10, v4, -v0
	v_fmac_f32_e32 v1, v11, v4
	v_add_f32_e32 v14, v14, v0
	v_add_f32_e32 v15, v15, v1
	v_mul_f32_e32 v0, v11, v7
	v_mul_f32_e32 v1, v10, v7
	v_fma_f32 v0, v10, v6, -v0
	v_fmac_f32_e32 v1, v11, v6
	v_add_f32_e32 v58, v8, v0
	v_add_f32_e32 v60, v9, v1
	ds_read_b128 v[0:3], v57 offset:176
	ds_read2_b64 v[4:7], v66 offset0:192 offset1:208
	s_waitcnt lgkmcnt(0)
	v_mul_f32_e32 v8, v1, v5
	v_fma_f32 v8, v0, v4, -v8
	v_mul_f32_e32 v9, v0, v5
	v_add_f32_e32 v12, v12, v8
	v_mul_f32_e32 v8, v1, v7
	v_fmac_f32_e32 v9, v1, v4
	v_fma_f32 v8, v0, v6, -v8
	v_mul_f32_e32 v0, v0, v7
	v_add_f32_e32 v13, v13, v9
	v_fmac_f32_e32 v0, v1, v6
	v_add_f32_e32 v1, v54, v8
	ds_read_b128 v[8:11], v57 offset:4272
	v_add_f32_e32 v0, v56, v0
	s_waitcnt lgkmcnt(0)
	v_mul_f32_e32 v54, v9, v5
	v_mul_f32_e32 v5, v8, v5
	v_fmac_f32_e32 v5, v9, v4
	v_fma_f32 v54, v8, v4, -v54
	v_add_f32_e32 v15, v15, v5
	v_mul_f32_e32 v4, v9, v7
	v_mul_f32_e32 v5, v8, v7
	v_fma_f32 v4, v8, v6, -v4
	v_fmac_f32_e32 v5, v9, v6
	v_add_f32_e32 v8, v58, v4
	v_add_f32_e32 v9, v60, v5
	ds_read2_b64 v[4:7], v66 offset0:224 offset1:240
	v_add_f32_e32 v14, v14, v54
	s_waitcnt lgkmcnt(0)
	v_mul_f32_e32 v54, v3, v5
	v_fma_f32 v54, v2, v4, -v54
	v_add_f32_e32 v12, v12, v54
	v_mul_f32_e32 v54, v3, v7
	v_mul_f32_e32 v56, v2, v5
	v_fma_f32 v54, v2, v6, -v54
	v_mul_f32_e32 v2, v2, v7
	v_fmac_f32_e32 v56, v3, v4
	v_fmac_f32_e32 v2, v3, v6
	v_add_f32_e32 v13, v13, v56
	v_add_f32_e32 v54, v1, v54
	;; [unrolled: 1-line block ×3, first 2 shown]
	v_mul_f32_e32 v0, v11, v5
	v_mul_f32_e32 v1, v10, v5
	v_fma_f32 v0, v10, v4, -v0
	v_fmac_f32_e32 v1, v11, v4
	v_add_f32_e32 v14, v14, v0
	v_add_f32_e32 v15, v15, v1
	v_mul_f32_e32 v0, v11, v7
	v_mul_f32_e32 v1, v10, v7
	v_fma_f32 v0, v10, v6, -v0
	v_fmac_f32_e32 v1, v11, v6
	v_add_f32_e32 v58, v8, v0
	v_add_f32_e32 v60, v9, v1
	ds_read_b128 v[0:3], v57 offset:192
	ds_read2_b64 v[4:7], v67 offset1:16
	s_waitcnt lgkmcnt(0)
	v_mul_f32_e32 v8, v1, v5
	v_fma_f32 v8, v0, v4, -v8
	v_mul_f32_e32 v9, v0, v5
	v_add_f32_e32 v12, v12, v8
	v_mul_f32_e32 v8, v1, v7
	v_fmac_f32_e32 v9, v1, v4
	v_fma_f32 v8, v0, v6, -v8
	v_mul_f32_e32 v0, v0, v7
	v_add_f32_e32 v13, v13, v9
	v_fmac_f32_e32 v0, v1, v6
	v_add_f32_e32 v1, v54, v8
	ds_read_b128 v[8:11], v57 offset:4288
	v_add_f32_e32 v0, v56, v0
	s_waitcnt lgkmcnt(0)
	v_mul_f32_e32 v54, v9, v5
	v_mul_f32_e32 v5, v8, v5
	v_fmac_f32_e32 v5, v9, v4
	v_fma_f32 v54, v8, v4, -v54
	v_add_f32_e32 v15, v15, v5
	v_mul_f32_e32 v4, v9, v7
	v_mul_f32_e32 v5, v8, v7
	v_fma_f32 v4, v8, v6, -v4
	v_fmac_f32_e32 v5, v9, v6
	v_add_f32_e32 v8, v58, v4
	v_add_f32_e32 v9, v60, v5
	ds_read2_b64 v[4:7], v67 offset0:32 offset1:48
	v_add_f32_e32 v14, v14, v54
	s_waitcnt lgkmcnt(0)
	v_mul_f32_e32 v54, v3, v5
	v_fma_f32 v54, v2, v4, -v54
	v_add_f32_e32 v12, v12, v54
	v_mul_f32_e32 v54, v3, v7
	v_mul_f32_e32 v56, v2, v5
	v_fma_f32 v54, v2, v6, -v54
	v_mul_f32_e32 v2, v2, v7
	v_fmac_f32_e32 v56, v3, v4
	v_fmac_f32_e32 v2, v3, v6
	v_add_f32_e32 v13, v13, v56
	v_add_f32_e32 v54, v1, v54
	v_add_f32_e32 v56, v0, v2
	v_mul_f32_e32 v0, v11, v5
	v_mul_f32_e32 v1, v10, v5
	v_fma_f32 v0, v10, v4, -v0
	v_fmac_f32_e32 v1, v11, v4
	v_add_f32_e32 v14, v14, v0
	v_add_f32_e32 v15, v15, v1
	v_mul_f32_e32 v0, v11, v7
	v_mul_f32_e32 v1, v10, v7
	v_fma_f32 v0, v10, v6, -v0
	v_fmac_f32_e32 v1, v11, v6
	v_add_f32_e32 v58, v8, v0
	v_add_f32_e32 v60, v9, v1
	ds_read_b128 v[0:3], v57 offset:208
	ds_read2_b64 v[4:7], v67 offset0:64 offset1:80
	s_waitcnt lgkmcnt(0)
	v_mul_f32_e32 v8, v1, v5
	v_fma_f32 v8, v0, v4, -v8
	v_mul_f32_e32 v9, v0, v5
	v_add_f32_e32 v12, v12, v8
	v_mul_f32_e32 v8, v1, v7
	v_fmac_f32_e32 v9, v1, v4
	v_fma_f32 v8, v0, v6, -v8
	v_mul_f32_e32 v0, v0, v7
	v_add_f32_e32 v13, v13, v9
	v_fmac_f32_e32 v0, v1, v6
	v_add_f32_e32 v1, v54, v8
	ds_read_b128 v[8:11], v57 offset:4304
	v_add_f32_e32 v0, v56, v0
	s_waitcnt lgkmcnt(0)
	v_mul_f32_e32 v54, v9, v5
	v_mul_f32_e32 v5, v8, v5
	v_fmac_f32_e32 v5, v9, v4
	v_fma_f32 v54, v8, v4, -v54
	v_add_f32_e32 v15, v15, v5
	v_mul_f32_e32 v4, v9, v7
	v_mul_f32_e32 v5, v8, v7
	v_fma_f32 v4, v8, v6, -v4
	v_fmac_f32_e32 v5, v9, v6
	v_add_f32_e32 v8, v58, v4
	v_add_f32_e32 v9, v60, v5
	ds_read2_b64 v[4:7], v67 offset0:96 offset1:112
	v_add_f32_e32 v14, v14, v54
	s_waitcnt lgkmcnt(0)
	v_mul_f32_e32 v54, v3, v5
	v_fma_f32 v54, v2, v4, -v54
	v_add_f32_e32 v12, v12, v54
	v_mul_f32_e32 v54, v3, v7
	v_mul_f32_e32 v56, v2, v5
	v_fma_f32 v54, v2, v6, -v54
	v_mul_f32_e32 v2, v2, v7
	v_fmac_f32_e32 v56, v3, v4
	v_fmac_f32_e32 v2, v3, v6
	v_add_f32_e32 v13, v13, v56
	v_add_f32_e32 v54, v1, v54
	v_add_f32_e32 v56, v0, v2
	v_mul_f32_e32 v0, v11, v5
	v_mul_f32_e32 v1, v10, v5
	v_fma_f32 v0, v10, v4, -v0
	v_fmac_f32_e32 v1, v11, v4
	v_add_f32_e32 v14, v14, v0
	v_add_f32_e32 v15, v15, v1
	v_mul_f32_e32 v0, v11, v7
	v_mul_f32_e32 v1, v10, v7
	v_fma_f32 v0, v10, v6, -v0
	v_fmac_f32_e32 v1, v11, v6
	v_add_f32_e32 v58, v8, v0
	v_add_f32_e32 v60, v9, v1
	ds_read_b128 v[0:3], v57 offset:224
	ds_read2_b64 v[4:7], v67 offset0:128 offset1:144
	;; [unrolled: 55-line block ×3, first 2 shown]
	s_waitcnt lgkmcnt(0)
	v_mul_f32_e32 v8, v1, v5
	v_fma_f32 v8, v0, v4, -v8
	v_mul_f32_e32 v9, v0, v5
	v_add_f32_e32 v12, v12, v8
	v_mul_f32_e32 v8, v1, v7
	v_fmac_f32_e32 v9, v1, v4
	v_fma_f32 v8, v0, v6, -v8
	v_mul_f32_e32 v0, v0, v7
	v_add_f32_e32 v13, v13, v9
	v_fmac_f32_e32 v0, v1, v6
	v_add_f32_e32 v1, v54, v8
	ds_read_b128 v[8:11], v57 offset:4336
	v_add_f32_e32 v0, v56, v0
	s_waitcnt lgkmcnt(0)
	v_mul_f32_e32 v54, v9, v5
	v_mul_f32_e32 v5, v8, v5
	v_fmac_f32_e32 v5, v9, v4
	v_fma_f32 v54, v8, v4, -v54
	v_add_f32_e32 v15, v15, v5
	v_mul_f32_e32 v4, v9, v7
	v_mul_f32_e32 v5, v8, v7
	v_fma_f32 v4, v8, v6, -v4
	v_fmac_f32_e32 v5, v9, v6
	v_add_f32_e32 v8, v58, v4
	v_add_f32_e32 v9, v60, v5
	ds_read2_b64 v[4:7], v67 offset0:224 offset1:240
	v_add_f32_e32 v14, v14, v54
	s_waitcnt lgkmcnt(0)
	s_barrier
	v_mul_f32_e32 v54, v3, v5
	v_fma_f32 v54, v2, v4, -v54
	v_add_f32_e32 v62, v12, v54
	v_mul_f32_e32 v12, v3, v7
	v_mul_f32_e32 v56, v2, v5
	v_fma_f32 v12, v2, v6, -v12
	v_mul_f32_e32 v2, v2, v7
	v_fmac_f32_e32 v2, v3, v6
	v_add_f32_e32 v58, v1, v12
	v_add_f32_e32 v60, v0, v2
	v_mul_f32_e32 v0, v11, v5
	v_mul_f32_e32 v1, v10, v5
	v_fmac_f32_e32 v56, v3, v4
	v_fma_f32 v0, v10, v4, -v0
	v_fmac_f32_e32 v1, v11, v4
	v_add_f32_e32 v64, v13, v56
	v_add_f32_e32 v54, v14, v0
	;; [unrolled: 1-line block ×3, first 2 shown]
	v_mul_f32_e32 v0, v11, v7
	v_mul_f32_e32 v1, v10, v7
	v_fma_f32 v0, v10, v6, -v0
	v_fmac_f32_e32 v1, v11, v6
	v_add_f32_e32 v14, v8, v0
	v_add_f32_e32 v12, v9, v1
	s_cbranch_scc1 .LBB94_52
.LBB94_7:                               ;   Parent Loop BB94_4 Depth=1
                                        ; =>  This Inner Loop Header: Depth=2
	v_lshl_add_u64 v[2:3], v[20:21], 0, s[30:31]
	v_cmp_eq_u64_e64 s[4:5], s[30:31], v[34:35]
	v_cmp_lt_i64_e64 s[10:11], v[2:3], v[32:33]
	s_and_b64 s[60:61], s[42:43], s[4:5]
	v_cmp_le_i64_e64 s[12:13], s[46:47], v[2:3]
	s_or_b64 s[4:5], s[6:7], s[10:11]
	s_or_b64 s[4:5], s[12:13], s[4:5]
	v_lshl_add_u64 v[0:1], v[40:41], 0, v[36:37]
	s_nor_b64 s[4:5], s[4:5], s[60:61]
	s_and_saveexec_b64 s[14:15], s[4:5]
	s_xor_b64 s[4:5], exec, s[14:15]
	s_cbranch_execz .LBB94_9
; %bb.8:                                ;   in Loop: Header=BB94_7 Depth=2
	global_load_dwordx2 v[4:5], v[0:1], off
	s_waitcnt vmcnt(0)
	v_xor_b32_e32 v5, 0x80000000, v5
	ds_write_b64 v59, v[4:5]
.LBB94_9:                               ;   in Loop: Header=BB94_7 Depth=2
	s_or_saveexec_b64 s[4:5], s[4:5]
	s_xor_b64 s[38:39], s[60:61], -1
	s_xor_b64 exec, exec, s[4:5]
	s_cbranch_execz .LBB94_15
; %bb.10:                               ;   in Loop: Header=BB94_7 Depth=2
	s_and_saveexec_b64 s[14:15], s[38:39]
	s_xor_b64 s[14:15], exec, s[14:15]
; %bb.11:                               ;   in Loop: Header=BB94_7 Depth=2
	ds_write_b64 v59, v[28:29]
; %bb.12:                               ;   in Loop: Header=BB94_7 Depth=2
	s_andn2_saveexec_b64 s[14:15], s[14:15]
; %bb.13:                               ;   in Loop: Header=BB94_7 Depth=2
	ds_write_b64 v59, v[30:31]
; %bb.14:                               ;   in Loop: Header=BB94_7 Depth=2
	s_or_b64 exec, exec, s[14:15]
.LBB94_15:                              ;   in Loop: Header=BB94_7 Depth=2
	s_or_b64 exec, exec, s[4:5]
	v_lshl_add_u64 v[4:5], v[2:3], 0, 16
	v_cmp_eq_u64_e64 s[4:5], s[30:31], v[50:51]
	s_and_b64 s[62:63], s[42:43], s[4:5]
	v_cmp_lt_i64_e64 s[4:5], v[4:5], v[32:33]
	v_cmp_le_i64_e64 s[14:15], s[46:47], v[4:5]
	s_or_b64 s[4:5], s[6:7], s[4:5]
	s_or_b64 s[4:5], s[14:15], s[4:5]
	s_nor_b64 s[4:5], s[4:5], s[62:63]
	v_lshl_add_u64 v[4:5], v[38:39], 0, v[36:37]
	s_and_saveexec_b64 s[66:67], s[4:5]
	s_xor_b64 s[4:5], exec, s[66:67]
	s_cbranch_execz .LBB94_17
; %bb.16:                               ;   in Loop: Header=BB94_7 Depth=2
	global_load_dwordx2 v[6:7], v[4:5], off
	s_waitcnt vmcnt(0)
	v_xor_b32_e32 v7, 0x80000000, v7
	ds_write_b64 v59, v[6:7] offset:128
.LBB94_17:                              ;   in Loop: Header=BB94_7 Depth=2
	s_andn2_saveexec_b64 s[4:5], s[4:5]
	s_cbranch_execz .LBB94_23
; %bb.18:                               ;   in Loop: Header=BB94_7 Depth=2
	s_xor_b64 s[62:63], s[62:63], -1
	s_and_saveexec_b64 s[66:67], s[62:63]
	s_xor_b64 s[62:63], exec, s[66:67]
; %bb.19:                               ;   in Loop: Header=BB94_7 Depth=2
	ds_write_b64 v59, v[28:29] offset:128
; %bb.20:                               ;   in Loop: Header=BB94_7 Depth=2
	s_andn2_saveexec_b64 s[62:63], s[62:63]
; %bb.21:                               ;   in Loop: Header=BB94_7 Depth=2
	ds_write_b64 v59, v[30:31] offset:128
; %bb.22:                               ;   in Loop: Header=BB94_7 Depth=2
	s_or_b64 exec, exec, s[62:63]
.LBB94_23:                              ;   in Loop: Header=BB94_7 Depth=2
	s_or_b64 exec, exec, s[4:5]
	v_cmp_eq_u64_e64 s[4:5], s[30:31], v[48:49]
	s_and_b64 s[62:63], s[42:43], s[4:5]
	v_cmp_lt_i64_e64 s[4:5], v[2:3], v[46:47]
	s_or_b64 s[4:5], s[8:9], s[4:5]
	s_or_b64 s[4:5], s[4:5], s[62:63]
	s_nor_b64 s[4:5], s[12:13], s[4:5]
	s_and_saveexec_b64 s[12:13], s[4:5]
	s_xor_b64 s[4:5], exec, s[12:13]
	s_cbranch_execz .LBB94_25
; %bb.24:                               ;   in Loop: Header=BB94_7 Depth=2
	global_load_dwordx2 v[0:1], v[0:1], off offset:128
	s_waitcnt vmcnt(0)
	v_xor_b32_e32 v1, 0x80000000, v1
	ds_write_b64 v59, v[0:1] offset:4096
.LBB94_25:                              ;   in Loop: Header=BB94_7 Depth=2
	s_andn2_saveexec_b64 s[4:5], s[4:5]
	s_cbranch_execz .LBB94_31
; %bb.26:                               ;   in Loop: Header=BB94_7 Depth=2
	s_xor_b64 s[12:13], s[62:63], -1
	s_and_saveexec_b64 s[62:63], s[12:13]
	s_xor_b64 s[12:13], exec, s[62:63]
; %bb.27:                               ;   in Loop: Header=BB94_7 Depth=2
	ds_write_b64 v59, v[28:29] offset:4096
; %bb.28:                               ;   in Loop: Header=BB94_7 Depth=2
	s_andn2_saveexec_b64 s[12:13], s[12:13]
; %bb.29:                               ;   in Loop: Header=BB94_7 Depth=2
	ds_write_b64 v59, v[30:31] offset:4096
; %bb.30:                               ;   in Loop: Header=BB94_7 Depth=2
	s_or_b64 exec, exec, s[12:13]
.LBB94_31:                              ;   in Loop: Header=BB94_7 Depth=2
	s_or_b64 exec, exec, s[4:5]
	s_or_b64 s[4:5], s[8:9], s[10:11]
	s_or_b64 s[4:5], s[14:15], s[4:5]
	s_nor_b64 s[4:5], s[4:5], s[60:61]
	s_and_saveexec_b64 s[10:11], s[4:5]
	s_xor_b64 s[4:5], exec, s[10:11]
	s_cbranch_execz .LBB94_33
; %bb.32:                               ;   in Loop: Header=BB94_7 Depth=2
	global_load_dwordx2 v[0:1], v[4:5], off offset:128
	s_waitcnt vmcnt(0)
	v_xor_b32_e32 v1, 0x80000000, v1
	ds_write_b64 v59, v[0:1] offset:4224
.LBB94_33:                              ;   in Loop: Header=BB94_7 Depth=2
	s_andn2_saveexec_b64 s[4:5], s[4:5]
	s_cbranch_execz .LBB94_39
; %bb.34:                               ;   in Loop: Header=BB94_7 Depth=2
	s_and_saveexec_b64 s[10:11], s[38:39]
	s_xor_b64 s[10:11], exec, s[10:11]
; %bb.35:                               ;   in Loop: Header=BB94_7 Depth=2
	ds_write_b64 v59, v[28:29] offset:4224
; %bb.36:                               ;   in Loop: Header=BB94_7 Depth=2
	s_andn2_saveexec_b64 s[10:11], s[10:11]
; %bb.37:                               ;   in Loop: Header=BB94_7 Depth=2
	ds_write_b64 v59, v[30:31] offset:4224
; %bb.38:                               ;   in Loop: Header=BB94_7 Depth=2
	s_or_b64 exec, exec, s[10:11]
.LBB94_39:                              ;   in Loop: Header=BB94_7 Depth=2
	s_or_b64 exec, exec, s[4:5]
	v_lshl_add_u64 v[0:1], v[22:23], 0, s[30:31]
	v_cmp_le_i64_e64 s[10:11], s[46:47], v[0:1]
	v_lshl_add_u64 v[2:3], v[42:43], 0, v[52:53]
	s_nor_b64 s[12:13], s[10:11], vcc
	v_mov_b64_e32 v[4:5], 0
	s_and_saveexec_b64 s[4:5], s[12:13]
	s_cbranch_execz .LBB94_41
; %bb.40:                               ;   in Loop: Header=BB94_7 Depth=2
	global_load_dwordx2 v[4:5], v[2:3], off offset:-128
.LBB94_41:                              ;   in Loop: Header=BB94_7 Depth=2
	s_or_b64 exec, exec, s[4:5]
	s_nor_b64 s[4:5], s[10:11], s[0:1]
	s_waitcnt vmcnt(0)
	ds_write_b64 v63, v[4:5]
	s_and_saveexec_b64 s[10:11], s[4:5]
	s_xor_b64 s[4:5], exec, s[10:11]
	s_cbranch_execz .LBB94_43
; %bb.42:                               ;   in Loop: Header=BB94_7 Depth=2
	global_load_dwordx2 v[2:3], v[2:3], off
	s_waitcnt vmcnt(0)
	ds_write_b64 v63, v[2:3] offset:128
.LBB94_43:                              ;   in Loop: Header=BB94_7 Depth=2
	s_andn2_saveexec_b64 s[4:5], s[4:5]
; %bb.44:                               ;   in Loop: Header=BB94_7 Depth=2
	ds_write_b64 v63, v[28:29] offset:128
; %bb.45:                               ;   in Loop: Header=BB94_7 Depth=2
	s_or_b64 exec, exec, s[4:5]
	v_cmp_le_i64_e64 s[10:11], s[54:55], v[0:1]
	v_lshl_add_u64 v[0:1], v[44:45], 0, v[52:53]
	s_nor_b64 s[12:13], s[10:11], vcc
	v_mov_b64_e32 v[2:3], 0
	s_and_saveexec_b64 s[4:5], s[12:13]
	s_cbranch_execz .LBB94_47
; %bb.46:                               ;   in Loop: Header=BB94_7 Depth=2
	global_load_dwordx2 v[2:3], v[0:1], off
.LBB94_47:                              ;   in Loop: Header=BB94_7 Depth=2
	s_or_b64 exec, exec, s[4:5]
	s_nor_b64 s[4:5], s[10:11], s[0:1]
	s_waitcnt vmcnt(0)
	ds_write_b64 v63, v[2:3] offset:4096
	s_and_saveexec_b64 s[10:11], s[4:5]
	s_xor_b64 s[4:5], exec, s[10:11]
	s_cbranch_execz .LBB94_49
; %bb.48:                               ;   in Loop: Header=BB94_7 Depth=2
	global_load_dwordx2 v[0:1], v[0:1], off offset:128
	s_waitcnt vmcnt(0)
	ds_write_b64 v63, v[0:1] offset:4224
.LBB94_49:                              ;   in Loop: Header=BB94_7 Depth=2
	s_andn2_saveexec_b64 s[4:5], s[4:5]
	s_cbranch_execz .LBB94_6
; %bb.50:                               ;   in Loop: Header=BB94_7 Depth=2
	ds_write_b64 v63, v[28:29] offset:4224
	s_branch .LBB94_6
.LBB94_51:                              ;   in Loop: Header=BB94_4 Depth=1
	v_mov_b32_e32 v62, 0
	v_mov_b32_e32 v64, 0
	;; [unrolled: 1-line block ×8, first 2 shown]
.LBB94_52:                              ;   in Loop: Header=BB94_4 Depth=1
	v_mul_lo_u32 v2, s49, v32
	v_mul_lo_u32 v3, s48, v33
	v_mad_u64_u32 v[0:1], s[4:5], s48, v32, 0
	v_cmp_gt_i32_e64 s[6:7], s46, v32
	v_add3_u32 v1, v1, v3, v2
	v_lshl_add_u64 v[0:1], v[0:1], 3, s[40:41]
	s_and_b64 s[8:9], s[16:17], s[6:7]
	s_and_saveexec_b64 s[4:5], s[8:9]
	s_cbranch_execz .LBB94_54
; %bb.53:                               ;   in Loop: Header=BB94_4 Depth=1
	v_lshl_add_u64 v[2:3], v[16:17], 3, v[0:1]
	global_load_dwordx2 v[4:5], v[2:3], off
	v_pk_mul_f32 v[6:7], v[64:65], s[44:45] op_sel_hi:[0,1]
	v_pk_fma_f32 v[8:9], v[62:63], s[34:35], v[6:7] neg_lo:[0,0,1] neg_hi:[0,0,1]
	v_pk_fma_f32 v[6:7], v[62:63], s[34:35], v[6:7] op_sel_hi:[0,1,1]
	v_mov_b32_e32 v9, v7
	s_waitcnt vmcnt(0)
	v_pk_add_f32 v[4:5], v[4:5], v[8:9]
	global_store_dwordx2 v[2:3], v[4:5], off
.LBB94_54:                              ;   in Loop: Header=BB94_4 Depth=1
	s_or_b64 exec, exec, s[4:5]
	s_and_b64 s[6:7], s[18:19], s[6:7]
	s_and_saveexec_b64 s[4:5], s[6:7]
	s_cbranch_execz .LBB94_56
; %bb.55:                               ;   in Loop: Header=BB94_4 Depth=1
	v_lshl_add_u64 v[0:1], v[18:19], 3, v[0:1]
	global_load_dwordx2 v[2:3], v[0:1], off
	v_pk_mul_f32 v[4:5], v[60:61], s[44:45] op_sel_hi:[0,1]
	v_pk_fma_f32 v[6:7], v[58:59], s[34:35], v[4:5] neg_lo:[0,0,1] neg_hi:[0,0,1]
	v_pk_fma_f32 v[4:5], v[58:59], s[34:35], v[4:5] op_sel_hi:[0,1,1]
	v_mov_b32_e32 v7, v5
	s_waitcnt vmcnt(0)
	v_pk_add_f32 v[2:3], v[2:3], v[6:7]
	global_store_dwordx2 v[0:1], v[2:3], off
.LBB94_56:                              ;   in Loop: Header=BB94_4 Depth=1
	s_or_b64 exec, exec, s[4:5]
	v_add_u32_e32 v0, 16, v32
	v_ashrrev_i32_e32 v1, 31, v0
	v_cmp_gt_i32_e64 s[6:7], s46, v0
	v_mul_lo_u32 v2, s48, v1
	v_mul_lo_u32 v3, s49, v0
	v_mad_u64_u32 v[0:1], s[4:5], s48, v0, 0
	v_add3_u32 v1, v1, v2, v3
	v_lshl_add_u64 v[0:1], v[0:1], 3, s[40:41]
	s_and_b64 s[8:9], s[16:17], s[6:7]
	s_and_saveexec_b64 s[4:5], s[8:9]
	s_cbranch_execz .LBB94_58
; %bb.57:                               ;   in Loop: Header=BB94_4 Depth=1
	v_lshl_add_u64 v[2:3], v[16:17], 3, v[0:1]
	global_load_dwordx2 v[4:5], v[2:3], off
	v_pk_mul_f32 v[6:7], v[56:57], s[44:45] op_sel_hi:[0,1]
	v_pk_fma_f32 v[8:9], v[54:55], s[34:35], v[6:7] neg_lo:[0,0,1] neg_hi:[0,0,1]
	v_pk_fma_f32 v[6:7], v[54:55], s[34:35], v[6:7] op_sel_hi:[0,1,1]
	v_mov_b32_e32 v9, v7
	s_waitcnt vmcnt(0)
	v_pk_add_f32 v[4:5], v[4:5], v[8:9]
	global_store_dwordx2 v[2:3], v[4:5], off
.LBB94_58:                              ;   in Loop: Header=BB94_4 Depth=1
	s_or_b64 exec, exec, s[4:5]
	s_and_b64 s[6:7], s[18:19], s[6:7]
	s_and_saveexec_b64 s[4:5], s[6:7]
	s_cbranch_execz .LBB94_3
; %bb.59:                               ;   in Loop: Header=BB94_4 Depth=1
	v_lshl_add_u64 v[0:1], v[18:19], 3, v[0:1]
	global_load_dwordx2 v[2:3], v[0:1], off
	v_pk_mul_f32 v[4:5], v[12:13], s[44:45] op_sel_hi:[0,1]
	v_pk_fma_f32 v[6:7], v[14:15], s[34:35], v[4:5] neg_lo:[0,0,1] neg_hi:[0,0,1]
	v_pk_fma_f32 v[4:5], v[14:15], s[34:35], v[4:5] op_sel_hi:[0,1,1]
	v_mov_b32_e32 v7, v5
	s_waitcnt vmcnt(0)
	v_pk_add_f32 v[2:3], v[2:3], v[6:7]
	global_store_dwordx2 v[0:1], v[2:3], off
	s_branch .LBB94_3
.LBB94_60:
	s_endpgm
	.section	.rodata,"a",@progbits
	.p2align	6, 0x0
	.amdhsa_kernel _ZL30rocblas_trmm_outofplace_kernelI19rocblas_complex_numIfELi32ELi2ELb0ELb1ELb1ELb1EPKS1_S2_S1_Ev17rocblas_diagonal_iiT6_lPT7_lllS7_lllPT8_llli
		.amdhsa_group_segment_fixed_size 16384
		.amdhsa_private_segment_fixed_size 0
		.amdhsa_kernarg_size 392
		.amdhsa_user_sgpr_count 2
		.amdhsa_user_sgpr_dispatch_ptr 0
		.amdhsa_user_sgpr_queue_ptr 0
		.amdhsa_user_sgpr_kernarg_segment_ptr 1
		.amdhsa_user_sgpr_dispatch_id 0
		.amdhsa_user_sgpr_kernarg_preload_length 0
		.amdhsa_user_sgpr_kernarg_preload_offset 0
		.amdhsa_user_sgpr_private_segment_size 0
		.amdhsa_uses_dynamic_stack 0
		.amdhsa_enable_private_segment 0
		.amdhsa_system_sgpr_workgroup_id_x 1
		.amdhsa_system_sgpr_workgroup_id_y 1
		.amdhsa_system_sgpr_workgroup_id_z 1
		.amdhsa_system_sgpr_workgroup_info 0
		.amdhsa_system_vgpr_workitem_id 1
		.amdhsa_next_free_vgpr 80
		.amdhsa_next_free_sgpr 68
		.amdhsa_accum_offset 80
		.amdhsa_reserve_vcc 1
		.amdhsa_float_round_mode_32 0
		.amdhsa_float_round_mode_16_64 0
		.amdhsa_float_denorm_mode_32 3
		.amdhsa_float_denorm_mode_16_64 3
		.amdhsa_dx10_clamp 1
		.amdhsa_ieee_mode 1
		.amdhsa_fp16_overflow 0
		.amdhsa_tg_split 0
		.amdhsa_exception_fp_ieee_invalid_op 0
		.amdhsa_exception_fp_denorm_src 0
		.amdhsa_exception_fp_ieee_div_zero 0
		.amdhsa_exception_fp_ieee_overflow 0
		.amdhsa_exception_fp_ieee_underflow 0
		.amdhsa_exception_fp_ieee_inexact 0
		.amdhsa_exception_int_div_zero 0
	.end_amdhsa_kernel
	.section	.text._ZL30rocblas_trmm_outofplace_kernelI19rocblas_complex_numIfELi32ELi2ELb0ELb1ELb1ELb1EPKS1_S2_S1_Ev17rocblas_diagonal_iiT6_lPT7_lllS7_lllPT8_llli,"axG",@progbits,_ZL30rocblas_trmm_outofplace_kernelI19rocblas_complex_numIfELi32ELi2ELb0ELb1ELb1ELb1EPKS1_S2_S1_Ev17rocblas_diagonal_iiT6_lPT7_lllS7_lllPT8_llli,comdat
.Lfunc_end94:
	.size	_ZL30rocblas_trmm_outofplace_kernelI19rocblas_complex_numIfELi32ELi2ELb0ELb1ELb1ELb1EPKS1_S2_S1_Ev17rocblas_diagonal_iiT6_lPT7_lllS7_lllPT8_llli, .Lfunc_end94-_ZL30rocblas_trmm_outofplace_kernelI19rocblas_complex_numIfELi32ELi2ELb0ELb1ELb1ELb1EPKS1_S2_S1_Ev17rocblas_diagonal_iiT6_lPT7_lllS7_lllPT8_llli
                                        ; -- End function
	.set _ZL30rocblas_trmm_outofplace_kernelI19rocblas_complex_numIfELi32ELi2ELb0ELb1ELb1ELb1EPKS1_S2_S1_Ev17rocblas_diagonal_iiT6_lPT7_lllS7_lllPT8_llli.num_vgpr, 80
	.set _ZL30rocblas_trmm_outofplace_kernelI19rocblas_complex_numIfELi32ELi2ELb0ELb1ELb1ELb1EPKS1_S2_S1_Ev17rocblas_diagonal_iiT6_lPT7_lllS7_lllPT8_llli.num_agpr, 0
	.set _ZL30rocblas_trmm_outofplace_kernelI19rocblas_complex_numIfELi32ELi2ELb0ELb1ELb1ELb1EPKS1_S2_S1_Ev17rocblas_diagonal_iiT6_lPT7_lllS7_lllPT8_llli.numbered_sgpr, 68
	.set _ZL30rocblas_trmm_outofplace_kernelI19rocblas_complex_numIfELi32ELi2ELb0ELb1ELb1ELb1EPKS1_S2_S1_Ev17rocblas_diagonal_iiT6_lPT7_lllS7_lllPT8_llli.num_named_barrier, 0
	.set _ZL30rocblas_trmm_outofplace_kernelI19rocblas_complex_numIfELi32ELi2ELb0ELb1ELb1ELb1EPKS1_S2_S1_Ev17rocblas_diagonal_iiT6_lPT7_lllS7_lllPT8_llli.private_seg_size, 0
	.set _ZL30rocblas_trmm_outofplace_kernelI19rocblas_complex_numIfELi32ELi2ELb0ELb1ELb1ELb1EPKS1_S2_S1_Ev17rocblas_diagonal_iiT6_lPT7_lllS7_lllPT8_llli.uses_vcc, 1
	.set _ZL30rocblas_trmm_outofplace_kernelI19rocblas_complex_numIfELi32ELi2ELb0ELb1ELb1ELb1EPKS1_S2_S1_Ev17rocblas_diagonal_iiT6_lPT7_lllS7_lllPT8_llli.uses_flat_scratch, 0
	.set _ZL30rocblas_trmm_outofplace_kernelI19rocblas_complex_numIfELi32ELi2ELb0ELb1ELb1ELb1EPKS1_S2_S1_Ev17rocblas_diagonal_iiT6_lPT7_lllS7_lllPT8_llli.has_dyn_sized_stack, 0
	.set _ZL30rocblas_trmm_outofplace_kernelI19rocblas_complex_numIfELi32ELi2ELb0ELb1ELb1ELb1EPKS1_S2_S1_Ev17rocblas_diagonal_iiT6_lPT7_lllS7_lllPT8_llli.has_recursion, 0
	.set _ZL30rocblas_trmm_outofplace_kernelI19rocblas_complex_numIfELi32ELi2ELb0ELb1ELb1ELb1EPKS1_S2_S1_Ev17rocblas_diagonal_iiT6_lPT7_lllS7_lllPT8_llli.has_indirect_call, 0
	.section	.AMDGPU.csdata,"",@progbits
; Kernel info:
; codeLenInByte = 6352
; TotalNumSgprs: 74
; NumVgprs: 80
; NumAgprs: 0
; TotalNumVgprs: 80
; ScratchSize: 0
; MemoryBound: 0
; FloatMode: 240
; IeeeMode: 1
; LDSByteSize: 16384 bytes/workgroup (compile time only)
; SGPRBlocks: 9
; VGPRBlocks: 9
; NumSGPRsForWavesPerEU: 74
; NumVGPRsForWavesPerEU: 80
; AccumOffset: 80
; Occupancy: 6
; WaveLimiterHint : 0
; COMPUTE_PGM_RSRC2:SCRATCH_EN: 0
; COMPUTE_PGM_RSRC2:USER_SGPR: 2
; COMPUTE_PGM_RSRC2:TRAP_HANDLER: 0
; COMPUTE_PGM_RSRC2:TGID_X_EN: 1
; COMPUTE_PGM_RSRC2:TGID_Y_EN: 1
; COMPUTE_PGM_RSRC2:TGID_Z_EN: 1
; COMPUTE_PGM_RSRC2:TIDIG_COMP_CNT: 1
; COMPUTE_PGM_RSRC3_GFX90A:ACCUM_OFFSET: 19
; COMPUTE_PGM_RSRC3_GFX90A:TG_SPLIT: 0
	.section	.text._ZL30rocblas_trmm_outofplace_kernelI19rocblas_complex_numIfELi32ELi2ELb0ELb1ELb1ELb1ES1_KS1_S1_Ev17rocblas_diagonal_iiT6_lPT7_lllS6_lllPT8_llli,"axG",@progbits,_ZL30rocblas_trmm_outofplace_kernelI19rocblas_complex_numIfELi32ELi2ELb0ELb1ELb1ELb1ES1_KS1_S1_Ev17rocblas_diagonal_iiT6_lPT7_lllS6_lllPT8_llli,comdat
	.globl	_ZL30rocblas_trmm_outofplace_kernelI19rocblas_complex_numIfELi32ELi2ELb0ELb1ELb1ELb1ES1_KS1_S1_Ev17rocblas_diagonal_iiT6_lPT7_lllS6_lllPT8_llli ; -- Begin function _ZL30rocblas_trmm_outofplace_kernelI19rocblas_complex_numIfELi32ELi2ELb0ELb1ELb1ELb1ES1_KS1_S1_Ev17rocblas_diagonal_iiT6_lPT7_lllS6_lllPT8_llli
	.p2align	8
	.type	_ZL30rocblas_trmm_outofplace_kernelI19rocblas_complex_numIfELi32ELi2ELb0ELb1ELb1ELb1ES1_KS1_S1_Ev17rocblas_diagonal_iiT6_lPT7_lllS6_lllPT8_llli,@function
_ZL30rocblas_trmm_outofplace_kernelI19rocblas_complex_numIfELi32ELi2ELb0ELb1ELb1ELb1ES1_KS1_S1_Ev17rocblas_diagonal_iiT6_lPT7_lllS6_lllPT8_llli: ; @_ZL30rocblas_trmm_outofplace_kernelI19rocblas_complex_numIfELi32ELi2ELb0ELb1ELb1ELb1ES1_KS1_S1_Ev17rocblas_diagonal_iiT6_lPT7_lllS6_lllPT8_llli
; %bb.0:
	s_load_dwordx4 s[24:27], s[0:1], 0x0
	s_load_dword s29, s[0:1], 0x10
	s_waitcnt lgkmcnt(0)
	s_or_b32 s5, s27, s29
	s_bitset0_b32 s5, 31
	s_cmp_eq_u32 s5, 0
	s_cbranch_scc1 .LBB95_60
; %bb.1:
	s_add_i32 s5, s26, -1
	s_ashr_i32 s6, s5, 31
	s_lshr_b32 s6, s6, 27
	s_add_i32 s5, s5, s6
	s_ashr_i32 s33, s5, 5
	s_cmp_gt_i32 s3, s33
	s_cbranch_scc1 .LBB95_60
; %bb.2:
	s_load_dwordx8 s[16:23], s[0:1], 0x60
	s_load_dwordx16 s[36:51], s[0:1], 0x20
	v_and_b32_e32 v2, 0x3ff, v0
	v_lshl_add_u32 v16, s2, 5, v2
	v_bfe_u32 v55, v0, 10, 10
	s_waitcnt lgkmcnt(0)
	s_mul_i32 s5, s23, s4
	s_mul_hi_u32 s6, s22, s4
	s_add_i32 s7, s6, s5
	s_mul_i32 s6, s22, s4
	s_lshl_b64 s[6:7], s[6:7], 3
	s_add_u32 s5, s16, s6
	s_addc_u32 s8, s17, s7
	s_lshl_b64 s[6:7], s[18:19], 3
	s_add_u32 s22, s5, s6
	s_addc_u32 s23, s8, s7
	s_cmpk_eq_i32 s24, 0x84
	s_cselect_b64 s[30:31], -1, 0
	s_ashr_i32 s2, s25, 31
	s_ashr_i32 s35, s26, 31
	v_mov_b32_e32 v1, s2
	s_lshl_b64 s[52:53], s[40:41], 8
	s_lshl_b64 s[54:55], s[48:49], 8
	s_load_dword s2, s[0:1], 0x8c
	s_add_u32 s56, s26, -16
	s_addc_u32 s57, s35, -1
	s_lshl_b32 s5, s3, 5
	v_add_u32_e32 v20, s5, v2
	v_add_u32_e32 v22, s5, v55
	s_mul_i32 s5, s43, s4
	s_mul_hi_u32 s6, s42, s4
	v_add_u32_e32 v18, 16, v16
	s_add_i32 s7, s6, s5
	s_mul_i32 s6, s42, s4
	s_mov_b32 s28, s27
	v_sub_co_u32_e32 v0, vcc, s25, v16
	v_cmp_gt_i32_e64 s[16:17], s25, v16
	v_cmp_gt_i32_e64 s[18:19], s25, v18
	s_mov_b32 s25, s27
	s_waitcnt lgkmcnt(0)
	s_lshl_b32 s27, s2, 5
	s_lshl_b64 s[6:7], s[6:7], 3
	s_lshl_b64 s[8:9], s[38:39], 3
	s_add_u32 s5, s6, s8
	s_addc_u32 s6, s7, s9
	s_add_u32 s36, s36, s5
	s_addc_u32 s37, s37, s6
	s_lshl_b64 s[38:39], s[40:41], 3
	s_add_u32 s58, s44, 0x80
	s_mul_i32 s5, s51, s4
	s_mul_hi_u32 s6, s50, s4
	s_addc_u32 s59, s45, 0
	s_add_i32 s5, s6, s5
	s_mul_i32 s4, s50, s4
	s_lshl_b64 s[60:61], s[48:49], 3
	s_lshl_b64 s[4:5], s[4:5], 3
	;; [unrolled: 1-line block ×3, first 2 shown]
	v_ashrrev_i32_e32 v17, 31, v16
	v_lshlrev_b32_e32 v3, 3, v2
	s_add_u32 s4, s4, s6
	v_lshlrev_b32_e32 v57, 8, v55
	v_subb_co_u32_e32 v1, vcc, v1, v17, vcc
	v_or_b32_e32 v61, 0x2000, v3
	s_addc_u32 s5, s5, s7
	v_mov_b32_e32 v28, 0
	s_mov_b32 s34, s26
	v_add_u32_e32 v59, v57, v3
	v_add_u32_e32 v63, v61, v57
	v_cmp_gt_i64_e32 vcc, 1, v[0:1]
	v_cmp_gt_i64_e64 s[0:1], 17, v[0:1]
	v_ashrrev_i32_e32 v19, 31, v18
	s_mov_b32 s24, s29
	s_mov_b64 s[42:43], 0x80
	v_lshl_add_u64 v[24:25], v[16:17], 3, s[4:5]
	v_mov_b64_e32 v[26:27], 0x80
	v_mov_b32_e32 v29, v28
	v_mov_b32_e32 v30, 1.0
	v_mov_b32_e32 v31, v28
	v_add_u32_e32 v65, 0x800, v61
	v_add_u32_e32 v66, 0x1000, v61
	;; [unrolled: 1-line block ×3, first 2 shown]
	s_branch .LBB95_4
.LBB95_3:                               ;   in Loop: Header=BB95_4 Depth=1
	s_or_b64 exec, exec, s[4:5]
	s_add_i32 s3, s2, s3
	v_add_u32_e32 v20, s27, v20
	s_cmp_le_i32 s3, s33
	v_add_u32_e32 v22, s27, v22
	s_cbranch_scc0 .LBB95_60
.LBB95_4:                               ; =>This Loop Header: Depth=1
                                        ;     Child Loop BB95_7 Depth 2
	s_lshl_b32 s4, s3, 5
	v_add_u32_e32 v32, s4, v55
	s_sub_i32 s66, s26, s4
	v_ashrrev_i32_e32 v21, 31, v20
	v_ashrrev_i32_e32 v23, 31, v22
	s_cmp_lt_i32 s66, 1
	v_ashrrev_i32_e32 v33, 31, v32
	s_cbranch_scc1 .LBB95_51
; %bb.5:                                ;   in Loop: Header=BB95_4 Depth=1
	v_sub_co_u32_e64 v34, s[4:5], v22, v20
	v_lshl_add_u64 v[0:1], v[20:21], 3, v[26:27]
	v_mov_b64_e32 v[2:3], s[36:37]
	v_subb_co_u32_e64 v35, s[4:5], v23, v21, s[4:5]
	v_mul_lo_u32 v1, s40, v1
	v_mul_lo_u32 v4, s41, v0
	v_mad_u64_u32 v[38:39], s[4:5], s40, v0, v[2:3]
	v_add3_u32 v39, v4, v39, v1
	v_mad_u64_u32 v[40:41], s[4:5], s38, v20, v[2:3]
	v_mul_lo_u32 v0, s38, v21
	v_mul_lo_u32 v1, s39, v20
	v_add3_u32 v41, v1, v41, v0
	v_mov_b64_e32 v[0:1], s[58:59]
	v_lshlrev_b64 v[36:37], 3, v[22:23]
	v_mad_u64_u32 v[42:43], s[4:5], s60, v22, v[0:1]
	v_mul_lo_u32 v0, s60, v23
	v_mul_lo_u32 v1, s61, v22
	v_add3_u32 v43, v1, v43, v0
	v_lshl_add_u64 v[0:1], v[36:37], 0, s[42:43]
	v_mov_b64_e32 v[2:3], s[44:45]
	v_mul_lo_u32 v1, s48, v1
	v_mul_lo_u32 v4, s49, v0
	v_mad_u64_u32 v[44:45], s[4:5], s48, v0, v[2:3]
	v_lshl_add_u64 v[46:47], v[32:33], 0, 16
	v_add3_u32 v45, v4, v45, v1
	v_cmp_le_i32_e64 s[6:7], s26, v32
	v_cmp_le_i64_e64 s[8:9], s[34:35], v[46:47]
	v_lshl_add_u64 v[48:49], v[34:35], 0, 16
	v_lshl_add_u64 v[50:51], v[34:35], 0, -16
	v_mov_b32_e32 v12, 0
	s_mov_b64 s[46:47], 0
	v_mov_b64_e32 v[52:53], v[24:25]
	v_mov_b32_e32 v14, 0
	v_mov_b32_e32 v56, 0
	;; [unrolled: 1-line block ×7, first 2 shown]
	s_branch .LBB95_7
.LBB95_6:                               ;   in Loop: Header=BB95_7 Depth=2
	s_or_b64 exec, exec, s[4:5]
	s_waitcnt lgkmcnt(0)
	s_barrier
	ds_read_b128 v[68:71], v57
	ds_read_b128 v[8:11], v57 offset:16
	ds_read_b128 v[4:7], v57 offset:32
	;; [unrolled: 1-line block ×3, first 2 shown]
	ds_read2_b64 v[72:75], v61 offset1:16
	ds_read_b128 v[76:79], v57 offset:4096
	s_add_u32 s46, s46, 32
	s_addc_u32 s47, s47, 0
	v_lshl_add_u64 v[38:39], v[38:39], 0, s[52:53]
	s_waitcnt lgkmcnt(1)
	v_mul_f32_e32 v13, v69, v73
	v_mul_f32_e32 v15, v68, v73
	v_fma_f32 v13, v68, v72, -v13
	v_fmac_f32_e32 v15, v69, v72
	v_add_f32_e32 v62, v62, v13
	v_add_f32_e32 v64, v64, v15
	v_mul_f32_e32 v13, v69, v75
	v_mul_f32_e32 v15, v68, v75
	v_fma_f32 v13, v68, v74, -v13
	v_fmac_f32_e32 v15, v69, v74
	v_add_f32_e32 v58, v58, v13
	v_add_f32_e32 v60, v60, v15
	s_waitcnt lgkmcnt(0)
	v_mul_f32_e32 v13, v77, v73
	v_mul_f32_e32 v15, v76, v73
	v_fma_f32 v13, v76, v72, -v13
	v_fmac_f32_e32 v15, v77, v72
	v_add_f32_e32 v54, v54, v13
	v_add_f32_e32 v56, v56, v15
	v_mul_f32_e32 v13, v77, v75
	v_mul_f32_e32 v15, v76, v75
	v_fma_f32 v13, v76, v74, -v13
	v_fmac_f32_e32 v15, v77, v74
	v_add_f32_e32 v68, v14, v13
	v_add_f32_e32 v69, v12, v15
	ds_read2_b64 v[12:15], v61 offset0:32 offset1:48
	v_lshl_add_u64 v[40:41], v[40:41], 0, s[52:53]
	v_lshl_add_u64 v[52:53], v[52:53], 0, s[54:55]
	s_cmp_ge_i32 s46, s66
	s_waitcnt lgkmcnt(0)
	v_mul_f32_e32 v72, v71, v13
	v_fma_f32 v72, v70, v12, -v72
	v_add_f32_e32 v62, v62, v72
	v_mul_f32_e32 v72, v71, v15
	v_mul_f32_e32 v73, v70, v13
	v_fma_f32 v72, v70, v14, -v72
	v_mul_f32_e32 v70, v70, v15
	v_fmac_f32_e32 v70, v71, v14
	v_add_f32_e32 v60, v60, v70
	v_mul_f32_e32 v70, v79, v13
	v_mul_f32_e32 v13, v78, v13
	v_fmac_f32_e32 v13, v79, v12
	v_fmac_f32_e32 v73, v71, v12
	v_fma_f32 v70, v78, v12, -v70
	v_add_f32_e32 v56, v56, v13
	v_mul_f32_e32 v12, v79, v15
	v_mul_f32_e32 v13, v78, v15
	v_fma_f32 v12, v78, v14, -v12
	v_fmac_f32_e32 v13, v79, v14
	v_add_f32_e32 v64, v64, v73
	v_add_f32_e32 v58, v58, v72
	;; [unrolled: 1-line block ×4, first 2 shown]
	ds_read2_b64 v[12:15], v61 offset0:64 offset1:80
	v_add_f32_e32 v54, v54, v70
	s_waitcnt lgkmcnt(0)
	v_mul_f32_e32 v68, v9, v13
	v_fma_f32 v68, v8, v12, -v68
	v_mul_f32_e32 v69, v8, v13
	v_add_f32_e32 v62, v62, v68
	v_mul_f32_e32 v68, v9, v15
	v_fmac_f32_e32 v69, v9, v12
	v_fma_f32 v68, v8, v14, -v68
	v_mul_f32_e32 v8, v8, v15
	v_add_f32_e32 v64, v64, v69
	v_fmac_f32_e32 v8, v9, v14
	v_add_f32_e32 v9, v58, v68
	ds_read_b128 v[68:71], v57 offset:4112
	v_add_f32_e32 v8, v60, v8
	s_waitcnt lgkmcnt(0)
	v_mul_f32_e32 v58, v69, v13
	v_mul_f32_e32 v13, v68, v13
	v_fmac_f32_e32 v13, v69, v12
	v_fma_f32 v58, v68, v12, -v58
	v_add_f32_e32 v56, v56, v13
	v_mul_f32_e32 v12, v69, v15
	v_mul_f32_e32 v13, v68, v15
	v_fma_f32 v12, v68, v14, -v12
	v_fmac_f32_e32 v13, v69, v14
	v_add_f32_e32 v54, v54, v58
	v_add_f32_e32 v58, v72, v12
	;; [unrolled: 1-line block ×3, first 2 shown]
	ds_read2_b64 v[12:15], v61 offset0:96 offset1:112
	s_waitcnt lgkmcnt(0)
	v_mul_f32_e32 v68, v11, v13
	v_fma_f32 v68, v10, v12, -v68
	v_add_f32_e32 v62, v62, v68
	v_mul_f32_e32 v68, v11, v15
	v_mul_f32_e32 v69, v10, v13
	v_fma_f32 v68, v10, v14, -v68
	v_mul_f32_e32 v10, v10, v15
	v_fmac_f32_e32 v69, v11, v12
	v_fmac_f32_e32 v10, v11, v14
	v_add_f32_e32 v64, v64, v69
	v_add_f32_e32 v68, v9, v68
	;; [unrolled: 1-line block ×3, first 2 shown]
	v_mul_f32_e32 v8, v71, v13
	v_mul_f32_e32 v9, v70, v13
	v_fma_f32 v8, v70, v12, -v8
	v_fmac_f32_e32 v9, v71, v12
	v_add_f32_e32 v54, v54, v8
	v_add_f32_e32 v56, v56, v9
	v_mul_f32_e32 v8, v71, v15
	v_mul_f32_e32 v9, v70, v15
	v_fma_f32 v8, v70, v14, -v8
	v_fmac_f32_e32 v9, v71, v14
	v_add_f32_e32 v58, v58, v8
	v_add_f32_e32 v60, v60, v9
	ds_read2_b64 v[8:11], v61 offset0:128 offset1:144
	s_waitcnt lgkmcnt(0)
	v_mul_f32_e32 v12, v5, v9
	v_fma_f32 v12, v4, v8, -v12
	v_mul_f32_e32 v13, v4, v9
	v_add_f32_e32 v62, v62, v12
	v_mul_f32_e32 v12, v5, v11
	v_fmac_f32_e32 v13, v5, v8
	v_fma_f32 v12, v4, v10, -v12
	v_mul_f32_e32 v4, v4, v11
	v_add_f32_e32 v64, v64, v13
	v_fmac_f32_e32 v4, v5, v10
	v_add_f32_e32 v5, v68, v12
	ds_read_b128 v[12:15], v57 offset:4128
	v_add_f32_e32 v4, v69, v4
	s_waitcnt lgkmcnt(0)
	v_mul_f32_e32 v68, v13, v9
	v_mul_f32_e32 v9, v12, v9
	v_fmac_f32_e32 v9, v13, v8
	v_fma_f32 v68, v12, v8, -v68
	v_add_f32_e32 v56, v56, v9
	v_mul_f32_e32 v8, v13, v11
	v_mul_f32_e32 v9, v12, v11
	v_fma_f32 v8, v12, v10, -v8
	v_fmac_f32_e32 v9, v13, v10
	v_add_f32_e32 v12, v58, v8
	v_add_f32_e32 v13, v60, v9
	ds_read2_b64 v[8:11], v61 offset0:160 offset1:176
	v_add_f32_e32 v54, v54, v68
	s_waitcnt lgkmcnt(0)
	v_mul_f32_e32 v58, v7, v9
	v_fma_f32 v58, v6, v8, -v58
	v_add_f32_e32 v58, v62, v58
	v_mul_f32_e32 v62, v7, v11
	v_mul_f32_e32 v60, v6, v9
	v_fma_f32 v62, v6, v10, -v62
	v_mul_f32_e32 v6, v6, v11
	v_fmac_f32_e32 v60, v7, v8
	v_fmac_f32_e32 v6, v7, v10
	v_add_f32_e32 v60, v64, v60
	v_add_f32_e32 v62, v5, v62
	;; [unrolled: 1-line block ×3, first 2 shown]
	v_mul_f32_e32 v4, v15, v9
	v_mul_f32_e32 v5, v14, v9
	v_fma_f32 v4, v14, v8, -v4
	v_fmac_f32_e32 v5, v15, v8
	v_add_f32_e32 v54, v54, v4
	v_add_f32_e32 v56, v56, v5
	v_mul_f32_e32 v4, v15, v11
	v_mul_f32_e32 v5, v14, v11
	v_fma_f32 v4, v14, v10, -v4
	v_fmac_f32_e32 v5, v15, v10
	v_add_f32_e32 v12, v12, v4
	v_add_f32_e32 v13, v13, v5
	ds_read2_b64 v[4:7], v61 offset0:192 offset1:208
	s_waitcnt lgkmcnt(0)
	v_mul_f32_e32 v8, v1, v5
	v_fma_f32 v8, v0, v4, -v8
	v_mul_f32_e32 v9, v0, v5
	v_add_f32_e32 v14, v58, v8
	v_mul_f32_e32 v8, v1, v7
	v_fmac_f32_e32 v9, v1, v4
	v_fma_f32 v8, v0, v6, -v8
	v_mul_f32_e32 v0, v0, v7
	v_add_f32_e32 v15, v60, v9
	v_fmac_f32_e32 v0, v1, v6
	v_add_f32_e32 v1, v62, v8
	ds_read_b128 v[8:11], v57 offset:4144
	v_add_f32_e32 v0, v64, v0
	s_waitcnt lgkmcnt(0)
	v_mul_f32_e32 v58, v9, v5
	v_mul_f32_e32 v5, v8, v5
	v_fmac_f32_e32 v5, v9, v4
	v_fma_f32 v58, v8, v4, -v58
	v_add_f32_e32 v56, v56, v5
	v_mul_f32_e32 v4, v9, v7
	v_mul_f32_e32 v5, v8, v7
	v_fma_f32 v4, v8, v6, -v4
	v_fmac_f32_e32 v5, v9, v6
	v_add_f32_e32 v8, v12, v4
	v_add_f32_e32 v9, v13, v5
	ds_read2_b64 v[4:7], v61 offset0:224 offset1:240
	v_add_f32_e32 v54, v54, v58
	s_waitcnt lgkmcnt(0)
	v_mul_f32_e32 v12, v3, v5
	v_fma_f32 v12, v2, v4, -v12
	v_add_f32_e32 v12, v14, v12
	v_mul_f32_e32 v14, v3, v7
	v_mul_f32_e32 v13, v2, v5
	v_fma_f32 v14, v2, v6, -v14
	v_mul_f32_e32 v2, v2, v7
	v_fmac_f32_e32 v13, v3, v4
	v_fmac_f32_e32 v2, v3, v6
	v_add_f32_e32 v13, v15, v13
	v_add_f32_e32 v14, v1, v14
	;; [unrolled: 1-line block ×3, first 2 shown]
	v_mul_f32_e32 v0, v11, v5
	v_mul_f32_e32 v1, v10, v5
	v_fma_f32 v0, v10, v4, -v0
	v_fmac_f32_e32 v1, v11, v4
	v_add_f32_e32 v54, v54, v0
	v_add_f32_e32 v56, v56, v1
	v_mul_f32_e32 v0, v11, v7
	v_mul_f32_e32 v1, v10, v7
	v_fma_f32 v0, v10, v6, -v0
	v_fmac_f32_e32 v1, v11, v6
	v_add_f32_e32 v58, v8, v0
	v_add_f32_e32 v60, v9, v1
	ds_read_b128 v[0:3], v57 offset:64
	ds_read2_b64 v[4:7], v65 offset1:16
	s_waitcnt lgkmcnt(0)
	v_mul_f32_e32 v8, v1, v5
	v_fma_f32 v8, v0, v4, -v8
	v_mul_f32_e32 v9, v0, v5
	v_add_f32_e32 v12, v12, v8
	v_mul_f32_e32 v8, v1, v7
	v_fmac_f32_e32 v9, v1, v4
	v_fma_f32 v8, v0, v6, -v8
	v_mul_f32_e32 v0, v0, v7
	v_add_f32_e32 v13, v13, v9
	v_fmac_f32_e32 v0, v1, v6
	v_add_f32_e32 v1, v14, v8
	ds_read_b128 v[8:11], v57 offset:4160
	v_add_f32_e32 v0, v15, v0
	s_waitcnt lgkmcnt(0)
	v_mul_f32_e32 v14, v9, v5
	v_mul_f32_e32 v5, v8, v5
	v_fmac_f32_e32 v5, v9, v4
	v_fma_f32 v14, v8, v4, -v14
	v_add_f32_e32 v15, v56, v5
	v_mul_f32_e32 v4, v9, v7
	v_mul_f32_e32 v5, v8, v7
	v_fma_f32 v4, v8, v6, -v4
	v_fmac_f32_e32 v5, v9, v6
	v_add_f32_e32 v8, v58, v4
	v_add_f32_e32 v9, v60, v5
	ds_read2_b64 v[4:7], v65 offset0:32 offset1:48
	v_add_f32_e32 v14, v54, v14
	s_waitcnt lgkmcnt(0)
	v_mul_f32_e32 v54, v3, v5
	v_fma_f32 v54, v2, v4, -v54
	v_add_f32_e32 v12, v12, v54
	v_mul_f32_e32 v54, v3, v7
	v_mul_f32_e32 v56, v2, v5
	v_fma_f32 v54, v2, v6, -v54
	v_mul_f32_e32 v2, v2, v7
	v_fmac_f32_e32 v56, v3, v4
	v_fmac_f32_e32 v2, v3, v6
	v_add_f32_e32 v13, v13, v56
	v_add_f32_e32 v54, v1, v54
	v_add_f32_e32 v56, v0, v2
	v_mul_f32_e32 v0, v11, v5
	v_mul_f32_e32 v1, v10, v5
	v_fma_f32 v0, v10, v4, -v0
	v_fmac_f32_e32 v1, v11, v4
	v_add_f32_e32 v14, v14, v0
	v_add_f32_e32 v15, v15, v1
	v_mul_f32_e32 v0, v11, v7
	v_mul_f32_e32 v1, v10, v7
	v_fma_f32 v0, v10, v6, -v0
	v_fmac_f32_e32 v1, v11, v6
	v_add_f32_e32 v58, v8, v0
	v_add_f32_e32 v60, v9, v1
	ds_read_b128 v[0:3], v57 offset:80
	ds_read2_b64 v[4:7], v65 offset0:64 offset1:80
	s_waitcnt lgkmcnt(0)
	v_mul_f32_e32 v8, v1, v5
	v_fma_f32 v8, v0, v4, -v8
	v_mul_f32_e32 v9, v0, v5
	v_add_f32_e32 v12, v12, v8
	v_mul_f32_e32 v8, v1, v7
	v_fmac_f32_e32 v9, v1, v4
	v_fma_f32 v8, v0, v6, -v8
	v_mul_f32_e32 v0, v0, v7
	v_add_f32_e32 v13, v13, v9
	v_fmac_f32_e32 v0, v1, v6
	v_add_f32_e32 v1, v54, v8
	ds_read_b128 v[8:11], v57 offset:4176
	v_add_f32_e32 v0, v56, v0
	s_waitcnt lgkmcnt(0)
	v_mul_f32_e32 v54, v9, v5
	v_mul_f32_e32 v5, v8, v5
	v_fmac_f32_e32 v5, v9, v4
	v_fma_f32 v54, v8, v4, -v54
	v_add_f32_e32 v15, v15, v5
	v_mul_f32_e32 v4, v9, v7
	v_mul_f32_e32 v5, v8, v7
	v_fma_f32 v4, v8, v6, -v4
	v_fmac_f32_e32 v5, v9, v6
	v_add_f32_e32 v8, v58, v4
	v_add_f32_e32 v9, v60, v5
	ds_read2_b64 v[4:7], v65 offset0:96 offset1:112
	v_add_f32_e32 v14, v14, v54
	s_waitcnt lgkmcnt(0)
	v_mul_f32_e32 v54, v3, v5
	v_fma_f32 v54, v2, v4, -v54
	v_add_f32_e32 v12, v12, v54
	v_mul_f32_e32 v54, v3, v7
	v_mul_f32_e32 v56, v2, v5
	v_fma_f32 v54, v2, v6, -v54
	v_mul_f32_e32 v2, v2, v7
	v_fmac_f32_e32 v56, v3, v4
	v_fmac_f32_e32 v2, v3, v6
	v_add_f32_e32 v13, v13, v56
	v_add_f32_e32 v54, v1, v54
	v_add_f32_e32 v56, v0, v2
	v_mul_f32_e32 v0, v11, v5
	v_mul_f32_e32 v1, v10, v5
	v_fma_f32 v0, v10, v4, -v0
	v_fmac_f32_e32 v1, v11, v4
	v_add_f32_e32 v14, v14, v0
	v_add_f32_e32 v15, v15, v1
	v_mul_f32_e32 v0, v11, v7
	v_mul_f32_e32 v1, v10, v7
	v_fma_f32 v0, v10, v6, -v0
	v_fmac_f32_e32 v1, v11, v6
	v_add_f32_e32 v58, v8, v0
	v_add_f32_e32 v60, v9, v1
	ds_read_b128 v[0:3], v57 offset:96
	ds_read2_b64 v[4:7], v65 offset0:128 offset1:144
	;; [unrolled: 55-line block ×3, first 2 shown]
	s_waitcnt lgkmcnt(0)
	v_mul_f32_e32 v8, v1, v5
	v_fma_f32 v8, v0, v4, -v8
	v_mul_f32_e32 v9, v0, v5
	v_add_f32_e32 v12, v12, v8
	v_mul_f32_e32 v8, v1, v7
	v_fmac_f32_e32 v9, v1, v4
	v_fma_f32 v8, v0, v6, -v8
	v_mul_f32_e32 v0, v0, v7
	v_add_f32_e32 v13, v13, v9
	v_fmac_f32_e32 v0, v1, v6
	v_add_f32_e32 v1, v54, v8
	ds_read_b128 v[8:11], v57 offset:4208
	v_add_f32_e32 v0, v56, v0
	s_waitcnt lgkmcnt(0)
	v_mul_f32_e32 v54, v9, v5
	v_mul_f32_e32 v5, v8, v5
	v_fmac_f32_e32 v5, v9, v4
	v_fma_f32 v54, v8, v4, -v54
	v_add_f32_e32 v15, v15, v5
	v_mul_f32_e32 v4, v9, v7
	v_mul_f32_e32 v5, v8, v7
	v_fma_f32 v4, v8, v6, -v4
	v_fmac_f32_e32 v5, v9, v6
	v_add_f32_e32 v8, v58, v4
	v_add_f32_e32 v9, v60, v5
	ds_read2_b64 v[4:7], v65 offset0:224 offset1:240
	v_add_f32_e32 v14, v14, v54
	s_waitcnt lgkmcnt(0)
	v_mul_f32_e32 v54, v3, v5
	v_fma_f32 v54, v2, v4, -v54
	v_add_f32_e32 v12, v12, v54
	v_mul_f32_e32 v54, v3, v7
	v_mul_f32_e32 v56, v2, v5
	v_fma_f32 v54, v2, v6, -v54
	v_mul_f32_e32 v2, v2, v7
	v_fmac_f32_e32 v56, v3, v4
	v_fmac_f32_e32 v2, v3, v6
	v_add_f32_e32 v13, v13, v56
	v_add_f32_e32 v54, v1, v54
	;; [unrolled: 1-line block ×3, first 2 shown]
	v_mul_f32_e32 v0, v11, v5
	v_mul_f32_e32 v1, v10, v5
	v_fma_f32 v0, v10, v4, -v0
	v_fmac_f32_e32 v1, v11, v4
	v_add_f32_e32 v14, v14, v0
	v_add_f32_e32 v15, v15, v1
	v_mul_f32_e32 v0, v11, v7
	v_mul_f32_e32 v1, v10, v7
	v_fma_f32 v0, v10, v6, -v0
	v_fmac_f32_e32 v1, v11, v6
	v_add_f32_e32 v58, v8, v0
	v_add_f32_e32 v60, v9, v1
	ds_read_b128 v[0:3], v57 offset:128
	ds_read2_b64 v[4:7], v66 offset1:16
	s_waitcnt lgkmcnt(0)
	v_mul_f32_e32 v8, v1, v5
	v_fma_f32 v8, v0, v4, -v8
	v_mul_f32_e32 v9, v0, v5
	v_add_f32_e32 v12, v12, v8
	v_mul_f32_e32 v8, v1, v7
	v_fmac_f32_e32 v9, v1, v4
	v_fma_f32 v8, v0, v6, -v8
	v_mul_f32_e32 v0, v0, v7
	v_add_f32_e32 v13, v13, v9
	v_fmac_f32_e32 v0, v1, v6
	v_add_f32_e32 v1, v54, v8
	ds_read_b128 v[8:11], v57 offset:4224
	v_add_f32_e32 v0, v56, v0
	s_waitcnt lgkmcnt(0)
	v_mul_f32_e32 v54, v9, v5
	v_mul_f32_e32 v5, v8, v5
	v_fmac_f32_e32 v5, v9, v4
	v_fma_f32 v54, v8, v4, -v54
	v_add_f32_e32 v15, v15, v5
	v_mul_f32_e32 v4, v9, v7
	v_mul_f32_e32 v5, v8, v7
	v_fma_f32 v4, v8, v6, -v4
	v_fmac_f32_e32 v5, v9, v6
	v_add_f32_e32 v8, v58, v4
	v_add_f32_e32 v9, v60, v5
	ds_read2_b64 v[4:7], v66 offset0:32 offset1:48
	v_add_f32_e32 v14, v14, v54
	s_waitcnt lgkmcnt(0)
	v_mul_f32_e32 v54, v3, v5
	v_fma_f32 v54, v2, v4, -v54
	v_add_f32_e32 v12, v12, v54
	v_mul_f32_e32 v54, v3, v7
	v_mul_f32_e32 v56, v2, v5
	v_fma_f32 v54, v2, v6, -v54
	v_mul_f32_e32 v2, v2, v7
	v_fmac_f32_e32 v56, v3, v4
	v_fmac_f32_e32 v2, v3, v6
	v_add_f32_e32 v13, v13, v56
	v_add_f32_e32 v54, v1, v54
	v_add_f32_e32 v56, v0, v2
	v_mul_f32_e32 v0, v11, v5
	v_mul_f32_e32 v1, v10, v5
	v_fma_f32 v0, v10, v4, -v0
	v_fmac_f32_e32 v1, v11, v4
	v_add_f32_e32 v14, v14, v0
	v_add_f32_e32 v15, v15, v1
	v_mul_f32_e32 v0, v11, v7
	v_mul_f32_e32 v1, v10, v7
	v_fma_f32 v0, v10, v6, -v0
	v_fmac_f32_e32 v1, v11, v6
	v_add_f32_e32 v58, v8, v0
	v_add_f32_e32 v60, v9, v1
	ds_read_b128 v[0:3], v57 offset:144
	ds_read2_b64 v[4:7], v66 offset0:64 offset1:80
	s_waitcnt lgkmcnt(0)
	v_mul_f32_e32 v8, v1, v5
	v_fma_f32 v8, v0, v4, -v8
	v_mul_f32_e32 v9, v0, v5
	v_add_f32_e32 v12, v12, v8
	v_mul_f32_e32 v8, v1, v7
	v_fmac_f32_e32 v9, v1, v4
	v_fma_f32 v8, v0, v6, -v8
	v_mul_f32_e32 v0, v0, v7
	v_add_f32_e32 v13, v13, v9
	v_fmac_f32_e32 v0, v1, v6
	v_add_f32_e32 v1, v54, v8
	ds_read_b128 v[8:11], v57 offset:4240
	v_add_f32_e32 v0, v56, v0
	s_waitcnt lgkmcnt(0)
	v_mul_f32_e32 v54, v9, v5
	v_mul_f32_e32 v5, v8, v5
	v_fmac_f32_e32 v5, v9, v4
	v_fma_f32 v54, v8, v4, -v54
	v_add_f32_e32 v15, v15, v5
	v_mul_f32_e32 v4, v9, v7
	v_mul_f32_e32 v5, v8, v7
	v_fma_f32 v4, v8, v6, -v4
	v_fmac_f32_e32 v5, v9, v6
	v_add_f32_e32 v8, v58, v4
	v_add_f32_e32 v9, v60, v5
	ds_read2_b64 v[4:7], v66 offset0:96 offset1:112
	v_add_f32_e32 v14, v14, v54
	s_waitcnt lgkmcnt(0)
	v_mul_f32_e32 v54, v3, v5
	v_fma_f32 v54, v2, v4, -v54
	v_add_f32_e32 v12, v12, v54
	v_mul_f32_e32 v54, v3, v7
	v_mul_f32_e32 v56, v2, v5
	v_fma_f32 v54, v2, v6, -v54
	v_mul_f32_e32 v2, v2, v7
	v_fmac_f32_e32 v56, v3, v4
	v_fmac_f32_e32 v2, v3, v6
	v_add_f32_e32 v13, v13, v56
	v_add_f32_e32 v54, v1, v54
	v_add_f32_e32 v56, v0, v2
	v_mul_f32_e32 v0, v11, v5
	v_mul_f32_e32 v1, v10, v5
	v_fma_f32 v0, v10, v4, -v0
	v_fmac_f32_e32 v1, v11, v4
	v_add_f32_e32 v14, v14, v0
	v_add_f32_e32 v15, v15, v1
	v_mul_f32_e32 v0, v11, v7
	v_mul_f32_e32 v1, v10, v7
	v_fma_f32 v0, v10, v6, -v0
	v_fmac_f32_e32 v1, v11, v6
	v_add_f32_e32 v58, v8, v0
	v_add_f32_e32 v60, v9, v1
	ds_read_b128 v[0:3], v57 offset:160
	ds_read2_b64 v[4:7], v66 offset0:128 offset1:144
	;; [unrolled: 55-line block ×3, first 2 shown]
	s_waitcnt lgkmcnt(0)
	v_mul_f32_e32 v8, v1, v5
	v_fma_f32 v8, v0, v4, -v8
	v_mul_f32_e32 v9, v0, v5
	v_add_f32_e32 v12, v12, v8
	v_mul_f32_e32 v8, v1, v7
	v_fmac_f32_e32 v9, v1, v4
	v_fma_f32 v8, v0, v6, -v8
	v_mul_f32_e32 v0, v0, v7
	v_add_f32_e32 v13, v13, v9
	v_fmac_f32_e32 v0, v1, v6
	v_add_f32_e32 v1, v54, v8
	ds_read_b128 v[8:11], v57 offset:4272
	v_add_f32_e32 v0, v56, v0
	s_waitcnt lgkmcnt(0)
	v_mul_f32_e32 v54, v9, v5
	v_mul_f32_e32 v5, v8, v5
	v_fmac_f32_e32 v5, v9, v4
	v_fma_f32 v54, v8, v4, -v54
	v_add_f32_e32 v15, v15, v5
	v_mul_f32_e32 v4, v9, v7
	v_mul_f32_e32 v5, v8, v7
	v_fma_f32 v4, v8, v6, -v4
	v_fmac_f32_e32 v5, v9, v6
	v_add_f32_e32 v8, v58, v4
	v_add_f32_e32 v9, v60, v5
	ds_read2_b64 v[4:7], v66 offset0:224 offset1:240
	v_add_f32_e32 v14, v14, v54
	s_waitcnt lgkmcnt(0)
	v_mul_f32_e32 v54, v3, v5
	v_fma_f32 v54, v2, v4, -v54
	v_add_f32_e32 v12, v12, v54
	v_mul_f32_e32 v54, v3, v7
	v_mul_f32_e32 v56, v2, v5
	v_fma_f32 v54, v2, v6, -v54
	v_mul_f32_e32 v2, v2, v7
	v_fmac_f32_e32 v56, v3, v4
	v_fmac_f32_e32 v2, v3, v6
	v_add_f32_e32 v13, v13, v56
	v_add_f32_e32 v54, v1, v54
	;; [unrolled: 1-line block ×3, first 2 shown]
	v_mul_f32_e32 v0, v11, v5
	v_mul_f32_e32 v1, v10, v5
	v_fma_f32 v0, v10, v4, -v0
	v_fmac_f32_e32 v1, v11, v4
	v_add_f32_e32 v14, v14, v0
	v_add_f32_e32 v15, v15, v1
	v_mul_f32_e32 v0, v11, v7
	v_mul_f32_e32 v1, v10, v7
	v_fma_f32 v0, v10, v6, -v0
	v_fmac_f32_e32 v1, v11, v6
	v_add_f32_e32 v58, v8, v0
	v_add_f32_e32 v60, v9, v1
	ds_read_b128 v[0:3], v57 offset:192
	ds_read2_b64 v[4:7], v67 offset1:16
	s_waitcnt lgkmcnt(0)
	v_mul_f32_e32 v8, v1, v5
	v_fma_f32 v8, v0, v4, -v8
	v_mul_f32_e32 v9, v0, v5
	v_add_f32_e32 v12, v12, v8
	v_mul_f32_e32 v8, v1, v7
	v_fmac_f32_e32 v9, v1, v4
	v_fma_f32 v8, v0, v6, -v8
	v_mul_f32_e32 v0, v0, v7
	v_add_f32_e32 v13, v13, v9
	v_fmac_f32_e32 v0, v1, v6
	v_add_f32_e32 v1, v54, v8
	ds_read_b128 v[8:11], v57 offset:4288
	v_add_f32_e32 v0, v56, v0
	s_waitcnt lgkmcnt(0)
	v_mul_f32_e32 v54, v9, v5
	v_mul_f32_e32 v5, v8, v5
	v_fmac_f32_e32 v5, v9, v4
	v_fma_f32 v54, v8, v4, -v54
	v_add_f32_e32 v15, v15, v5
	v_mul_f32_e32 v4, v9, v7
	v_mul_f32_e32 v5, v8, v7
	v_fma_f32 v4, v8, v6, -v4
	v_fmac_f32_e32 v5, v9, v6
	v_add_f32_e32 v8, v58, v4
	v_add_f32_e32 v9, v60, v5
	ds_read2_b64 v[4:7], v67 offset0:32 offset1:48
	v_add_f32_e32 v14, v14, v54
	s_waitcnt lgkmcnt(0)
	v_mul_f32_e32 v54, v3, v5
	v_fma_f32 v54, v2, v4, -v54
	v_add_f32_e32 v12, v12, v54
	v_mul_f32_e32 v54, v3, v7
	v_mul_f32_e32 v56, v2, v5
	v_fma_f32 v54, v2, v6, -v54
	v_mul_f32_e32 v2, v2, v7
	v_fmac_f32_e32 v56, v3, v4
	v_fmac_f32_e32 v2, v3, v6
	v_add_f32_e32 v13, v13, v56
	v_add_f32_e32 v54, v1, v54
	v_add_f32_e32 v56, v0, v2
	v_mul_f32_e32 v0, v11, v5
	v_mul_f32_e32 v1, v10, v5
	v_fma_f32 v0, v10, v4, -v0
	v_fmac_f32_e32 v1, v11, v4
	v_add_f32_e32 v14, v14, v0
	v_add_f32_e32 v15, v15, v1
	v_mul_f32_e32 v0, v11, v7
	v_mul_f32_e32 v1, v10, v7
	v_fma_f32 v0, v10, v6, -v0
	v_fmac_f32_e32 v1, v11, v6
	v_add_f32_e32 v58, v8, v0
	v_add_f32_e32 v60, v9, v1
	ds_read_b128 v[0:3], v57 offset:208
	ds_read2_b64 v[4:7], v67 offset0:64 offset1:80
	s_waitcnt lgkmcnt(0)
	v_mul_f32_e32 v8, v1, v5
	v_fma_f32 v8, v0, v4, -v8
	v_mul_f32_e32 v9, v0, v5
	v_add_f32_e32 v12, v12, v8
	v_mul_f32_e32 v8, v1, v7
	v_fmac_f32_e32 v9, v1, v4
	v_fma_f32 v8, v0, v6, -v8
	v_mul_f32_e32 v0, v0, v7
	v_add_f32_e32 v13, v13, v9
	v_fmac_f32_e32 v0, v1, v6
	v_add_f32_e32 v1, v54, v8
	ds_read_b128 v[8:11], v57 offset:4304
	v_add_f32_e32 v0, v56, v0
	s_waitcnt lgkmcnt(0)
	v_mul_f32_e32 v54, v9, v5
	v_mul_f32_e32 v5, v8, v5
	v_fmac_f32_e32 v5, v9, v4
	v_fma_f32 v54, v8, v4, -v54
	v_add_f32_e32 v15, v15, v5
	v_mul_f32_e32 v4, v9, v7
	v_mul_f32_e32 v5, v8, v7
	v_fma_f32 v4, v8, v6, -v4
	v_fmac_f32_e32 v5, v9, v6
	v_add_f32_e32 v8, v58, v4
	v_add_f32_e32 v9, v60, v5
	ds_read2_b64 v[4:7], v67 offset0:96 offset1:112
	v_add_f32_e32 v14, v14, v54
	s_waitcnt lgkmcnt(0)
	v_mul_f32_e32 v54, v3, v5
	v_fma_f32 v54, v2, v4, -v54
	v_add_f32_e32 v12, v12, v54
	v_mul_f32_e32 v54, v3, v7
	v_mul_f32_e32 v56, v2, v5
	v_fma_f32 v54, v2, v6, -v54
	v_mul_f32_e32 v2, v2, v7
	v_fmac_f32_e32 v56, v3, v4
	v_fmac_f32_e32 v2, v3, v6
	v_add_f32_e32 v13, v13, v56
	v_add_f32_e32 v54, v1, v54
	v_add_f32_e32 v56, v0, v2
	v_mul_f32_e32 v0, v11, v5
	v_mul_f32_e32 v1, v10, v5
	v_fma_f32 v0, v10, v4, -v0
	v_fmac_f32_e32 v1, v11, v4
	v_add_f32_e32 v14, v14, v0
	v_add_f32_e32 v15, v15, v1
	v_mul_f32_e32 v0, v11, v7
	v_mul_f32_e32 v1, v10, v7
	v_fma_f32 v0, v10, v6, -v0
	v_fmac_f32_e32 v1, v11, v6
	v_add_f32_e32 v58, v8, v0
	v_add_f32_e32 v60, v9, v1
	ds_read_b128 v[0:3], v57 offset:224
	ds_read2_b64 v[4:7], v67 offset0:128 offset1:144
	;; [unrolled: 55-line block ×3, first 2 shown]
	s_waitcnt lgkmcnt(0)
	v_mul_f32_e32 v8, v1, v5
	v_fma_f32 v8, v0, v4, -v8
	v_mul_f32_e32 v9, v0, v5
	v_add_f32_e32 v12, v12, v8
	v_mul_f32_e32 v8, v1, v7
	v_fmac_f32_e32 v9, v1, v4
	v_fma_f32 v8, v0, v6, -v8
	v_mul_f32_e32 v0, v0, v7
	v_add_f32_e32 v13, v13, v9
	v_fmac_f32_e32 v0, v1, v6
	v_add_f32_e32 v1, v54, v8
	ds_read_b128 v[8:11], v57 offset:4336
	v_add_f32_e32 v0, v56, v0
	s_waitcnt lgkmcnt(0)
	v_mul_f32_e32 v54, v9, v5
	v_mul_f32_e32 v5, v8, v5
	v_fmac_f32_e32 v5, v9, v4
	v_fma_f32 v54, v8, v4, -v54
	v_add_f32_e32 v15, v15, v5
	v_mul_f32_e32 v4, v9, v7
	v_mul_f32_e32 v5, v8, v7
	v_fma_f32 v4, v8, v6, -v4
	v_fmac_f32_e32 v5, v9, v6
	v_add_f32_e32 v8, v58, v4
	v_add_f32_e32 v9, v60, v5
	ds_read2_b64 v[4:7], v67 offset0:224 offset1:240
	v_add_f32_e32 v14, v14, v54
	s_waitcnt lgkmcnt(0)
	s_barrier
	v_mul_f32_e32 v54, v3, v5
	v_fma_f32 v54, v2, v4, -v54
	v_add_f32_e32 v62, v12, v54
	v_mul_f32_e32 v12, v3, v7
	v_mul_f32_e32 v56, v2, v5
	v_fma_f32 v12, v2, v6, -v12
	v_mul_f32_e32 v2, v2, v7
	v_fmac_f32_e32 v2, v3, v6
	v_add_f32_e32 v58, v1, v12
	v_add_f32_e32 v60, v0, v2
	v_mul_f32_e32 v0, v11, v5
	v_mul_f32_e32 v1, v10, v5
	v_fmac_f32_e32 v56, v3, v4
	v_fma_f32 v0, v10, v4, -v0
	v_fmac_f32_e32 v1, v11, v4
	v_add_f32_e32 v64, v13, v56
	v_add_f32_e32 v54, v14, v0
	;; [unrolled: 1-line block ×3, first 2 shown]
	v_mul_f32_e32 v0, v11, v7
	v_mul_f32_e32 v1, v10, v7
	v_fma_f32 v0, v10, v6, -v0
	v_fmac_f32_e32 v1, v11, v6
	v_add_f32_e32 v14, v8, v0
	v_add_f32_e32 v12, v9, v1
	s_cbranch_scc1 .LBB95_52
.LBB95_7:                               ;   Parent Loop BB95_4 Depth=1
                                        ; =>  This Inner Loop Header: Depth=2
	v_lshl_add_u64 v[2:3], v[20:21], 0, s[46:47]
	v_cmp_eq_u64_e64 s[4:5], s[46:47], v[34:35]
	v_cmp_lt_i64_e64 s[10:11], v[2:3], v[32:33]
	s_and_b64 s[62:63], s[30:31], s[4:5]
	v_cmp_le_i64_e64 s[12:13], s[34:35], v[2:3]
	s_or_b64 s[4:5], s[6:7], s[10:11]
	s_or_b64 s[4:5], s[12:13], s[4:5]
	v_lshl_add_u64 v[0:1], v[40:41], 0, v[36:37]
	s_nor_b64 s[4:5], s[4:5], s[62:63]
	s_and_saveexec_b64 s[14:15], s[4:5]
	s_xor_b64 s[4:5], exec, s[14:15]
	s_cbranch_execz .LBB95_9
; %bb.8:                                ;   in Loop: Header=BB95_7 Depth=2
	global_load_dwordx2 v[4:5], v[0:1], off
	s_waitcnt vmcnt(0)
	v_xor_b32_e32 v5, 0x80000000, v5
	ds_write_b64 v59, v[4:5]
.LBB95_9:                               ;   in Loop: Header=BB95_7 Depth=2
	s_or_saveexec_b64 s[4:5], s[4:5]
	s_xor_b64 s[50:51], s[62:63], -1
	s_xor_b64 exec, exec, s[4:5]
	s_cbranch_execz .LBB95_15
; %bb.10:                               ;   in Loop: Header=BB95_7 Depth=2
	s_and_saveexec_b64 s[14:15], s[50:51]
	s_xor_b64 s[14:15], exec, s[14:15]
; %bb.11:                               ;   in Loop: Header=BB95_7 Depth=2
	ds_write_b64 v59, v[28:29]
; %bb.12:                               ;   in Loop: Header=BB95_7 Depth=2
	s_andn2_saveexec_b64 s[14:15], s[14:15]
; %bb.13:                               ;   in Loop: Header=BB95_7 Depth=2
	ds_write_b64 v59, v[30:31]
; %bb.14:                               ;   in Loop: Header=BB95_7 Depth=2
	s_or_b64 exec, exec, s[14:15]
.LBB95_15:                              ;   in Loop: Header=BB95_7 Depth=2
	s_or_b64 exec, exec, s[4:5]
	v_lshl_add_u64 v[4:5], v[2:3], 0, 16
	v_cmp_eq_u64_e64 s[4:5], s[46:47], v[50:51]
	s_and_b64 s[64:65], s[30:31], s[4:5]
	v_cmp_lt_i64_e64 s[4:5], v[4:5], v[32:33]
	v_cmp_le_i64_e64 s[14:15], s[34:35], v[4:5]
	s_or_b64 s[4:5], s[6:7], s[4:5]
	s_or_b64 s[4:5], s[14:15], s[4:5]
	s_nor_b64 s[4:5], s[4:5], s[64:65]
	v_lshl_add_u64 v[4:5], v[38:39], 0, v[36:37]
	s_and_saveexec_b64 s[68:69], s[4:5]
	s_xor_b64 s[4:5], exec, s[68:69]
	s_cbranch_execz .LBB95_17
; %bb.16:                               ;   in Loop: Header=BB95_7 Depth=2
	global_load_dwordx2 v[6:7], v[4:5], off
	s_waitcnt vmcnt(0)
	v_xor_b32_e32 v7, 0x80000000, v7
	ds_write_b64 v59, v[6:7] offset:128
.LBB95_17:                              ;   in Loop: Header=BB95_7 Depth=2
	s_andn2_saveexec_b64 s[4:5], s[4:5]
	s_cbranch_execz .LBB95_23
; %bb.18:                               ;   in Loop: Header=BB95_7 Depth=2
	s_xor_b64 s[64:65], s[64:65], -1
	s_and_saveexec_b64 s[68:69], s[64:65]
	s_xor_b64 s[64:65], exec, s[68:69]
; %bb.19:                               ;   in Loop: Header=BB95_7 Depth=2
	ds_write_b64 v59, v[28:29] offset:128
; %bb.20:                               ;   in Loop: Header=BB95_7 Depth=2
	s_andn2_saveexec_b64 s[64:65], s[64:65]
; %bb.21:                               ;   in Loop: Header=BB95_7 Depth=2
	ds_write_b64 v59, v[30:31] offset:128
; %bb.22:                               ;   in Loop: Header=BB95_7 Depth=2
	s_or_b64 exec, exec, s[64:65]
.LBB95_23:                              ;   in Loop: Header=BB95_7 Depth=2
	s_or_b64 exec, exec, s[4:5]
	v_cmp_eq_u64_e64 s[4:5], s[46:47], v[48:49]
	s_and_b64 s[64:65], s[30:31], s[4:5]
	v_cmp_lt_i64_e64 s[4:5], v[2:3], v[46:47]
	s_or_b64 s[4:5], s[8:9], s[4:5]
	s_or_b64 s[4:5], s[4:5], s[64:65]
	s_nor_b64 s[4:5], s[12:13], s[4:5]
	s_and_saveexec_b64 s[12:13], s[4:5]
	s_xor_b64 s[4:5], exec, s[12:13]
	s_cbranch_execz .LBB95_25
; %bb.24:                               ;   in Loop: Header=BB95_7 Depth=2
	global_load_dwordx2 v[0:1], v[0:1], off offset:128
	s_waitcnt vmcnt(0)
	v_xor_b32_e32 v1, 0x80000000, v1
	ds_write_b64 v59, v[0:1] offset:4096
.LBB95_25:                              ;   in Loop: Header=BB95_7 Depth=2
	s_andn2_saveexec_b64 s[4:5], s[4:5]
	s_cbranch_execz .LBB95_31
; %bb.26:                               ;   in Loop: Header=BB95_7 Depth=2
	s_xor_b64 s[12:13], s[64:65], -1
	s_and_saveexec_b64 s[64:65], s[12:13]
	s_xor_b64 s[12:13], exec, s[64:65]
; %bb.27:                               ;   in Loop: Header=BB95_7 Depth=2
	ds_write_b64 v59, v[28:29] offset:4096
; %bb.28:                               ;   in Loop: Header=BB95_7 Depth=2
	s_andn2_saveexec_b64 s[12:13], s[12:13]
; %bb.29:                               ;   in Loop: Header=BB95_7 Depth=2
	ds_write_b64 v59, v[30:31] offset:4096
; %bb.30:                               ;   in Loop: Header=BB95_7 Depth=2
	s_or_b64 exec, exec, s[12:13]
.LBB95_31:                              ;   in Loop: Header=BB95_7 Depth=2
	s_or_b64 exec, exec, s[4:5]
	s_or_b64 s[4:5], s[8:9], s[10:11]
	s_or_b64 s[4:5], s[14:15], s[4:5]
	s_nor_b64 s[4:5], s[4:5], s[62:63]
	s_and_saveexec_b64 s[10:11], s[4:5]
	s_xor_b64 s[4:5], exec, s[10:11]
	s_cbranch_execz .LBB95_33
; %bb.32:                               ;   in Loop: Header=BB95_7 Depth=2
	global_load_dwordx2 v[0:1], v[4:5], off offset:128
	s_waitcnt vmcnt(0)
	v_xor_b32_e32 v1, 0x80000000, v1
	ds_write_b64 v59, v[0:1] offset:4224
.LBB95_33:                              ;   in Loop: Header=BB95_7 Depth=2
	s_andn2_saveexec_b64 s[4:5], s[4:5]
	s_cbranch_execz .LBB95_39
; %bb.34:                               ;   in Loop: Header=BB95_7 Depth=2
	s_and_saveexec_b64 s[10:11], s[50:51]
	s_xor_b64 s[10:11], exec, s[10:11]
; %bb.35:                               ;   in Loop: Header=BB95_7 Depth=2
	ds_write_b64 v59, v[28:29] offset:4224
; %bb.36:                               ;   in Loop: Header=BB95_7 Depth=2
	s_andn2_saveexec_b64 s[10:11], s[10:11]
; %bb.37:                               ;   in Loop: Header=BB95_7 Depth=2
	ds_write_b64 v59, v[30:31] offset:4224
; %bb.38:                               ;   in Loop: Header=BB95_7 Depth=2
	s_or_b64 exec, exec, s[10:11]
.LBB95_39:                              ;   in Loop: Header=BB95_7 Depth=2
	s_or_b64 exec, exec, s[4:5]
	v_lshl_add_u64 v[0:1], v[22:23], 0, s[46:47]
	v_cmp_le_i64_e64 s[10:11], s[34:35], v[0:1]
	v_lshl_add_u64 v[2:3], v[42:43], 0, v[52:53]
	s_nor_b64 s[12:13], s[10:11], vcc
	v_mov_b64_e32 v[4:5], 0
	s_and_saveexec_b64 s[4:5], s[12:13]
	s_cbranch_execz .LBB95_41
; %bb.40:                               ;   in Loop: Header=BB95_7 Depth=2
	global_load_dwordx2 v[4:5], v[2:3], off offset:-128
.LBB95_41:                              ;   in Loop: Header=BB95_7 Depth=2
	s_or_b64 exec, exec, s[4:5]
	s_nor_b64 s[4:5], s[10:11], s[0:1]
	s_waitcnt vmcnt(0)
	ds_write_b64 v63, v[4:5]
	s_and_saveexec_b64 s[10:11], s[4:5]
	s_xor_b64 s[4:5], exec, s[10:11]
	s_cbranch_execz .LBB95_43
; %bb.42:                               ;   in Loop: Header=BB95_7 Depth=2
	global_load_dwordx2 v[2:3], v[2:3], off
	s_waitcnt vmcnt(0)
	ds_write_b64 v63, v[2:3] offset:128
.LBB95_43:                              ;   in Loop: Header=BB95_7 Depth=2
	s_andn2_saveexec_b64 s[4:5], s[4:5]
; %bb.44:                               ;   in Loop: Header=BB95_7 Depth=2
	ds_write_b64 v63, v[28:29] offset:128
; %bb.45:                               ;   in Loop: Header=BB95_7 Depth=2
	s_or_b64 exec, exec, s[4:5]
	v_cmp_le_i64_e64 s[10:11], s[56:57], v[0:1]
	v_lshl_add_u64 v[0:1], v[44:45], 0, v[52:53]
	s_nor_b64 s[12:13], s[10:11], vcc
	v_mov_b64_e32 v[2:3], 0
	s_and_saveexec_b64 s[4:5], s[12:13]
	s_cbranch_execz .LBB95_47
; %bb.46:                               ;   in Loop: Header=BB95_7 Depth=2
	global_load_dwordx2 v[2:3], v[0:1], off
.LBB95_47:                              ;   in Loop: Header=BB95_7 Depth=2
	s_or_b64 exec, exec, s[4:5]
	s_nor_b64 s[4:5], s[10:11], s[0:1]
	s_waitcnt vmcnt(0)
	ds_write_b64 v63, v[2:3] offset:4096
	s_and_saveexec_b64 s[10:11], s[4:5]
	s_xor_b64 s[4:5], exec, s[10:11]
	s_cbranch_execz .LBB95_49
; %bb.48:                               ;   in Loop: Header=BB95_7 Depth=2
	global_load_dwordx2 v[0:1], v[0:1], off offset:128
	s_waitcnt vmcnt(0)
	ds_write_b64 v63, v[0:1] offset:4224
.LBB95_49:                              ;   in Loop: Header=BB95_7 Depth=2
	s_andn2_saveexec_b64 s[4:5], s[4:5]
	s_cbranch_execz .LBB95_6
; %bb.50:                               ;   in Loop: Header=BB95_7 Depth=2
	ds_write_b64 v63, v[28:29] offset:4224
	s_branch .LBB95_6
.LBB95_51:                              ;   in Loop: Header=BB95_4 Depth=1
	v_mov_b32_e32 v62, 0
	v_mov_b32_e32 v64, 0
	;; [unrolled: 1-line block ×8, first 2 shown]
.LBB95_52:                              ;   in Loop: Header=BB95_4 Depth=1
	v_mul_lo_u32 v2, s21, v32
	v_mul_lo_u32 v3, s20, v33
	v_mad_u64_u32 v[0:1], s[4:5], s20, v32, 0
	v_cmp_gt_i32_e64 s[6:7], s26, v32
	v_add3_u32 v1, v1, v3, v2
	v_lshl_add_u64 v[0:1], v[0:1], 3, s[22:23]
	s_and_b64 s[8:9], s[16:17], s[6:7]
	s_and_saveexec_b64 s[4:5], s[8:9]
	s_cbranch_execz .LBB95_54
; %bb.53:                               ;   in Loop: Header=BB95_4 Depth=1
	v_lshl_add_u64 v[2:3], v[16:17], 3, v[0:1]
	global_load_dwordx2 v[4:5], v[2:3], off
	v_pk_mul_f32 v[6:7], v[64:65], s[24:25] op_sel_hi:[0,1]
	v_pk_fma_f32 v[8:9], v[62:63], s[28:29], v[6:7] neg_lo:[0,0,1] neg_hi:[0,0,1]
	v_pk_fma_f32 v[6:7], v[62:63], s[28:29], v[6:7] op_sel_hi:[0,1,1]
	v_mov_b32_e32 v9, v7
	s_waitcnt vmcnt(0)
	v_pk_add_f32 v[4:5], v[4:5], v[8:9]
	global_store_dwordx2 v[2:3], v[4:5], off
.LBB95_54:                              ;   in Loop: Header=BB95_4 Depth=1
	s_or_b64 exec, exec, s[4:5]
	s_and_b64 s[6:7], s[18:19], s[6:7]
	s_and_saveexec_b64 s[4:5], s[6:7]
	s_cbranch_execz .LBB95_56
; %bb.55:                               ;   in Loop: Header=BB95_4 Depth=1
	v_lshl_add_u64 v[0:1], v[18:19], 3, v[0:1]
	global_load_dwordx2 v[2:3], v[0:1], off
	v_pk_mul_f32 v[4:5], v[60:61], s[24:25] op_sel_hi:[0,1]
	v_pk_fma_f32 v[6:7], v[58:59], s[28:29], v[4:5] neg_lo:[0,0,1] neg_hi:[0,0,1]
	v_pk_fma_f32 v[4:5], v[58:59], s[28:29], v[4:5] op_sel_hi:[0,1,1]
	v_mov_b32_e32 v7, v5
	s_waitcnt vmcnt(0)
	v_pk_add_f32 v[2:3], v[2:3], v[6:7]
	global_store_dwordx2 v[0:1], v[2:3], off
.LBB95_56:                              ;   in Loop: Header=BB95_4 Depth=1
	s_or_b64 exec, exec, s[4:5]
	v_add_u32_e32 v0, 16, v32
	v_ashrrev_i32_e32 v1, 31, v0
	v_cmp_gt_i32_e64 s[6:7], s26, v0
	v_mul_lo_u32 v2, s20, v1
	v_mul_lo_u32 v3, s21, v0
	v_mad_u64_u32 v[0:1], s[4:5], s20, v0, 0
	v_add3_u32 v1, v1, v2, v3
	v_lshl_add_u64 v[0:1], v[0:1], 3, s[22:23]
	s_and_b64 s[8:9], s[16:17], s[6:7]
	s_and_saveexec_b64 s[4:5], s[8:9]
	s_cbranch_execz .LBB95_58
; %bb.57:                               ;   in Loop: Header=BB95_4 Depth=1
	v_lshl_add_u64 v[2:3], v[16:17], 3, v[0:1]
	global_load_dwordx2 v[4:5], v[2:3], off
	v_pk_mul_f32 v[6:7], v[56:57], s[24:25] op_sel_hi:[0,1]
	v_pk_fma_f32 v[8:9], v[54:55], s[28:29], v[6:7] neg_lo:[0,0,1] neg_hi:[0,0,1]
	v_pk_fma_f32 v[6:7], v[54:55], s[28:29], v[6:7] op_sel_hi:[0,1,1]
	v_mov_b32_e32 v9, v7
	s_waitcnt vmcnt(0)
	v_pk_add_f32 v[4:5], v[4:5], v[8:9]
	global_store_dwordx2 v[2:3], v[4:5], off
.LBB95_58:                              ;   in Loop: Header=BB95_4 Depth=1
	s_or_b64 exec, exec, s[4:5]
	s_and_b64 s[6:7], s[18:19], s[6:7]
	s_and_saveexec_b64 s[4:5], s[6:7]
	s_cbranch_execz .LBB95_3
; %bb.59:                               ;   in Loop: Header=BB95_4 Depth=1
	v_lshl_add_u64 v[0:1], v[18:19], 3, v[0:1]
	global_load_dwordx2 v[2:3], v[0:1], off
	v_pk_mul_f32 v[4:5], v[12:13], s[24:25] op_sel_hi:[0,1]
	v_pk_fma_f32 v[6:7], v[14:15], s[28:29], v[4:5] neg_lo:[0,0,1] neg_hi:[0,0,1]
	v_pk_fma_f32 v[4:5], v[14:15], s[28:29], v[4:5] op_sel_hi:[0,1,1]
	v_mov_b32_e32 v7, v5
	s_waitcnt vmcnt(0)
	v_pk_add_f32 v[2:3], v[2:3], v[6:7]
	global_store_dwordx2 v[0:1], v[2:3], off
	s_branch .LBB95_3
.LBB95_60:
	s_endpgm
	.section	.rodata,"a",@progbits
	.p2align	6, 0x0
	.amdhsa_kernel _ZL30rocblas_trmm_outofplace_kernelI19rocblas_complex_numIfELi32ELi2ELb0ELb1ELb1ELb1ES1_KS1_S1_Ev17rocblas_diagonal_iiT6_lPT7_lllS6_lllPT8_llli
		.amdhsa_group_segment_fixed_size 16384
		.amdhsa_private_segment_fixed_size 0
		.amdhsa_kernarg_size 392
		.amdhsa_user_sgpr_count 2
		.amdhsa_user_sgpr_dispatch_ptr 0
		.amdhsa_user_sgpr_queue_ptr 0
		.amdhsa_user_sgpr_kernarg_segment_ptr 1
		.amdhsa_user_sgpr_dispatch_id 0
		.amdhsa_user_sgpr_kernarg_preload_length 0
		.amdhsa_user_sgpr_kernarg_preload_offset 0
		.amdhsa_user_sgpr_private_segment_size 0
		.amdhsa_uses_dynamic_stack 0
		.amdhsa_enable_private_segment 0
		.amdhsa_system_sgpr_workgroup_id_x 1
		.amdhsa_system_sgpr_workgroup_id_y 1
		.amdhsa_system_sgpr_workgroup_id_z 1
		.amdhsa_system_sgpr_workgroup_info 0
		.amdhsa_system_vgpr_workitem_id 1
		.amdhsa_next_free_vgpr 80
		.amdhsa_next_free_sgpr 70
		.amdhsa_accum_offset 80
		.amdhsa_reserve_vcc 1
		.amdhsa_float_round_mode_32 0
		.amdhsa_float_round_mode_16_64 0
		.amdhsa_float_denorm_mode_32 3
		.amdhsa_float_denorm_mode_16_64 3
		.amdhsa_dx10_clamp 1
		.amdhsa_ieee_mode 1
		.amdhsa_fp16_overflow 0
		.amdhsa_tg_split 0
		.amdhsa_exception_fp_ieee_invalid_op 0
		.amdhsa_exception_fp_denorm_src 0
		.amdhsa_exception_fp_ieee_div_zero 0
		.amdhsa_exception_fp_ieee_overflow 0
		.amdhsa_exception_fp_ieee_underflow 0
		.amdhsa_exception_fp_ieee_inexact 0
		.amdhsa_exception_int_div_zero 0
	.end_amdhsa_kernel
	.section	.text._ZL30rocblas_trmm_outofplace_kernelI19rocblas_complex_numIfELi32ELi2ELb0ELb1ELb1ELb1ES1_KS1_S1_Ev17rocblas_diagonal_iiT6_lPT7_lllS6_lllPT8_llli,"axG",@progbits,_ZL30rocblas_trmm_outofplace_kernelI19rocblas_complex_numIfELi32ELi2ELb0ELb1ELb1ELb1ES1_KS1_S1_Ev17rocblas_diagonal_iiT6_lPT7_lllS6_lllPT8_llli,comdat
.Lfunc_end95:
	.size	_ZL30rocblas_trmm_outofplace_kernelI19rocblas_complex_numIfELi32ELi2ELb0ELb1ELb1ELb1ES1_KS1_S1_Ev17rocblas_diagonal_iiT6_lPT7_lllS6_lllPT8_llli, .Lfunc_end95-_ZL30rocblas_trmm_outofplace_kernelI19rocblas_complex_numIfELi32ELi2ELb0ELb1ELb1ELb1ES1_KS1_S1_Ev17rocblas_diagonal_iiT6_lPT7_lllS6_lllPT8_llli
                                        ; -- End function
	.set _ZL30rocblas_trmm_outofplace_kernelI19rocblas_complex_numIfELi32ELi2ELb0ELb1ELb1ELb1ES1_KS1_S1_Ev17rocblas_diagonal_iiT6_lPT7_lllS6_lllPT8_llli.num_vgpr, 80
	.set _ZL30rocblas_trmm_outofplace_kernelI19rocblas_complex_numIfELi32ELi2ELb0ELb1ELb1ELb1ES1_KS1_S1_Ev17rocblas_diagonal_iiT6_lPT7_lllS6_lllPT8_llli.num_agpr, 0
	.set _ZL30rocblas_trmm_outofplace_kernelI19rocblas_complex_numIfELi32ELi2ELb0ELb1ELb1ELb1ES1_KS1_S1_Ev17rocblas_diagonal_iiT6_lPT7_lllS6_lllPT8_llli.numbered_sgpr, 70
	.set _ZL30rocblas_trmm_outofplace_kernelI19rocblas_complex_numIfELi32ELi2ELb0ELb1ELb1ELb1ES1_KS1_S1_Ev17rocblas_diagonal_iiT6_lPT7_lllS6_lllPT8_llli.num_named_barrier, 0
	.set _ZL30rocblas_trmm_outofplace_kernelI19rocblas_complex_numIfELi32ELi2ELb0ELb1ELb1ELb1ES1_KS1_S1_Ev17rocblas_diagonal_iiT6_lPT7_lllS6_lllPT8_llli.private_seg_size, 0
	.set _ZL30rocblas_trmm_outofplace_kernelI19rocblas_complex_numIfELi32ELi2ELb0ELb1ELb1ELb1ES1_KS1_S1_Ev17rocblas_diagonal_iiT6_lPT7_lllS6_lllPT8_llli.uses_vcc, 1
	.set _ZL30rocblas_trmm_outofplace_kernelI19rocblas_complex_numIfELi32ELi2ELb0ELb1ELb1ELb1ES1_KS1_S1_Ev17rocblas_diagonal_iiT6_lPT7_lllS6_lllPT8_llli.uses_flat_scratch, 0
	.set _ZL30rocblas_trmm_outofplace_kernelI19rocblas_complex_numIfELi32ELi2ELb0ELb1ELb1ELb1ES1_KS1_S1_Ev17rocblas_diagonal_iiT6_lPT7_lllS6_lllPT8_llli.has_dyn_sized_stack, 0
	.set _ZL30rocblas_trmm_outofplace_kernelI19rocblas_complex_numIfELi32ELi2ELb0ELb1ELb1ELb1ES1_KS1_S1_Ev17rocblas_diagonal_iiT6_lPT7_lllS6_lllPT8_llli.has_recursion, 0
	.set _ZL30rocblas_trmm_outofplace_kernelI19rocblas_complex_numIfELi32ELi2ELb0ELb1ELb1ELb1ES1_KS1_S1_Ev17rocblas_diagonal_iiT6_lPT7_lllS6_lllPT8_llli.has_indirect_call, 0
	.section	.AMDGPU.csdata,"",@progbits
; Kernel info:
; codeLenInByte = 6320
; TotalNumSgprs: 76
; NumVgprs: 80
; NumAgprs: 0
; TotalNumVgprs: 80
; ScratchSize: 0
; MemoryBound: 0
; FloatMode: 240
; IeeeMode: 1
; LDSByteSize: 16384 bytes/workgroup (compile time only)
; SGPRBlocks: 9
; VGPRBlocks: 9
; NumSGPRsForWavesPerEU: 76
; NumVGPRsForWavesPerEU: 80
; AccumOffset: 80
; Occupancy: 6
; WaveLimiterHint : 0
; COMPUTE_PGM_RSRC2:SCRATCH_EN: 0
; COMPUTE_PGM_RSRC2:USER_SGPR: 2
; COMPUTE_PGM_RSRC2:TRAP_HANDLER: 0
; COMPUTE_PGM_RSRC2:TGID_X_EN: 1
; COMPUTE_PGM_RSRC2:TGID_Y_EN: 1
; COMPUTE_PGM_RSRC2:TGID_Z_EN: 1
; COMPUTE_PGM_RSRC2:TIDIG_COMP_CNT: 1
; COMPUTE_PGM_RSRC3_GFX90A:ACCUM_OFFSET: 19
; COMPUTE_PGM_RSRC3_GFX90A:TG_SPLIT: 0
	.section	.text._ZL23rocblas_trmm_lNx_kernelILi16E19rocblas_complex_numIfEPKS1_S2_S1_Ev13rocblas_fill_17rocblas_diagonal_iiT1_lPT2_llS8_llPT3_lli,"axG",@progbits,_ZL23rocblas_trmm_lNx_kernelILi16E19rocblas_complex_numIfEPKS1_S2_S1_Ev13rocblas_fill_17rocblas_diagonal_iiT1_lPT2_llS8_llPT3_lli,comdat
	.globl	_ZL23rocblas_trmm_lNx_kernelILi16E19rocblas_complex_numIfEPKS1_S2_S1_Ev13rocblas_fill_17rocblas_diagonal_iiT1_lPT2_llS8_llPT3_lli ; -- Begin function _ZL23rocblas_trmm_lNx_kernelILi16E19rocblas_complex_numIfEPKS1_S2_S1_Ev13rocblas_fill_17rocblas_diagonal_iiT1_lPT2_llS8_llPT3_lli
	.p2align	8
	.type	_ZL23rocblas_trmm_lNx_kernelILi16E19rocblas_complex_numIfEPKS1_S2_S1_Ev13rocblas_fill_17rocblas_diagonal_iiT1_lPT2_llS8_llPT3_lli,@function
_ZL23rocblas_trmm_lNx_kernelILi16E19rocblas_complex_numIfEPKS1_S2_S1_Ev13rocblas_fill_17rocblas_diagonal_iiT1_lPT2_llS8_llPT3_lli: ; @_ZL23rocblas_trmm_lNx_kernelILi16E19rocblas_complex_numIfEPKS1_S2_S1_Ev13rocblas_fill_17rocblas_diagonal_iiT1_lPT2_llS8_llPT3_lli
; %bb.0:
	s_load_dwordx16 s[4:19], s[0:1], 0x10
	s_waitcnt lgkmcnt(0)
	s_mul_i32 s7, s7, s3
	s_mul_hi_u32 s20, s6, s3
	s_add_i32 s7, s20, s7
	s_mul_i32 s6, s6, s3
	s_lshl_b64 s[6:7], s[6:7], 3
	s_add_u32 s4, s4, s6
	s_addc_u32 s5, s5, s7
	s_load_dwordx2 s[24:25], s[4:5], 0x0
	s_waitcnt lgkmcnt(0)
	v_cmp_neq_f32_e64 s[4:5], s24, 0
	v_cmp_neq_f32_e64 s[6:7], s25, 0
	s_or_b64 s[4:5], s[4:5], s[6:7]
	s_andn2_b64 vcc, exec, s[4:5]
	s_mov_b32 s4, 0
	s_cbranch_vccnz .LBB96_15
; %bb.1:
	s_load_dwordx4 s[20:23], s[0:1], 0x0
	v_bfe_u32 v2, v0, 10, 10
	v_and_b32_e32 v5, 0x3ff, v0
	v_lshlrev_b32_e32 v3, 4, v2
	s_mov_b32 s5, s4
	v_add_lshl_u32 v4, v3, v5, 3
	v_mov_b64_e32 v[0:1], s[4:5]
	s_waitcnt lgkmcnt(0)
	v_cmp_gt_i32_e64 s[4:5], s22, v2
	v_cmp_gt_i32_e32 vcc, s22, v5
	ds_write2st64_b64 v4, v[0:1], v[0:1] offset1:4
	s_and_b64 s[6:7], s[4:5], vcc
	v_lshlrev_b32_e32 v0, 3, v5
	s_and_saveexec_b64 s[4:5], s[6:7]
	s_cbranch_execz .LBB96_3
; %bb.2:
	s_mul_i32 s6, s13, s3
	s_mul_hi_u32 s7, s12, s3
	s_add_i32 s7, s7, s6
	s_mul_i32 s6, s12, s3
	s_lshl_b64 s[6:7], s[6:7], 3
	s_add_u32 s6, s8, s6
	s_addc_u32 s7, s9, s7
	v_mad_u64_u32 v[6:7], s[8:9], s10, v2, 0
	v_mov_b32_e32 v8, v7
	v_mad_u64_u32 v[8:9], s[8:9], s11, v2, v[8:9]
	v_mov_b32_e32 v7, v8
	v_lshl_add_u64 v[6:7], v[6:7], 3, s[6:7]
	v_mov_b32_e32 v1, 0
	v_lshl_add_u64 v[6:7], v[6:7], 0, v[0:1]
	global_load_dwordx2 v[6:7], v[6:7], off
	s_waitcnt vmcnt(0)
	ds_write_b64 v4, v[6:7]
.LBB96_3:
	s_or_b64 exec, exec, s[4:5]
	s_add_i32 s4, s23, -1
	s_ashr_i32 s5, s4, 31
	s_lshr_b32 s5, s5, 28
	s_add_i32 s4, s4, s5
	s_ashr_i32 s5, s4, 4
	s_and_b32 s4, s4, -16
	s_sub_i32 s4, s23, s4
	s_cmp_ge_i32 s2, s5
	s_cselect_b32 s4, s4, 16
	s_lshl_b32 s2, s2, 4
	v_cmp_gt_i32_e64 s[4:5], s4, v2
	s_ashr_i32 s10, s2, 31
	s_and_b64 s[4:5], vcc, s[4:5]
	s_and_saveexec_b64 s[6:7], s[4:5]
	s_cbranch_execz .LBB96_5
; %bb.4:
	s_mul_i32 s8, s19, s3
	s_mul_hi_u32 s9, s18, s3
	s_add_i32 s9, s9, s8
	s_mul_i32 s8, s18, s3
	s_lshl_b64 s[8:9], s[8:9], 3
	s_add_u32 s11, s14, s8
	s_addc_u32 s12, s15, s9
	s_mul_i32 s8, s16, s10
	s_mul_hi_u32 s9, s16, s2
	s_add_i32 s8, s9, s8
	s_mul_i32 s9, s17, s2
	s_add_i32 s9, s8, s9
	s_mul_i32 s8, s16, s2
	s_lshl_b64 s[8:9], s[8:9], 3
	s_add_u32 s8, s11, s8
	s_addc_u32 s9, s12, s9
	v_mad_u64_u32 v[6:7], s[12:13], s16, v2, 0
	v_mov_b32_e32 v8, v7
	v_mad_u64_u32 v[8:9], s[12:13], s17, v2, v[8:9]
	v_mov_b32_e32 v7, v8
	v_lshl_add_u64 v[6:7], v[6:7], 3, s[8:9]
	v_mov_b32_e32 v1, 0
	v_lshl_add_u64 v[6:7], v[6:7], 0, v[0:1]
	global_load_dwordx2 v[6:7], v[6:7], off
	v_add_u32_e32 v1, 0x800, v4
	s_waitcnt vmcnt(0)
	ds_write_b64 v1, v[6:7]
.LBB96_5:
	s_or_b64 exec, exec, s[6:7]
	s_cmpk_eq_i32 s21, 0x84
	s_cselect_b64 s[6:7], -1, 0
	v_cmp_eq_u32_e32 vcc, v2, v5
	s_and_b64 s[8:9], vcc, s[6:7]
	s_and_saveexec_b64 s[6:7], s[8:9]
; %bb.6:
	v_mov_b32_e32 v6, 1.0
	v_mov_b32_e32 v7, 0
	ds_write_b64 v4, v[6:7]
; %bb.7:
	s_or_b64 exec, exec, s[6:7]
	s_cmpk_lg_i32 s20, 0x79
	s_cbranch_scc0 .LBB96_9
; %bb.8:
	v_cmp_lt_u32_e32 vcc, v5, v2
	s_and_b64 s[6:7], vcc, exec
	s_cbranch_execz .LBB96_10
	s_branch .LBB96_11
.LBB96_9:
	s_mov_b64 s[6:7], 0
.LBB96_10:
	v_cmp_gt_u32_e32 vcc, v5, v2
	s_andn2_b64 s[6:7], s[6:7], exec
	s_and_b64 s[8:9], vcc, exec
	s_or_b64 s[6:7], s[6:7], s[8:9]
.LBB96_11:
	s_and_saveexec_b64 s[8:9], s[6:7]
; %bb.12:
	v_mov_b32_e32 v6, 0
	v_mov_b32_e32 v7, v6
	ds_write_b64 v4, v[6:7]
; %bb.13:
	s_or_b64 exec, exec, s[8:9]
	s_waitcnt lgkmcnt(0)
	s_barrier
	s_and_saveexec_b64 s[6:7], s[4:5]
	s_cbranch_execz .LBB96_15
; %bb.14:
	v_lshlrev_b32_e32 v1, 3, v3
	s_load_dwordx2 s[8:9], s[0:1], 0x60
	s_load_dwordx4 s[4:7], s[0:1], 0x50
	ds_read_b128 v[4:7], v1 offset:2048
	ds_read2_b64 v[8:11], v0 offset1:16
	ds_read_b128 v[12:15], v1 offset:2064
	ds_read_b128 v[16:19], v1 offset:2080
	;; [unrolled: 1-line block ×3, first 2 shown]
	ds_read2_b64 v[24:27], v0 offset0:32 offset1:48
	s_waitcnt lgkmcnt(0)
	s_mul_i32 s1, s9, s3
	s_mul_hi_u32 s9, s8, s3
	v_mul_f32_e32 v3, v4, v9
	v_fmac_f32_e32 v3, v5, v8
	v_mul_f32_e32 v28, v6, v11
	v_add_f32_e32 v3, 0, v3
	v_fmac_f32_e32 v28, v7, v10
	v_add_f32_e32 v3, v3, v28
	v_mul_f32_e32 v32, v12, v25
	ds_read2_b64 v[28:31], v0 offset0:64 offset1:80
	v_fmac_f32_e32 v32, v13, v24
	v_add_f32_e32 v3, v3, v32
	v_mul_f32_e32 v32, v14, v27
	v_fmac_f32_e32 v32, v15, v26
	v_add_f32_e32 v3, v3, v32
	ds_read2_b64 v[32:35], v0 offset0:96 offset1:112
	s_waitcnt lgkmcnt(1)
	v_mul_f32_e32 v36, v16, v29
	v_fmac_f32_e32 v36, v17, v28
	v_add_f32_e32 v3, v3, v36
	v_mul_f32_e32 v36, v18, v31
	v_fmac_f32_e32 v36, v19, v30
	v_add_f32_e32 v3, v3, v36
	s_waitcnt lgkmcnt(0)
	v_mul_f32_e32 v36, v20, v33
	v_fmac_f32_e32 v36, v21, v32
	v_add_f32_e32 v3, v3, v36
	ds_read_b128 v[36:39], v1 offset:2112
	ds_read2_b64 v[40:43], v0 offset0:128 offset1:144
	v_mul_f32_e32 v44, v22, v35
	v_fmac_f32_e32 v44, v23, v34
	v_add_f32_e32 v3, v3, v44
	ds_read_b128 v[44:47], v1 offset:2128
	ds_read2_b64 v[48:51], v0 offset0:160 offset1:176
	s_waitcnt lgkmcnt(2)
	v_mul_f32_e32 v52, v36, v41
	v_fmac_f32_e32 v52, v37, v40
	v_add_f32_e32 v3, v3, v52
	v_mul_f32_e32 v52, v38, v43
	v_fmac_f32_e32 v52, v39, v42
	v_add_f32_e32 v3, v3, v52
	s_waitcnt lgkmcnt(0)
	v_mul_f32_e32 v52, v44, v49
	v_fmac_f32_e32 v52, v45, v48
	v_add_f32_e32 v3, v3, v52
	v_mul_f32_e32 v52, v46, v51
	v_fmac_f32_e32 v52, v47, v50
	v_mul_f32_e32 v5, v5, v9
	v_add_f32_e32 v3, v3, v52
	ds_read2_b64 v[52:55], v0 offset0:192 offset1:208
	v_fma_f32 v56, v4, v8, -v5
	v_mul_f32_e32 v4, v7, v11
	v_fma_f32 v57, v6, v10, -v4
	ds_read_b128 v[4:7], v1 offset:2144
	ds_read_b128 v[8:11], v1 offset:2160
	v_mul_f32_e32 v1, v13, v25
	v_fma_f32 v1, v12, v24, -v1
	v_mul_f32_e32 v12, v15, v27
	v_fma_f32 v25, v14, v26, -v12
	ds_read2_b64 v[12:15], v0 offset0:224 offset1:240
	s_waitcnt lgkmcnt(2)
	v_mul_f32_e32 v24, v4, v53
	v_fmac_f32_e32 v24, v5, v52
	v_add_f32_e32 v3, v3, v24
	v_mul_f32_e32 v24, v6, v55
	v_fmac_f32_e32 v24, v7, v54
	v_add_f32_e32 v3, v3, v24
	s_waitcnt lgkmcnt(0)
	v_mul_f32_e32 v24, v8, v13
	v_fmac_f32_e32 v24, v9, v12
	v_add_f32_e32 v3, v3, v24
	v_mul_f32_e32 v24, v10, v15
	v_fmac_f32_e32 v24, v11, v14
	v_add_f32_e32 v24, v3, v24
	v_add_f32_e32 v3, 0, v56
	v_add_f32_e32 v3, v3, v57
	v_add_f32_e32 v1, v3, v1
	v_mul_f32_e32 v3, v17, v29
	v_add_f32_e32 v1, v1, v25
	v_fma_f32 v3, v16, v28, -v3
	v_add_f32_e32 v1, v1, v3
	v_mul_f32_e32 v3, v19, v31
	v_fma_f32 v3, v18, v30, -v3
	v_add_f32_e32 v1, v1, v3
	v_mul_f32_e32 v3, v21, v33
	;; [unrolled: 3-line block ×8, first 2 shown]
	v_fma_f32 v3, v4, v52, -v3
	s_mul_i32 s0, s8, s3
	s_add_i32 s1, s9, s1
	v_add_f32_e32 v1, v1, v3
	v_mul_f32_e32 v3, v7, v55
	s_lshl_b64 s[0:1], s[0:1], 3
	v_fma_f32 v3, v6, v54, -v3
	s_mul_i32 s3, s6, s10
	s_add_u32 s4, s4, s0
	s_mul_hi_u32 s0, s6, s2
	v_add_f32_e32 v1, v1, v3
	v_mul_f32_e32 v3, v9, v13
	s_addc_u32 s5, s5, s1
	s_add_i32 s0, s0, s3
	s_mul_i32 s1, s7, s2
	v_fma_f32 v3, v8, v12, -v3
	s_add_i32 s1, s0, s1
	s_mul_i32 s0, s6, s2
	v_add_f32_e32 v1, v1, v3
	v_mul_f32_e32 v3, v11, v15
	v_mad_u64_u32 v[6:7], s[2:3], s6, v2, 0
	s_lshl_b64 s[0:1], s[0:1], 3
	v_fma_f32 v3, v10, v14, -v3
	v_mov_b32_e32 v8, v7
	s_add_u32 s0, s4, s0
	v_add_f32_e32 v4, v1, v3
	v_mad_u64_u32 v[2:3], s[2:3], s7, v2, v[8:9]
	s_addc_u32 s1, s5, s1
	v_mov_b32_e32 v7, v2
	v_lshl_add_u64 v[2:3], v[6:7], 3, s[0:1]
	v_mov_b32_e32 v1, 0
	v_lshl_add_u64 v[0:1], v[2:3], 0, v[0:1]
	v_pk_mul_f32 v[2:3], s[24:25], v[24:25] op_sel:[1,0] op_sel_hi:[0,0]
	v_pk_fma_f32 v[6:7], s[24:25], v[4:5], v[2:3] neg_lo:[0,0,1] neg_hi:[0,0,1]
	v_pk_fma_f32 v[2:3], s[24:25], v[4:5], v[2:3] op_sel_hi:[1,0,1]
	s_nop 0
	v_mov_b32_e32 v7, v3
	global_store_dwordx2 v[0:1], v[6:7], off
.LBB96_15:
	s_endpgm
	.section	.rodata,"a",@progbits
	.p2align	6, 0x0
	.amdhsa_kernel _ZL23rocblas_trmm_lNx_kernelILi16E19rocblas_complex_numIfEPKS1_S2_S1_Ev13rocblas_fill_17rocblas_diagonal_iiT1_lPT2_llS8_llPT3_lli
		.amdhsa_group_segment_fixed_size 4096
		.amdhsa_private_segment_fixed_size 0
		.amdhsa_kernarg_size 108
		.amdhsa_user_sgpr_count 2
		.amdhsa_user_sgpr_dispatch_ptr 0
		.amdhsa_user_sgpr_queue_ptr 0
		.amdhsa_user_sgpr_kernarg_segment_ptr 1
		.amdhsa_user_sgpr_dispatch_id 0
		.amdhsa_user_sgpr_kernarg_preload_length 0
		.amdhsa_user_sgpr_kernarg_preload_offset 0
		.amdhsa_user_sgpr_private_segment_size 0
		.amdhsa_uses_dynamic_stack 0
		.amdhsa_enable_private_segment 0
		.amdhsa_system_sgpr_workgroup_id_x 1
		.amdhsa_system_sgpr_workgroup_id_y 0
		.amdhsa_system_sgpr_workgroup_id_z 1
		.amdhsa_system_sgpr_workgroup_info 0
		.amdhsa_system_vgpr_workitem_id 1
		.amdhsa_next_free_vgpr 58
		.amdhsa_next_free_sgpr 26
		.amdhsa_accum_offset 60
		.amdhsa_reserve_vcc 1
		.amdhsa_float_round_mode_32 0
		.amdhsa_float_round_mode_16_64 0
		.amdhsa_float_denorm_mode_32 3
		.amdhsa_float_denorm_mode_16_64 3
		.amdhsa_dx10_clamp 1
		.amdhsa_ieee_mode 1
		.amdhsa_fp16_overflow 0
		.amdhsa_tg_split 0
		.amdhsa_exception_fp_ieee_invalid_op 0
		.amdhsa_exception_fp_denorm_src 0
		.amdhsa_exception_fp_ieee_div_zero 0
		.amdhsa_exception_fp_ieee_overflow 0
		.amdhsa_exception_fp_ieee_underflow 0
		.amdhsa_exception_fp_ieee_inexact 0
		.amdhsa_exception_int_div_zero 0
	.end_amdhsa_kernel
	.section	.text._ZL23rocblas_trmm_lNx_kernelILi16E19rocblas_complex_numIfEPKS1_S2_S1_Ev13rocblas_fill_17rocblas_diagonal_iiT1_lPT2_llS8_llPT3_lli,"axG",@progbits,_ZL23rocblas_trmm_lNx_kernelILi16E19rocblas_complex_numIfEPKS1_S2_S1_Ev13rocblas_fill_17rocblas_diagonal_iiT1_lPT2_llS8_llPT3_lli,comdat
.Lfunc_end96:
	.size	_ZL23rocblas_trmm_lNx_kernelILi16E19rocblas_complex_numIfEPKS1_S2_S1_Ev13rocblas_fill_17rocblas_diagonal_iiT1_lPT2_llS8_llPT3_lli, .Lfunc_end96-_ZL23rocblas_trmm_lNx_kernelILi16E19rocblas_complex_numIfEPKS1_S2_S1_Ev13rocblas_fill_17rocblas_diagonal_iiT1_lPT2_llS8_llPT3_lli
                                        ; -- End function
	.set _ZL23rocblas_trmm_lNx_kernelILi16E19rocblas_complex_numIfEPKS1_S2_S1_Ev13rocblas_fill_17rocblas_diagonal_iiT1_lPT2_llS8_llPT3_lli.num_vgpr, 58
	.set _ZL23rocblas_trmm_lNx_kernelILi16E19rocblas_complex_numIfEPKS1_S2_S1_Ev13rocblas_fill_17rocblas_diagonal_iiT1_lPT2_llS8_llPT3_lli.num_agpr, 0
	.set _ZL23rocblas_trmm_lNx_kernelILi16E19rocblas_complex_numIfEPKS1_S2_S1_Ev13rocblas_fill_17rocblas_diagonal_iiT1_lPT2_llS8_llPT3_lli.numbered_sgpr, 26
	.set _ZL23rocblas_trmm_lNx_kernelILi16E19rocblas_complex_numIfEPKS1_S2_S1_Ev13rocblas_fill_17rocblas_diagonal_iiT1_lPT2_llS8_llPT3_lli.num_named_barrier, 0
	.set _ZL23rocblas_trmm_lNx_kernelILi16E19rocblas_complex_numIfEPKS1_S2_S1_Ev13rocblas_fill_17rocblas_diagonal_iiT1_lPT2_llS8_llPT3_lli.private_seg_size, 0
	.set _ZL23rocblas_trmm_lNx_kernelILi16E19rocblas_complex_numIfEPKS1_S2_S1_Ev13rocblas_fill_17rocblas_diagonal_iiT1_lPT2_llS8_llPT3_lli.uses_vcc, 1
	.set _ZL23rocblas_trmm_lNx_kernelILi16E19rocblas_complex_numIfEPKS1_S2_S1_Ev13rocblas_fill_17rocblas_diagonal_iiT1_lPT2_llS8_llPT3_lli.uses_flat_scratch, 0
	.set _ZL23rocblas_trmm_lNx_kernelILi16E19rocblas_complex_numIfEPKS1_S2_S1_Ev13rocblas_fill_17rocblas_diagonal_iiT1_lPT2_llS8_llPT3_lli.has_dyn_sized_stack, 0
	.set _ZL23rocblas_trmm_lNx_kernelILi16E19rocblas_complex_numIfEPKS1_S2_S1_Ev13rocblas_fill_17rocblas_diagonal_iiT1_lPT2_llS8_llPT3_lli.has_recursion, 0
	.set _ZL23rocblas_trmm_lNx_kernelILi16E19rocblas_complex_numIfEPKS1_S2_S1_Ev13rocblas_fill_17rocblas_diagonal_iiT1_lPT2_llS8_llPT3_lli.has_indirect_call, 0
	.section	.AMDGPU.csdata,"",@progbits
; Kernel info:
; codeLenInByte = 1368
; TotalNumSgprs: 32
; NumVgprs: 58
; NumAgprs: 0
; TotalNumVgprs: 58
; ScratchSize: 0
; MemoryBound: 0
; FloatMode: 240
; IeeeMode: 1
; LDSByteSize: 4096 bytes/workgroup (compile time only)
; SGPRBlocks: 3
; VGPRBlocks: 7
; NumSGPRsForWavesPerEU: 32
; NumVGPRsForWavesPerEU: 58
; AccumOffset: 60
; Occupancy: 8
; WaveLimiterHint : 0
; COMPUTE_PGM_RSRC2:SCRATCH_EN: 0
; COMPUTE_PGM_RSRC2:USER_SGPR: 2
; COMPUTE_PGM_RSRC2:TRAP_HANDLER: 0
; COMPUTE_PGM_RSRC2:TGID_X_EN: 1
; COMPUTE_PGM_RSRC2:TGID_Y_EN: 0
; COMPUTE_PGM_RSRC2:TGID_Z_EN: 1
; COMPUTE_PGM_RSRC2:TIDIG_COMP_CNT: 1
; COMPUTE_PGM_RSRC3_GFX90A:ACCUM_OFFSET: 14
; COMPUTE_PGM_RSRC3_GFX90A:TG_SPLIT: 0
	.section	.text._ZL23rocblas_trmm_lNx_kernelILi16E19rocblas_complex_numIfES1_KS1_S1_Ev13rocblas_fill_17rocblas_diagonal_iiT1_lPT2_llS7_llPT3_lli,"axG",@progbits,_ZL23rocblas_trmm_lNx_kernelILi16E19rocblas_complex_numIfES1_KS1_S1_Ev13rocblas_fill_17rocblas_diagonal_iiT1_lPT2_llS7_llPT3_lli,comdat
	.globl	_ZL23rocblas_trmm_lNx_kernelILi16E19rocblas_complex_numIfES1_KS1_S1_Ev13rocblas_fill_17rocblas_diagonal_iiT1_lPT2_llS7_llPT3_lli ; -- Begin function _ZL23rocblas_trmm_lNx_kernelILi16E19rocblas_complex_numIfES1_KS1_S1_Ev13rocblas_fill_17rocblas_diagonal_iiT1_lPT2_llS7_llPT3_lli
	.p2align	8
	.type	_ZL23rocblas_trmm_lNx_kernelILi16E19rocblas_complex_numIfES1_KS1_S1_Ev13rocblas_fill_17rocblas_diagonal_iiT1_lPT2_llS7_llPT3_lli,@function
_ZL23rocblas_trmm_lNx_kernelILi16E19rocblas_complex_numIfES1_KS1_S1_Ev13rocblas_fill_17rocblas_diagonal_iiT1_lPT2_llS7_llPT3_lli: ; @_ZL23rocblas_trmm_lNx_kernelILi16E19rocblas_complex_numIfES1_KS1_S1_Ev13rocblas_fill_17rocblas_diagonal_iiT1_lPT2_llS7_llPT3_lli
; %bb.0:
	s_load_dwordx2 s[6:7], s[0:1], 0x10
	s_waitcnt lgkmcnt(0)
	v_cmp_neq_f32_e64 s[4:5], s6, 0
	v_cmp_neq_f32_e64 s[8:9], s7, 0
	s_or_b64 s[4:5], s[4:5], s[8:9]
	s_andn2_b64 vcc, exec, s[4:5]
	s_mov_b32 s4, 0
	s_cbranch_vccnz .LBB97_15
; %bb.1:
	s_load_dwordx4 s[24:27], s[0:1], 0x0
	s_load_dwordx16 s[8:23], s[0:1], 0x20
	v_bfe_u32 v2, v0, 10, 10
	v_and_b32_e32 v5, 0x3ff, v0
	v_lshlrev_b32_e32 v3, 4, v2
	s_mov_b32 s5, s4
	v_add_lshl_u32 v4, v3, v5, 3
	v_mov_b64_e32 v[0:1], s[4:5]
	s_waitcnt lgkmcnt(0)
	v_cmp_gt_i32_e64 s[4:5], s26, v2
	v_cmp_gt_i32_e32 vcc, s26, v5
	ds_write2st64_b64 v4, v[0:1], v[0:1] offset1:4
	s_and_b64 s[28:29], s[4:5], vcc
	v_lshlrev_b32_e32 v0, 3, v5
	s_and_saveexec_b64 s[4:5], s[28:29]
	s_cbranch_execz .LBB97_3
; %bb.2:
	s_mul_i32 s13, s13, s3
	s_mul_hi_u32 s26, s12, s3
	s_add_i32 s13, s26, s13
	s_mul_i32 s12, s12, s3
	s_lshl_b64 s[12:13], s[12:13], 3
	s_add_u32 s8, s8, s12
	s_addc_u32 s9, s9, s13
	v_mad_u64_u32 v[6:7], s[12:13], s10, v2, 0
	v_mov_b32_e32 v8, v7
	v_mad_u64_u32 v[8:9], s[10:11], s11, v2, v[8:9]
	v_mov_b32_e32 v7, v8
	v_lshl_add_u64 v[6:7], v[6:7], 3, s[8:9]
	v_mov_b32_e32 v1, 0
	v_lshl_add_u64 v[6:7], v[6:7], 0, v[0:1]
	global_load_dwordx2 v[6:7], v[6:7], off
	s_waitcnt vmcnt(0)
	ds_write_b64 v4, v[6:7]
.LBB97_3:
	s_or_b64 exec, exec, s[4:5]
	s_add_i32 s4, s27, -1
	s_ashr_i32 s5, s4, 31
	s_lshr_b32 s5, s5, 28
	s_add_i32 s4, s4, s5
	s_ashr_i32 s5, s4, 4
	s_and_b32 s4, s4, -16
	s_sub_i32 s4, s27, s4
	s_cmp_ge_i32 s2, s5
	s_cselect_b32 s4, s4, 16
	s_lshl_b32 s2, s2, 4
	v_cmp_gt_i32_e64 s[4:5], s4, v2
	s_ashr_i32 s12, s2, 31
	s_and_b64 s[4:5], vcc, s[4:5]
	s_and_saveexec_b64 s[8:9], s[4:5]
	s_cbranch_execz .LBB97_5
; %bb.4:
	s_mul_i32 s10, s19, s3
	s_mul_hi_u32 s11, s18, s3
	s_add_i32 s11, s11, s10
	s_mul_i32 s10, s18, s3
	s_lshl_b64 s[10:11], s[10:11], 3
	s_add_u32 s13, s14, s10
	s_addc_u32 s14, s15, s11
	s_mul_i32 s10, s16, s12
	s_mul_hi_u32 s11, s16, s2
	s_add_i32 s10, s11, s10
	s_mul_i32 s11, s17, s2
	s_add_i32 s11, s10, s11
	s_mul_i32 s10, s16, s2
	s_lshl_b64 s[10:11], s[10:11], 3
	s_add_u32 s10, s13, s10
	s_addc_u32 s11, s14, s11
	v_mad_u64_u32 v[6:7], s[14:15], s16, v2, 0
	v_mov_b32_e32 v8, v7
	v_mad_u64_u32 v[8:9], s[14:15], s17, v2, v[8:9]
	v_mov_b32_e32 v7, v8
	v_lshl_add_u64 v[6:7], v[6:7], 3, s[10:11]
	v_mov_b32_e32 v1, 0
	v_lshl_add_u64 v[6:7], v[6:7], 0, v[0:1]
	global_load_dwordx2 v[6:7], v[6:7], off
	v_add_u32_e32 v1, 0x800, v4
	s_waitcnt vmcnt(0)
	ds_write_b64 v1, v[6:7]
.LBB97_5:
	s_or_b64 exec, exec, s[8:9]
	s_cmpk_eq_i32 s25, 0x84
	s_cselect_b64 s[8:9], -1, 0
	v_cmp_eq_u32_e32 vcc, v2, v5
	s_and_b64 s[10:11], vcc, s[8:9]
	s_and_saveexec_b64 s[8:9], s[10:11]
; %bb.6:
	v_mov_b32_e32 v6, 1.0
	v_mov_b32_e32 v7, 0
	ds_write_b64 v4, v[6:7]
; %bb.7:
	s_or_b64 exec, exec, s[8:9]
	s_cmpk_lg_i32 s24, 0x79
	s_cbranch_scc0 .LBB97_9
; %bb.8:
	v_cmp_lt_u32_e32 vcc, v5, v2
	s_and_b64 s[8:9], vcc, exec
	s_cbranch_execz .LBB97_10
	s_branch .LBB97_11
.LBB97_9:
	s_mov_b64 s[8:9], 0
.LBB97_10:
	v_cmp_gt_u32_e32 vcc, v5, v2
	s_andn2_b64 s[8:9], s[8:9], exec
	s_and_b64 s[10:11], vcc, exec
	s_or_b64 s[8:9], s[8:9], s[10:11]
.LBB97_11:
	s_and_saveexec_b64 s[10:11], s[8:9]
; %bb.12:
	v_mov_b32_e32 v6, 0
	v_mov_b32_e32 v7, v6
	ds_write_b64 v4, v[6:7]
; %bb.13:
	s_or_b64 exec, exec, s[10:11]
	s_waitcnt lgkmcnt(0)
	s_barrier
	s_and_saveexec_b64 s[8:9], s[4:5]
	s_cbranch_execz .LBB97_15
; %bb.14:
	v_lshlrev_b32_e32 v1, 3, v3
	ds_read_b128 v[4:7], v1 offset:2048
	ds_read2_b64 v[8:11], v0 offset1:16
	ds_read_b128 v[12:15], v1 offset:2064
	ds_read_b128 v[16:19], v1 offset:2080
	;; [unrolled: 1-line block ×3, first 2 shown]
	ds_read2_b64 v[24:27], v0 offset0:32 offset1:48
	s_load_dwordx2 s[0:1], s[0:1], 0x60
	s_mul_i32 s4, s22, s12
	s_waitcnt lgkmcnt(0)
	v_mul_f32_e32 v3, v4, v9
	v_fmac_f32_e32 v3, v5, v8
	v_mul_f32_e32 v28, v6, v11
	v_add_f32_e32 v3, 0, v3
	v_fmac_f32_e32 v28, v7, v10
	v_add_f32_e32 v3, v3, v28
	v_mul_f32_e32 v32, v12, v25
	ds_read2_b64 v[28:31], v0 offset0:64 offset1:80
	v_fmac_f32_e32 v32, v13, v24
	v_add_f32_e32 v3, v3, v32
	v_mul_f32_e32 v32, v14, v27
	v_fmac_f32_e32 v32, v15, v26
	v_add_f32_e32 v3, v3, v32
	ds_read2_b64 v[32:35], v0 offset0:96 offset1:112
	s_waitcnt lgkmcnt(1)
	v_mul_f32_e32 v36, v16, v29
	v_fmac_f32_e32 v36, v17, v28
	v_add_f32_e32 v3, v3, v36
	v_mul_f32_e32 v36, v18, v31
	v_fmac_f32_e32 v36, v19, v30
	v_add_f32_e32 v3, v3, v36
	s_waitcnt lgkmcnt(0)
	v_mul_f32_e32 v36, v20, v33
	v_fmac_f32_e32 v36, v21, v32
	v_add_f32_e32 v3, v3, v36
	ds_read_b128 v[36:39], v1 offset:2112
	ds_read2_b64 v[40:43], v0 offset0:128 offset1:144
	v_mul_f32_e32 v44, v22, v35
	v_fmac_f32_e32 v44, v23, v34
	v_add_f32_e32 v3, v3, v44
	ds_read_b128 v[44:47], v1 offset:2128
	ds_read2_b64 v[48:51], v0 offset0:160 offset1:176
	s_waitcnt lgkmcnt(2)
	v_mul_f32_e32 v52, v36, v41
	v_fmac_f32_e32 v52, v37, v40
	v_add_f32_e32 v3, v3, v52
	v_mul_f32_e32 v52, v38, v43
	v_fmac_f32_e32 v52, v39, v42
	v_add_f32_e32 v3, v3, v52
	s_waitcnt lgkmcnt(0)
	v_mul_f32_e32 v52, v44, v49
	v_fmac_f32_e32 v52, v45, v48
	v_add_f32_e32 v3, v3, v52
	v_mul_f32_e32 v52, v46, v51
	v_fmac_f32_e32 v52, v47, v50
	v_mul_f32_e32 v5, v5, v9
	v_add_f32_e32 v3, v3, v52
	ds_read2_b64 v[52:55], v0 offset0:192 offset1:208
	v_fma_f32 v56, v4, v8, -v5
	v_mul_f32_e32 v4, v7, v11
	v_fma_f32 v57, v6, v10, -v4
	ds_read_b128 v[4:7], v1 offset:2144
	ds_read_b128 v[8:11], v1 offset:2160
	v_mul_f32_e32 v1, v13, v25
	v_fma_f32 v1, v12, v24, -v1
	v_mul_f32_e32 v12, v15, v27
	v_fma_f32 v25, v14, v26, -v12
	ds_read2_b64 v[12:15], v0 offset0:224 offset1:240
	s_waitcnt lgkmcnt(2)
	v_mul_f32_e32 v24, v4, v53
	v_fmac_f32_e32 v24, v5, v52
	v_add_f32_e32 v3, v3, v24
	v_mul_f32_e32 v24, v6, v55
	v_fmac_f32_e32 v24, v7, v54
	v_add_f32_e32 v3, v3, v24
	s_waitcnt lgkmcnt(0)
	v_mul_f32_e32 v24, v8, v13
	v_fmac_f32_e32 v24, v9, v12
	v_add_f32_e32 v3, v3, v24
	v_mul_f32_e32 v24, v10, v15
	v_fmac_f32_e32 v24, v11, v14
	v_add_f32_e32 v24, v3, v24
	v_add_f32_e32 v3, 0, v56
	;; [unrolled: 1-line block ×4, first 2 shown]
	v_mul_f32_e32 v3, v17, v29
	v_add_f32_e32 v1, v1, v25
	v_fma_f32 v3, v16, v28, -v3
	v_add_f32_e32 v1, v1, v3
	v_mul_f32_e32 v3, v19, v31
	v_fma_f32 v3, v18, v30, -v3
	v_add_f32_e32 v1, v1, v3
	v_mul_f32_e32 v3, v21, v33
	;; [unrolled: 3-line block ×7, first 2 shown]
	s_mul_i32 s1, s1, s3
	s_mul_hi_u32 s8, s0, s3
	v_fma_f32 v3, v46, v50, -v3
	s_mul_i32 s0, s0, s3
	s_add_i32 s1, s8, s1
	v_add_f32_e32 v1, v1, v3
	v_mul_f32_e32 v3, v5, v53
	s_lshl_b64 s[0:1], s[0:1], 3
	v_fma_f32 v3, v4, v52, -v3
	s_mul_hi_u32 s5, s22, s2
	s_add_u32 s3, s20, s0
	v_add_f32_e32 v1, v1, v3
	v_mul_f32_e32 v3, v7, v55
	s_addc_u32 s8, s21, s1
	s_add_i32 s0, s5, s4
	s_mul_i32 s1, s23, s2
	v_fma_f32 v3, v6, v54, -v3
	s_add_i32 s1, s0, s1
	s_mul_i32 s0, s22, s2
	v_add_f32_e32 v1, v1, v3
	v_mul_f32_e32 v3, v9, v13
	s_lshl_b64 s[0:1], s[0:1], 3
	v_fma_f32 v3, v8, v12, -v3
	s_add_u32 s0, s3, s0
	v_add_f32_e32 v1, v1, v3
	v_mul_f32_e32 v3, v11, v15
	v_mad_u64_u32 v[6:7], s[2:3], s22, v2, 0
	v_fma_f32 v3, v10, v14, -v3
	v_mov_b32_e32 v8, v7
	v_add_f32_e32 v4, v1, v3
	v_mad_u64_u32 v[2:3], s[2:3], s23, v2, v[8:9]
	s_addc_u32 s1, s8, s1
	v_mov_b32_e32 v7, v2
	v_lshl_add_u64 v[2:3], v[6:7], 3, s[0:1]
	v_mov_b32_e32 v1, 0
	v_lshl_add_u64 v[0:1], v[2:3], 0, v[0:1]
	v_pk_mul_f32 v[2:3], s[6:7], v[24:25] op_sel:[1,0] op_sel_hi:[0,0]
	v_pk_fma_f32 v[6:7], s[6:7], v[4:5], v[2:3] neg_lo:[0,0,1] neg_hi:[0,0,1]
	v_pk_fma_f32 v[2:3], s[6:7], v[4:5], v[2:3] op_sel_hi:[1,0,1]
	s_nop 0
	v_mov_b32_e32 v7, v3
	global_store_dwordx2 v[0:1], v[6:7], off
.LBB97_15:
	s_endpgm
	.section	.rodata,"a",@progbits
	.p2align	6, 0x0
	.amdhsa_kernel _ZL23rocblas_trmm_lNx_kernelILi16E19rocblas_complex_numIfES1_KS1_S1_Ev13rocblas_fill_17rocblas_diagonal_iiT1_lPT2_llS7_llPT3_lli
		.amdhsa_group_segment_fixed_size 4096
		.amdhsa_private_segment_fixed_size 0
		.amdhsa_kernarg_size 108
		.amdhsa_user_sgpr_count 2
		.amdhsa_user_sgpr_dispatch_ptr 0
		.amdhsa_user_sgpr_queue_ptr 0
		.amdhsa_user_sgpr_kernarg_segment_ptr 1
		.amdhsa_user_sgpr_dispatch_id 0
		.amdhsa_user_sgpr_kernarg_preload_length 0
		.amdhsa_user_sgpr_kernarg_preload_offset 0
		.amdhsa_user_sgpr_private_segment_size 0
		.amdhsa_uses_dynamic_stack 0
		.amdhsa_enable_private_segment 0
		.amdhsa_system_sgpr_workgroup_id_x 1
		.amdhsa_system_sgpr_workgroup_id_y 0
		.amdhsa_system_sgpr_workgroup_id_z 1
		.amdhsa_system_sgpr_workgroup_info 0
		.amdhsa_system_vgpr_workitem_id 1
		.amdhsa_next_free_vgpr 58
		.amdhsa_next_free_sgpr 30
		.amdhsa_accum_offset 60
		.amdhsa_reserve_vcc 1
		.amdhsa_float_round_mode_32 0
		.amdhsa_float_round_mode_16_64 0
		.amdhsa_float_denorm_mode_32 3
		.amdhsa_float_denorm_mode_16_64 3
		.amdhsa_dx10_clamp 1
		.amdhsa_ieee_mode 1
		.amdhsa_fp16_overflow 0
		.amdhsa_tg_split 0
		.amdhsa_exception_fp_ieee_invalid_op 0
		.amdhsa_exception_fp_denorm_src 0
		.amdhsa_exception_fp_ieee_div_zero 0
		.amdhsa_exception_fp_ieee_overflow 0
		.amdhsa_exception_fp_ieee_underflow 0
		.amdhsa_exception_fp_ieee_inexact 0
		.amdhsa_exception_int_div_zero 0
	.end_amdhsa_kernel
	.section	.text._ZL23rocblas_trmm_lNx_kernelILi16E19rocblas_complex_numIfES1_KS1_S1_Ev13rocblas_fill_17rocblas_diagonal_iiT1_lPT2_llS7_llPT3_lli,"axG",@progbits,_ZL23rocblas_trmm_lNx_kernelILi16E19rocblas_complex_numIfES1_KS1_S1_Ev13rocblas_fill_17rocblas_diagonal_iiT1_lPT2_llS7_llPT3_lli,comdat
.Lfunc_end97:
	.size	_ZL23rocblas_trmm_lNx_kernelILi16E19rocblas_complex_numIfES1_KS1_S1_Ev13rocblas_fill_17rocblas_diagonal_iiT1_lPT2_llS7_llPT3_lli, .Lfunc_end97-_ZL23rocblas_trmm_lNx_kernelILi16E19rocblas_complex_numIfES1_KS1_S1_Ev13rocblas_fill_17rocblas_diagonal_iiT1_lPT2_llS7_llPT3_lli
                                        ; -- End function
	.set _ZL23rocblas_trmm_lNx_kernelILi16E19rocblas_complex_numIfES1_KS1_S1_Ev13rocblas_fill_17rocblas_diagonal_iiT1_lPT2_llS7_llPT3_lli.num_vgpr, 58
	.set _ZL23rocblas_trmm_lNx_kernelILi16E19rocblas_complex_numIfES1_KS1_S1_Ev13rocblas_fill_17rocblas_diagonal_iiT1_lPT2_llS7_llPT3_lli.num_agpr, 0
	.set _ZL23rocblas_trmm_lNx_kernelILi16E19rocblas_complex_numIfES1_KS1_S1_Ev13rocblas_fill_17rocblas_diagonal_iiT1_lPT2_llS7_llPT3_lli.numbered_sgpr, 30
	.set _ZL23rocblas_trmm_lNx_kernelILi16E19rocblas_complex_numIfES1_KS1_S1_Ev13rocblas_fill_17rocblas_diagonal_iiT1_lPT2_llS7_llPT3_lli.num_named_barrier, 0
	.set _ZL23rocblas_trmm_lNx_kernelILi16E19rocblas_complex_numIfES1_KS1_S1_Ev13rocblas_fill_17rocblas_diagonal_iiT1_lPT2_llS7_llPT3_lli.private_seg_size, 0
	.set _ZL23rocblas_trmm_lNx_kernelILi16E19rocblas_complex_numIfES1_KS1_S1_Ev13rocblas_fill_17rocblas_diagonal_iiT1_lPT2_llS7_llPT3_lli.uses_vcc, 1
	.set _ZL23rocblas_trmm_lNx_kernelILi16E19rocblas_complex_numIfES1_KS1_S1_Ev13rocblas_fill_17rocblas_diagonal_iiT1_lPT2_llS7_llPT3_lli.uses_flat_scratch, 0
	.set _ZL23rocblas_trmm_lNx_kernelILi16E19rocblas_complex_numIfES1_KS1_S1_Ev13rocblas_fill_17rocblas_diagonal_iiT1_lPT2_llS7_llPT3_lli.has_dyn_sized_stack, 0
	.set _ZL23rocblas_trmm_lNx_kernelILi16E19rocblas_complex_numIfES1_KS1_S1_Ev13rocblas_fill_17rocblas_diagonal_iiT1_lPT2_llS7_llPT3_lli.has_recursion, 0
	.set _ZL23rocblas_trmm_lNx_kernelILi16E19rocblas_complex_numIfES1_KS1_S1_Ev13rocblas_fill_17rocblas_diagonal_iiT1_lPT2_llS7_llPT3_lli.has_indirect_call, 0
	.section	.AMDGPU.csdata,"",@progbits
; Kernel info:
; codeLenInByte = 1328
; TotalNumSgprs: 36
; NumVgprs: 58
; NumAgprs: 0
; TotalNumVgprs: 58
; ScratchSize: 0
; MemoryBound: 0
; FloatMode: 240
; IeeeMode: 1
; LDSByteSize: 4096 bytes/workgroup (compile time only)
; SGPRBlocks: 4
; VGPRBlocks: 7
; NumSGPRsForWavesPerEU: 36
; NumVGPRsForWavesPerEU: 58
; AccumOffset: 60
; Occupancy: 8
; WaveLimiterHint : 0
; COMPUTE_PGM_RSRC2:SCRATCH_EN: 0
; COMPUTE_PGM_RSRC2:USER_SGPR: 2
; COMPUTE_PGM_RSRC2:TRAP_HANDLER: 0
; COMPUTE_PGM_RSRC2:TGID_X_EN: 1
; COMPUTE_PGM_RSRC2:TGID_Y_EN: 0
; COMPUTE_PGM_RSRC2:TGID_Z_EN: 1
; COMPUTE_PGM_RSRC2:TIDIG_COMP_CNT: 1
; COMPUTE_PGM_RSRC3_GFX90A:ACCUM_OFFSET: 14
; COMPUTE_PGM_RSRC3_GFX90A:TG_SPLIT: 0
	.section	.text._ZL23rocblas_trmm_lTx_kernelILi16ELb0E19rocblas_complex_numIfEPKS1_S2_S1_Ev13rocblas_fill_17rocblas_diagonal_iiT2_lPT3_llS8_llPT4_lli,"axG",@progbits,_ZL23rocblas_trmm_lTx_kernelILi16ELb0E19rocblas_complex_numIfEPKS1_S2_S1_Ev13rocblas_fill_17rocblas_diagonal_iiT2_lPT3_llS8_llPT4_lli,comdat
	.globl	_ZL23rocblas_trmm_lTx_kernelILi16ELb0E19rocblas_complex_numIfEPKS1_S2_S1_Ev13rocblas_fill_17rocblas_diagonal_iiT2_lPT3_llS8_llPT4_lli ; -- Begin function _ZL23rocblas_trmm_lTx_kernelILi16ELb0E19rocblas_complex_numIfEPKS1_S2_S1_Ev13rocblas_fill_17rocblas_diagonal_iiT2_lPT3_llS8_llPT4_lli
	.p2align	8
	.type	_ZL23rocblas_trmm_lTx_kernelILi16ELb0E19rocblas_complex_numIfEPKS1_S2_S1_Ev13rocblas_fill_17rocblas_diagonal_iiT2_lPT3_llS8_llPT4_lli,@function
_ZL23rocblas_trmm_lTx_kernelILi16ELb0E19rocblas_complex_numIfEPKS1_S2_S1_Ev13rocblas_fill_17rocblas_diagonal_iiT2_lPT3_llS8_llPT4_lli: ; @_ZL23rocblas_trmm_lTx_kernelILi16ELb0E19rocblas_complex_numIfEPKS1_S2_S1_Ev13rocblas_fill_17rocblas_diagonal_iiT2_lPT3_llS8_llPT4_lli
; %bb.0:
	s_load_dwordx16 s[4:19], s[0:1], 0x10
	s_waitcnt lgkmcnt(0)
	s_mul_i32 s7, s7, s3
	s_mul_hi_u32 s20, s6, s3
	s_add_i32 s7, s20, s7
	s_mul_i32 s6, s6, s3
	s_lshl_b64 s[6:7], s[6:7], 3
	s_add_u32 s4, s4, s6
	s_addc_u32 s5, s5, s7
	s_load_dwordx2 s[24:25], s[4:5], 0x0
	s_waitcnt lgkmcnt(0)
	v_cmp_neq_f32_e64 s[4:5], s24, 0
	v_cmp_neq_f32_e64 s[6:7], s25, 0
	s_or_b64 s[4:5], s[4:5], s[6:7]
	s_andn2_b64 vcc, exec, s[4:5]
	s_mov_b32 s4, 0
	s_cbranch_vccnz .LBB98_15
; %bb.1:
	s_load_dwordx4 s[20:23], s[0:1], 0x0
	v_bfe_u32 v2, v0, 10, 10
	v_and_b32_e32 v5, 0x3ff, v0
	v_lshlrev_b32_e32 v3, 4, v2
	s_mov_b32 s5, s4
	v_add_lshl_u32 v4, v3, v5, 3
	v_mov_b64_e32 v[0:1], s[4:5]
	s_waitcnt lgkmcnt(0)
	v_cmp_gt_i32_e64 s[4:5], s22, v2
	v_cmp_gt_i32_e32 vcc, s22, v5
	ds_write2st64_b64 v4, v[0:1], v[0:1] offset1:4
	s_and_b64 s[6:7], s[4:5], vcc
	v_lshlrev_b32_e32 v0, 3, v5
	s_waitcnt lgkmcnt(0)
	s_barrier
	s_and_saveexec_b64 s[4:5], s[6:7]
	s_cbranch_execz .LBB98_3
; %bb.2:
	s_mul_i32 s6, s13, s3
	s_mul_hi_u32 s7, s12, s3
	s_add_i32 s7, s7, s6
	s_mul_i32 s6, s12, s3
	s_lshl_b64 s[6:7], s[6:7], 3
	s_add_u32 s6, s8, s6
	s_addc_u32 s7, s9, s7
	v_mad_u64_u32 v[6:7], s[8:9], s10, v2, 0
	v_mov_b32_e32 v8, v7
	v_mad_u64_u32 v[8:9], s[8:9], s11, v2, v[8:9]
	v_mov_b32_e32 v7, v8
	v_lshl_add_u64 v[6:7], v[6:7], 3, s[6:7]
	v_mov_b32_e32 v1, 0
	v_lshl_add_u64 v[6:7], v[6:7], 0, v[0:1]
	global_load_dwordx2 v[6:7], v[6:7], off
	v_lshlrev_b32_e32 v1, 3, v2
	v_lshl_add_u32 v1, v5, 7, v1
	s_waitcnt vmcnt(0)
	ds_write_b64 v1, v[6:7]
.LBB98_3:
	s_or_b64 exec, exec, s[4:5]
	s_add_i32 s4, s23, -1
	s_ashr_i32 s5, s4, 31
	s_lshr_b32 s5, s5, 28
	s_add_i32 s4, s4, s5
	s_ashr_i32 s5, s4, 4
	s_and_b32 s4, s4, -16
	s_sub_i32 s4, s23, s4
	s_cmp_ge_i32 s2, s5
	s_cselect_b32 s4, s4, 16
	s_lshl_b32 s2, s2, 4
	v_cmp_gt_i32_e64 s[4:5], s4, v2
	s_ashr_i32 s10, s2, 31
	s_and_b64 s[4:5], vcc, s[4:5]
	s_and_saveexec_b64 s[6:7], s[4:5]
	s_cbranch_execz .LBB98_5
; %bb.4:
	s_mul_i32 s8, s19, s3
	s_mul_hi_u32 s9, s18, s3
	s_add_i32 s9, s9, s8
	s_mul_i32 s8, s18, s3
	s_lshl_b64 s[8:9], s[8:9], 3
	s_add_u32 s11, s14, s8
	s_addc_u32 s12, s15, s9
	s_mul_i32 s8, s16, s10
	s_mul_hi_u32 s9, s16, s2
	s_add_i32 s8, s9, s8
	s_mul_i32 s9, s17, s2
	s_add_i32 s9, s8, s9
	s_mul_i32 s8, s16, s2
	s_lshl_b64 s[8:9], s[8:9], 3
	s_add_u32 s8, s11, s8
	s_addc_u32 s9, s12, s9
	v_mad_u64_u32 v[6:7], s[12:13], s16, v2, 0
	v_mov_b32_e32 v8, v7
	v_mad_u64_u32 v[8:9], s[12:13], s17, v2, v[8:9]
	v_mov_b32_e32 v7, v8
	v_lshl_add_u64 v[6:7], v[6:7], 3, s[8:9]
	v_mov_b32_e32 v1, 0
	v_lshl_add_u64 v[6:7], v[6:7], 0, v[0:1]
	global_load_dwordx2 v[6:7], v[6:7], off
	v_add_u32_e32 v1, 0x800, v4
	s_waitcnt vmcnt(0)
	ds_write_b64 v1, v[6:7]
.LBB98_5:
	s_or_b64 exec, exec, s[6:7]
	s_cmpk_eq_i32 s21, 0x84
	s_cselect_b64 s[6:7], -1, 0
	v_cmp_eq_u32_e32 vcc, v2, v5
	s_and_b64 s[8:9], vcc, s[6:7]
	s_and_saveexec_b64 s[6:7], s[8:9]
; %bb.6:
	v_mov_b32_e32 v6, 1.0
	v_mov_b32_e32 v7, 0
	ds_write_b64 v4, v[6:7]
; %bb.7:
	s_or_b64 exec, exec, s[6:7]
	s_cmpk_lg_i32 s20, 0x7a
	s_waitcnt lgkmcnt(0)
	s_barrier
	s_cbranch_scc0 .LBB98_9
; %bb.8:
	v_cmp_lt_u32_e32 vcc, v5, v2
	s_and_b64 s[6:7], vcc, exec
	s_cbranch_execz .LBB98_10
	s_branch .LBB98_11
.LBB98_9:
	s_mov_b64 s[6:7], 0
.LBB98_10:
	v_cmp_gt_u32_e32 vcc, v5, v2
	s_andn2_b64 s[6:7], s[6:7], exec
	s_and_b64 s[8:9], vcc, exec
	s_or_b64 s[6:7], s[6:7], s[8:9]
.LBB98_11:
	s_and_saveexec_b64 s[8:9], s[6:7]
; %bb.12:
	v_mov_b32_e32 v6, 0
	v_mov_b32_e32 v7, v6
	ds_write_b64 v4, v[6:7]
; %bb.13:
	s_or_b64 exec, exec, s[8:9]
	s_waitcnt lgkmcnt(0)
	s_barrier
	s_and_saveexec_b64 s[6:7], s[4:5]
	s_cbranch_execz .LBB98_15
; %bb.14:
	v_lshlrev_b32_e32 v1, 3, v3
	s_load_dwordx2 s[8:9], s[0:1], 0x60
	s_load_dwordx4 s[4:7], s[0:1], 0x50
	ds_read_b128 v[4:7], v1 offset:2048
	ds_read2_b64 v[8:11], v0 offset1:16
	ds_read_b128 v[12:15], v1 offset:2064
	ds_read_b128 v[16:19], v1 offset:2080
	;; [unrolled: 1-line block ×3, first 2 shown]
	ds_read2_b64 v[24:27], v0 offset0:32 offset1:48
	s_waitcnt lgkmcnt(0)
	s_mul_i32 s1, s9, s3
	s_mul_hi_u32 s9, s8, s3
	v_mul_f32_e32 v3, v4, v9
	v_fmac_f32_e32 v3, v5, v8
	v_mul_f32_e32 v28, v6, v11
	v_add_f32_e32 v3, 0, v3
	v_fmac_f32_e32 v28, v7, v10
	v_add_f32_e32 v3, v3, v28
	v_mul_f32_e32 v32, v12, v25
	ds_read2_b64 v[28:31], v0 offset0:64 offset1:80
	v_fmac_f32_e32 v32, v13, v24
	v_add_f32_e32 v3, v3, v32
	v_mul_f32_e32 v32, v14, v27
	v_fmac_f32_e32 v32, v15, v26
	v_add_f32_e32 v3, v3, v32
	ds_read2_b64 v[32:35], v0 offset0:96 offset1:112
	s_waitcnt lgkmcnt(1)
	v_mul_f32_e32 v36, v16, v29
	v_fmac_f32_e32 v36, v17, v28
	v_add_f32_e32 v3, v3, v36
	v_mul_f32_e32 v36, v18, v31
	v_fmac_f32_e32 v36, v19, v30
	v_add_f32_e32 v3, v3, v36
	s_waitcnt lgkmcnt(0)
	v_mul_f32_e32 v36, v20, v33
	v_fmac_f32_e32 v36, v21, v32
	v_add_f32_e32 v3, v3, v36
	ds_read_b128 v[36:39], v1 offset:2112
	ds_read2_b64 v[40:43], v0 offset0:128 offset1:144
	v_mul_f32_e32 v44, v22, v35
	v_fmac_f32_e32 v44, v23, v34
	v_add_f32_e32 v3, v3, v44
	ds_read_b128 v[44:47], v1 offset:2128
	ds_read2_b64 v[48:51], v0 offset0:160 offset1:176
	s_waitcnt lgkmcnt(2)
	v_mul_f32_e32 v52, v36, v41
	v_fmac_f32_e32 v52, v37, v40
	v_add_f32_e32 v3, v3, v52
	v_mul_f32_e32 v52, v38, v43
	v_fmac_f32_e32 v52, v39, v42
	v_add_f32_e32 v3, v3, v52
	s_waitcnt lgkmcnt(0)
	v_mul_f32_e32 v52, v44, v49
	v_fmac_f32_e32 v52, v45, v48
	v_add_f32_e32 v3, v3, v52
	v_mul_f32_e32 v52, v46, v51
	v_fmac_f32_e32 v52, v47, v50
	v_mul_f32_e32 v5, v5, v9
	v_add_f32_e32 v3, v3, v52
	ds_read2_b64 v[52:55], v0 offset0:192 offset1:208
	v_fma_f32 v56, v4, v8, -v5
	v_mul_f32_e32 v4, v7, v11
	v_fma_f32 v57, v6, v10, -v4
	ds_read_b128 v[4:7], v1 offset:2144
	ds_read_b128 v[8:11], v1 offset:2160
	v_mul_f32_e32 v1, v13, v25
	v_fma_f32 v1, v12, v24, -v1
	v_mul_f32_e32 v12, v15, v27
	v_fma_f32 v25, v14, v26, -v12
	ds_read2_b64 v[12:15], v0 offset0:224 offset1:240
	s_waitcnt lgkmcnt(2)
	v_mul_f32_e32 v24, v4, v53
	v_fmac_f32_e32 v24, v5, v52
	v_add_f32_e32 v3, v3, v24
	v_mul_f32_e32 v24, v6, v55
	v_fmac_f32_e32 v24, v7, v54
	v_add_f32_e32 v3, v3, v24
	s_waitcnt lgkmcnt(0)
	v_mul_f32_e32 v24, v8, v13
	v_fmac_f32_e32 v24, v9, v12
	v_add_f32_e32 v3, v3, v24
	v_mul_f32_e32 v24, v10, v15
	v_fmac_f32_e32 v24, v11, v14
	v_add_f32_e32 v24, v3, v24
	v_add_f32_e32 v3, 0, v56
	;; [unrolled: 1-line block ×4, first 2 shown]
	v_mul_f32_e32 v3, v17, v29
	v_add_f32_e32 v1, v1, v25
	v_fma_f32 v3, v16, v28, -v3
	v_add_f32_e32 v1, v1, v3
	v_mul_f32_e32 v3, v19, v31
	v_fma_f32 v3, v18, v30, -v3
	v_add_f32_e32 v1, v1, v3
	v_mul_f32_e32 v3, v21, v33
	;; [unrolled: 3-line block ×8, first 2 shown]
	v_fma_f32 v3, v4, v52, -v3
	s_mul_i32 s0, s8, s3
	s_add_i32 s1, s9, s1
	v_add_f32_e32 v1, v1, v3
	v_mul_f32_e32 v3, v7, v55
	s_lshl_b64 s[0:1], s[0:1], 3
	v_fma_f32 v3, v6, v54, -v3
	s_mul_i32 s3, s6, s10
	s_add_u32 s4, s4, s0
	s_mul_hi_u32 s0, s6, s2
	v_add_f32_e32 v1, v1, v3
	v_mul_f32_e32 v3, v9, v13
	s_addc_u32 s5, s5, s1
	s_add_i32 s0, s0, s3
	s_mul_i32 s1, s7, s2
	v_fma_f32 v3, v8, v12, -v3
	s_add_i32 s1, s0, s1
	s_mul_i32 s0, s6, s2
	v_add_f32_e32 v1, v1, v3
	v_mul_f32_e32 v3, v11, v15
	v_mad_u64_u32 v[6:7], s[2:3], s6, v2, 0
	s_lshl_b64 s[0:1], s[0:1], 3
	v_fma_f32 v3, v10, v14, -v3
	v_mov_b32_e32 v8, v7
	s_add_u32 s0, s4, s0
	v_add_f32_e32 v4, v1, v3
	v_mad_u64_u32 v[2:3], s[2:3], s7, v2, v[8:9]
	s_addc_u32 s1, s5, s1
	v_mov_b32_e32 v7, v2
	v_lshl_add_u64 v[2:3], v[6:7], 3, s[0:1]
	v_mov_b32_e32 v1, 0
	v_lshl_add_u64 v[0:1], v[2:3], 0, v[0:1]
	v_pk_mul_f32 v[2:3], s[24:25], v[24:25] op_sel:[1,0] op_sel_hi:[0,0]
	v_pk_fma_f32 v[6:7], s[24:25], v[4:5], v[2:3] neg_lo:[0,0,1] neg_hi:[0,0,1]
	v_pk_fma_f32 v[2:3], s[24:25], v[4:5], v[2:3] op_sel_hi:[1,0,1]
	s_nop 0
	v_mov_b32_e32 v7, v3
	global_store_dwordx2 v[0:1], v[6:7], off
.LBB98_15:
	s_endpgm
	.section	.rodata,"a",@progbits
	.p2align	6, 0x0
	.amdhsa_kernel _ZL23rocblas_trmm_lTx_kernelILi16ELb0E19rocblas_complex_numIfEPKS1_S2_S1_Ev13rocblas_fill_17rocblas_diagonal_iiT2_lPT3_llS8_llPT4_lli
		.amdhsa_group_segment_fixed_size 4096
		.amdhsa_private_segment_fixed_size 0
		.amdhsa_kernarg_size 108
		.amdhsa_user_sgpr_count 2
		.amdhsa_user_sgpr_dispatch_ptr 0
		.amdhsa_user_sgpr_queue_ptr 0
		.amdhsa_user_sgpr_kernarg_segment_ptr 1
		.amdhsa_user_sgpr_dispatch_id 0
		.amdhsa_user_sgpr_kernarg_preload_length 0
		.amdhsa_user_sgpr_kernarg_preload_offset 0
		.amdhsa_user_sgpr_private_segment_size 0
		.amdhsa_uses_dynamic_stack 0
		.amdhsa_enable_private_segment 0
		.amdhsa_system_sgpr_workgroup_id_x 1
		.amdhsa_system_sgpr_workgroup_id_y 0
		.amdhsa_system_sgpr_workgroup_id_z 1
		.amdhsa_system_sgpr_workgroup_info 0
		.amdhsa_system_vgpr_workitem_id 1
		.amdhsa_next_free_vgpr 58
		.amdhsa_next_free_sgpr 26
		.amdhsa_accum_offset 60
		.amdhsa_reserve_vcc 1
		.amdhsa_float_round_mode_32 0
		.amdhsa_float_round_mode_16_64 0
		.amdhsa_float_denorm_mode_32 3
		.amdhsa_float_denorm_mode_16_64 3
		.amdhsa_dx10_clamp 1
		.amdhsa_ieee_mode 1
		.amdhsa_fp16_overflow 0
		.amdhsa_tg_split 0
		.amdhsa_exception_fp_ieee_invalid_op 0
		.amdhsa_exception_fp_denorm_src 0
		.amdhsa_exception_fp_ieee_div_zero 0
		.amdhsa_exception_fp_ieee_overflow 0
		.amdhsa_exception_fp_ieee_underflow 0
		.amdhsa_exception_fp_ieee_inexact 0
		.amdhsa_exception_int_div_zero 0
	.end_amdhsa_kernel
	.section	.text._ZL23rocblas_trmm_lTx_kernelILi16ELb0E19rocblas_complex_numIfEPKS1_S2_S1_Ev13rocblas_fill_17rocblas_diagonal_iiT2_lPT3_llS8_llPT4_lli,"axG",@progbits,_ZL23rocblas_trmm_lTx_kernelILi16ELb0E19rocblas_complex_numIfEPKS1_S2_S1_Ev13rocblas_fill_17rocblas_diagonal_iiT2_lPT3_llS8_llPT4_lli,comdat
.Lfunc_end98:
	.size	_ZL23rocblas_trmm_lTx_kernelILi16ELb0E19rocblas_complex_numIfEPKS1_S2_S1_Ev13rocblas_fill_17rocblas_diagonal_iiT2_lPT3_llS8_llPT4_lli, .Lfunc_end98-_ZL23rocblas_trmm_lTx_kernelILi16ELb0E19rocblas_complex_numIfEPKS1_S2_S1_Ev13rocblas_fill_17rocblas_diagonal_iiT2_lPT3_llS8_llPT4_lli
                                        ; -- End function
	.set _ZL23rocblas_trmm_lTx_kernelILi16ELb0E19rocblas_complex_numIfEPKS1_S2_S1_Ev13rocblas_fill_17rocblas_diagonal_iiT2_lPT3_llS8_llPT4_lli.num_vgpr, 58
	.set _ZL23rocblas_trmm_lTx_kernelILi16ELb0E19rocblas_complex_numIfEPKS1_S2_S1_Ev13rocblas_fill_17rocblas_diagonal_iiT2_lPT3_llS8_llPT4_lli.num_agpr, 0
	.set _ZL23rocblas_trmm_lTx_kernelILi16ELb0E19rocblas_complex_numIfEPKS1_S2_S1_Ev13rocblas_fill_17rocblas_diagonal_iiT2_lPT3_llS8_llPT4_lli.numbered_sgpr, 26
	.set _ZL23rocblas_trmm_lTx_kernelILi16ELb0E19rocblas_complex_numIfEPKS1_S2_S1_Ev13rocblas_fill_17rocblas_diagonal_iiT2_lPT3_llS8_llPT4_lli.num_named_barrier, 0
	.set _ZL23rocblas_trmm_lTx_kernelILi16ELb0E19rocblas_complex_numIfEPKS1_S2_S1_Ev13rocblas_fill_17rocblas_diagonal_iiT2_lPT3_llS8_llPT4_lli.private_seg_size, 0
	.set _ZL23rocblas_trmm_lTx_kernelILi16ELb0E19rocblas_complex_numIfEPKS1_S2_S1_Ev13rocblas_fill_17rocblas_diagonal_iiT2_lPT3_llS8_llPT4_lli.uses_vcc, 1
	.set _ZL23rocblas_trmm_lTx_kernelILi16ELb0E19rocblas_complex_numIfEPKS1_S2_S1_Ev13rocblas_fill_17rocblas_diagonal_iiT2_lPT3_llS8_llPT4_lli.uses_flat_scratch, 0
	.set _ZL23rocblas_trmm_lTx_kernelILi16ELb0E19rocblas_complex_numIfEPKS1_S2_S1_Ev13rocblas_fill_17rocblas_diagonal_iiT2_lPT3_llS8_llPT4_lli.has_dyn_sized_stack, 0
	.set _ZL23rocblas_trmm_lTx_kernelILi16ELb0E19rocblas_complex_numIfEPKS1_S2_S1_Ev13rocblas_fill_17rocblas_diagonal_iiT2_lPT3_llS8_llPT4_lli.has_recursion, 0
	.set _ZL23rocblas_trmm_lTx_kernelILi16ELb0E19rocblas_complex_numIfEPKS1_S2_S1_Ev13rocblas_fill_17rocblas_diagonal_iiT2_lPT3_llS8_llPT4_lli.has_indirect_call, 0
	.section	.AMDGPU.csdata,"",@progbits
; Kernel info:
; codeLenInByte = 1396
; TotalNumSgprs: 32
; NumVgprs: 58
; NumAgprs: 0
; TotalNumVgprs: 58
; ScratchSize: 0
; MemoryBound: 0
; FloatMode: 240
; IeeeMode: 1
; LDSByteSize: 4096 bytes/workgroup (compile time only)
; SGPRBlocks: 3
; VGPRBlocks: 7
; NumSGPRsForWavesPerEU: 32
; NumVGPRsForWavesPerEU: 58
; AccumOffset: 60
; Occupancy: 8
; WaveLimiterHint : 0
; COMPUTE_PGM_RSRC2:SCRATCH_EN: 0
; COMPUTE_PGM_RSRC2:USER_SGPR: 2
; COMPUTE_PGM_RSRC2:TRAP_HANDLER: 0
; COMPUTE_PGM_RSRC2:TGID_X_EN: 1
; COMPUTE_PGM_RSRC2:TGID_Y_EN: 0
; COMPUTE_PGM_RSRC2:TGID_Z_EN: 1
; COMPUTE_PGM_RSRC2:TIDIG_COMP_CNT: 1
; COMPUTE_PGM_RSRC3_GFX90A:ACCUM_OFFSET: 14
; COMPUTE_PGM_RSRC3_GFX90A:TG_SPLIT: 0
	.section	.text._ZL23rocblas_trmm_lTx_kernelILi16ELb0E19rocblas_complex_numIfES1_KS1_S1_Ev13rocblas_fill_17rocblas_diagonal_iiT2_lPT3_llS7_llPT4_lli,"axG",@progbits,_ZL23rocblas_trmm_lTx_kernelILi16ELb0E19rocblas_complex_numIfES1_KS1_S1_Ev13rocblas_fill_17rocblas_diagonal_iiT2_lPT3_llS7_llPT4_lli,comdat
	.globl	_ZL23rocblas_trmm_lTx_kernelILi16ELb0E19rocblas_complex_numIfES1_KS1_S1_Ev13rocblas_fill_17rocblas_diagonal_iiT2_lPT3_llS7_llPT4_lli ; -- Begin function _ZL23rocblas_trmm_lTx_kernelILi16ELb0E19rocblas_complex_numIfES1_KS1_S1_Ev13rocblas_fill_17rocblas_diagonal_iiT2_lPT3_llS7_llPT4_lli
	.p2align	8
	.type	_ZL23rocblas_trmm_lTx_kernelILi16ELb0E19rocblas_complex_numIfES1_KS1_S1_Ev13rocblas_fill_17rocblas_diagonal_iiT2_lPT3_llS7_llPT4_lli,@function
_ZL23rocblas_trmm_lTx_kernelILi16ELb0E19rocblas_complex_numIfES1_KS1_S1_Ev13rocblas_fill_17rocblas_diagonal_iiT2_lPT3_llS7_llPT4_lli: ; @_ZL23rocblas_trmm_lTx_kernelILi16ELb0E19rocblas_complex_numIfES1_KS1_S1_Ev13rocblas_fill_17rocblas_diagonal_iiT2_lPT3_llS7_llPT4_lli
; %bb.0:
	s_load_dwordx2 s[6:7], s[0:1], 0x10
	s_waitcnt lgkmcnt(0)
	v_cmp_neq_f32_e64 s[4:5], s6, 0
	v_cmp_neq_f32_e64 s[8:9], s7, 0
	s_or_b64 s[4:5], s[4:5], s[8:9]
	s_andn2_b64 vcc, exec, s[4:5]
	s_mov_b32 s4, 0
	s_cbranch_vccnz .LBB99_15
; %bb.1:
	s_load_dwordx4 s[24:27], s[0:1], 0x0
	s_load_dwordx16 s[8:23], s[0:1], 0x20
	v_bfe_u32 v2, v0, 10, 10
	v_and_b32_e32 v5, 0x3ff, v0
	v_lshlrev_b32_e32 v3, 4, v2
	s_mov_b32 s5, s4
	v_add_lshl_u32 v4, v3, v5, 3
	v_mov_b64_e32 v[0:1], s[4:5]
	s_waitcnt lgkmcnt(0)
	v_cmp_gt_i32_e64 s[4:5], s26, v2
	v_cmp_gt_i32_e32 vcc, s26, v5
	ds_write2st64_b64 v4, v[0:1], v[0:1] offset1:4
	s_and_b64 s[28:29], s[4:5], vcc
	v_lshlrev_b32_e32 v0, 3, v5
	s_waitcnt lgkmcnt(0)
	s_barrier
	s_and_saveexec_b64 s[4:5], s[28:29]
	s_cbranch_execz .LBB99_3
; %bb.2:
	s_mul_i32 s13, s13, s3
	s_mul_hi_u32 s26, s12, s3
	s_add_i32 s13, s26, s13
	s_mul_i32 s12, s12, s3
	s_lshl_b64 s[12:13], s[12:13], 3
	s_add_u32 s8, s8, s12
	s_addc_u32 s9, s9, s13
	v_mad_u64_u32 v[6:7], s[12:13], s10, v2, 0
	v_mov_b32_e32 v8, v7
	v_mad_u64_u32 v[8:9], s[10:11], s11, v2, v[8:9]
	v_mov_b32_e32 v7, v8
	v_lshl_add_u64 v[6:7], v[6:7], 3, s[8:9]
	v_mov_b32_e32 v1, 0
	v_lshl_add_u64 v[6:7], v[6:7], 0, v[0:1]
	global_load_dwordx2 v[6:7], v[6:7], off
	v_lshlrev_b32_e32 v1, 3, v2
	v_lshl_add_u32 v1, v5, 7, v1
	s_waitcnt vmcnt(0)
	ds_write_b64 v1, v[6:7]
.LBB99_3:
	s_or_b64 exec, exec, s[4:5]
	s_add_i32 s4, s27, -1
	s_ashr_i32 s5, s4, 31
	s_lshr_b32 s5, s5, 28
	s_add_i32 s4, s4, s5
	s_ashr_i32 s5, s4, 4
	s_and_b32 s4, s4, -16
	s_sub_i32 s4, s27, s4
	s_cmp_ge_i32 s2, s5
	s_cselect_b32 s4, s4, 16
	s_lshl_b32 s2, s2, 4
	v_cmp_gt_i32_e64 s[4:5], s4, v2
	s_ashr_i32 s12, s2, 31
	s_and_b64 s[4:5], vcc, s[4:5]
	s_and_saveexec_b64 s[8:9], s[4:5]
	s_cbranch_execz .LBB99_5
; %bb.4:
	s_mul_i32 s10, s19, s3
	s_mul_hi_u32 s11, s18, s3
	s_add_i32 s11, s11, s10
	s_mul_i32 s10, s18, s3
	s_lshl_b64 s[10:11], s[10:11], 3
	s_add_u32 s13, s14, s10
	s_addc_u32 s14, s15, s11
	s_mul_i32 s10, s16, s12
	s_mul_hi_u32 s11, s16, s2
	s_add_i32 s10, s11, s10
	s_mul_i32 s11, s17, s2
	s_add_i32 s11, s10, s11
	s_mul_i32 s10, s16, s2
	s_lshl_b64 s[10:11], s[10:11], 3
	s_add_u32 s10, s13, s10
	s_addc_u32 s11, s14, s11
	v_mad_u64_u32 v[6:7], s[14:15], s16, v2, 0
	v_mov_b32_e32 v8, v7
	v_mad_u64_u32 v[8:9], s[14:15], s17, v2, v[8:9]
	v_mov_b32_e32 v7, v8
	v_lshl_add_u64 v[6:7], v[6:7], 3, s[10:11]
	v_mov_b32_e32 v1, 0
	v_lshl_add_u64 v[6:7], v[6:7], 0, v[0:1]
	global_load_dwordx2 v[6:7], v[6:7], off
	v_add_u32_e32 v1, 0x800, v4
	s_waitcnt vmcnt(0)
	ds_write_b64 v1, v[6:7]
.LBB99_5:
	s_or_b64 exec, exec, s[8:9]
	s_cmpk_eq_i32 s25, 0x84
	s_cselect_b64 s[8:9], -1, 0
	v_cmp_eq_u32_e32 vcc, v2, v5
	s_and_b64 s[10:11], vcc, s[8:9]
	s_and_saveexec_b64 s[8:9], s[10:11]
; %bb.6:
	v_mov_b32_e32 v6, 1.0
	v_mov_b32_e32 v7, 0
	ds_write_b64 v4, v[6:7]
; %bb.7:
	s_or_b64 exec, exec, s[8:9]
	s_cmpk_lg_i32 s24, 0x7a
	s_waitcnt lgkmcnt(0)
	s_barrier
	s_cbranch_scc0 .LBB99_9
; %bb.8:
	v_cmp_lt_u32_e32 vcc, v5, v2
	s_and_b64 s[8:9], vcc, exec
	s_cbranch_execz .LBB99_10
	s_branch .LBB99_11
.LBB99_9:
	s_mov_b64 s[8:9], 0
.LBB99_10:
	v_cmp_gt_u32_e32 vcc, v5, v2
	s_andn2_b64 s[8:9], s[8:9], exec
	s_and_b64 s[10:11], vcc, exec
	s_or_b64 s[8:9], s[8:9], s[10:11]
.LBB99_11:
	s_and_saveexec_b64 s[10:11], s[8:9]
; %bb.12:
	v_mov_b32_e32 v6, 0
	v_mov_b32_e32 v7, v6
	ds_write_b64 v4, v[6:7]
; %bb.13:
	s_or_b64 exec, exec, s[10:11]
	s_waitcnt lgkmcnt(0)
	s_barrier
	s_and_saveexec_b64 s[8:9], s[4:5]
	s_cbranch_execz .LBB99_15
; %bb.14:
	v_lshlrev_b32_e32 v1, 3, v3
	ds_read_b128 v[4:7], v1 offset:2048
	ds_read2_b64 v[8:11], v0 offset1:16
	ds_read_b128 v[12:15], v1 offset:2064
	ds_read_b128 v[16:19], v1 offset:2080
	;; [unrolled: 1-line block ×3, first 2 shown]
	ds_read2_b64 v[24:27], v0 offset0:32 offset1:48
	s_load_dwordx2 s[0:1], s[0:1], 0x60
	s_mul_i32 s4, s22, s12
	s_waitcnt lgkmcnt(0)
	v_mul_f32_e32 v3, v4, v9
	v_fmac_f32_e32 v3, v5, v8
	v_mul_f32_e32 v28, v6, v11
	v_add_f32_e32 v3, 0, v3
	v_fmac_f32_e32 v28, v7, v10
	v_add_f32_e32 v3, v3, v28
	v_mul_f32_e32 v32, v12, v25
	ds_read2_b64 v[28:31], v0 offset0:64 offset1:80
	v_fmac_f32_e32 v32, v13, v24
	v_add_f32_e32 v3, v3, v32
	v_mul_f32_e32 v32, v14, v27
	v_fmac_f32_e32 v32, v15, v26
	v_add_f32_e32 v3, v3, v32
	ds_read2_b64 v[32:35], v0 offset0:96 offset1:112
	s_waitcnt lgkmcnt(1)
	v_mul_f32_e32 v36, v16, v29
	v_fmac_f32_e32 v36, v17, v28
	v_add_f32_e32 v3, v3, v36
	v_mul_f32_e32 v36, v18, v31
	v_fmac_f32_e32 v36, v19, v30
	v_add_f32_e32 v3, v3, v36
	s_waitcnt lgkmcnt(0)
	v_mul_f32_e32 v36, v20, v33
	v_fmac_f32_e32 v36, v21, v32
	v_add_f32_e32 v3, v3, v36
	ds_read_b128 v[36:39], v1 offset:2112
	ds_read2_b64 v[40:43], v0 offset0:128 offset1:144
	v_mul_f32_e32 v44, v22, v35
	v_fmac_f32_e32 v44, v23, v34
	v_add_f32_e32 v3, v3, v44
	ds_read_b128 v[44:47], v1 offset:2128
	ds_read2_b64 v[48:51], v0 offset0:160 offset1:176
	s_waitcnt lgkmcnt(2)
	v_mul_f32_e32 v52, v36, v41
	v_fmac_f32_e32 v52, v37, v40
	v_add_f32_e32 v3, v3, v52
	v_mul_f32_e32 v52, v38, v43
	v_fmac_f32_e32 v52, v39, v42
	v_add_f32_e32 v3, v3, v52
	s_waitcnt lgkmcnt(0)
	v_mul_f32_e32 v52, v44, v49
	v_fmac_f32_e32 v52, v45, v48
	v_add_f32_e32 v3, v3, v52
	v_mul_f32_e32 v52, v46, v51
	v_fmac_f32_e32 v52, v47, v50
	v_mul_f32_e32 v5, v5, v9
	v_add_f32_e32 v3, v3, v52
	ds_read2_b64 v[52:55], v0 offset0:192 offset1:208
	v_fma_f32 v56, v4, v8, -v5
	v_mul_f32_e32 v4, v7, v11
	v_fma_f32 v57, v6, v10, -v4
	ds_read_b128 v[4:7], v1 offset:2144
	ds_read_b128 v[8:11], v1 offset:2160
	v_mul_f32_e32 v1, v13, v25
	v_fma_f32 v1, v12, v24, -v1
	v_mul_f32_e32 v12, v15, v27
	v_fma_f32 v25, v14, v26, -v12
	ds_read2_b64 v[12:15], v0 offset0:224 offset1:240
	s_waitcnt lgkmcnt(2)
	v_mul_f32_e32 v24, v4, v53
	v_fmac_f32_e32 v24, v5, v52
	v_add_f32_e32 v3, v3, v24
	v_mul_f32_e32 v24, v6, v55
	v_fmac_f32_e32 v24, v7, v54
	v_add_f32_e32 v3, v3, v24
	s_waitcnt lgkmcnt(0)
	v_mul_f32_e32 v24, v8, v13
	v_fmac_f32_e32 v24, v9, v12
	v_add_f32_e32 v3, v3, v24
	v_mul_f32_e32 v24, v10, v15
	v_fmac_f32_e32 v24, v11, v14
	v_add_f32_e32 v24, v3, v24
	v_add_f32_e32 v3, 0, v56
	;; [unrolled: 1-line block ×4, first 2 shown]
	v_mul_f32_e32 v3, v17, v29
	v_add_f32_e32 v1, v1, v25
	v_fma_f32 v3, v16, v28, -v3
	v_add_f32_e32 v1, v1, v3
	v_mul_f32_e32 v3, v19, v31
	v_fma_f32 v3, v18, v30, -v3
	v_add_f32_e32 v1, v1, v3
	v_mul_f32_e32 v3, v21, v33
	;; [unrolled: 3-line block ×7, first 2 shown]
	s_mul_i32 s1, s1, s3
	s_mul_hi_u32 s8, s0, s3
	v_fma_f32 v3, v46, v50, -v3
	s_mul_i32 s0, s0, s3
	s_add_i32 s1, s8, s1
	v_add_f32_e32 v1, v1, v3
	v_mul_f32_e32 v3, v5, v53
	s_lshl_b64 s[0:1], s[0:1], 3
	v_fma_f32 v3, v4, v52, -v3
	s_mul_hi_u32 s5, s22, s2
	s_add_u32 s3, s20, s0
	v_add_f32_e32 v1, v1, v3
	v_mul_f32_e32 v3, v7, v55
	s_addc_u32 s8, s21, s1
	s_add_i32 s0, s5, s4
	s_mul_i32 s1, s23, s2
	v_fma_f32 v3, v6, v54, -v3
	s_add_i32 s1, s0, s1
	s_mul_i32 s0, s22, s2
	v_add_f32_e32 v1, v1, v3
	v_mul_f32_e32 v3, v9, v13
	s_lshl_b64 s[0:1], s[0:1], 3
	v_fma_f32 v3, v8, v12, -v3
	s_add_u32 s0, s3, s0
	v_add_f32_e32 v1, v1, v3
	v_mul_f32_e32 v3, v11, v15
	v_mad_u64_u32 v[6:7], s[2:3], s22, v2, 0
	v_fma_f32 v3, v10, v14, -v3
	v_mov_b32_e32 v8, v7
	v_add_f32_e32 v4, v1, v3
	v_mad_u64_u32 v[2:3], s[2:3], s23, v2, v[8:9]
	s_addc_u32 s1, s8, s1
	v_mov_b32_e32 v7, v2
	v_lshl_add_u64 v[2:3], v[6:7], 3, s[0:1]
	v_mov_b32_e32 v1, 0
	v_lshl_add_u64 v[0:1], v[2:3], 0, v[0:1]
	v_pk_mul_f32 v[2:3], s[6:7], v[24:25] op_sel:[1,0] op_sel_hi:[0,0]
	v_pk_fma_f32 v[6:7], s[6:7], v[4:5], v[2:3] neg_lo:[0,0,1] neg_hi:[0,0,1]
	v_pk_fma_f32 v[2:3], s[6:7], v[4:5], v[2:3] op_sel_hi:[1,0,1]
	s_nop 0
	v_mov_b32_e32 v7, v3
	global_store_dwordx2 v[0:1], v[6:7], off
.LBB99_15:
	s_endpgm
	.section	.rodata,"a",@progbits
	.p2align	6, 0x0
	.amdhsa_kernel _ZL23rocblas_trmm_lTx_kernelILi16ELb0E19rocblas_complex_numIfES1_KS1_S1_Ev13rocblas_fill_17rocblas_diagonal_iiT2_lPT3_llS7_llPT4_lli
		.amdhsa_group_segment_fixed_size 4096
		.amdhsa_private_segment_fixed_size 0
		.amdhsa_kernarg_size 108
		.amdhsa_user_sgpr_count 2
		.amdhsa_user_sgpr_dispatch_ptr 0
		.amdhsa_user_sgpr_queue_ptr 0
		.amdhsa_user_sgpr_kernarg_segment_ptr 1
		.amdhsa_user_sgpr_dispatch_id 0
		.amdhsa_user_sgpr_kernarg_preload_length 0
		.amdhsa_user_sgpr_kernarg_preload_offset 0
		.amdhsa_user_sgpr_private_segment_size 0
		.amdhsa_uses_dynamic_stack 0
		.amdhsa_enable_private_segment 0
		.amdhsa_system_sgpr_workgroup_id_x 1
		.amdhsa_system_sgpr_workgroup_id_y 0
		.amdhsa_system_sgpr_workgroup_id_z 1
		.amdhsa_system_sgpr_workgroup_info 0
		.amdhsa_system_vgpr_workitem_id 1
		.amdhsa_next_free_vgpr 58
		.amdhsa_next_free_sgpr 30
		.amdhsa_accum_offset 60
		.amdhsa_reserve_vcc 1
		.amdhsa_float_round_mode_32 0
		.amdhsa_float_round_mode_16_64 0
		.amdhsa_float_denorm_mode_32 3
		.amdhsa_float_denorm_mode_16_64 3
		.amdhsa_dx10_clamp 1
		.amdhsa_ieee_mode 1
		.amdhsa_fp16_overflow 0
		.amdhsa_tg_split 0
		.amdhsa_exception_fp_ieee_invalid_op 0
		.amdhsa_exception_fp_denorm_src 0
		.amdhsa_exception_fp_ieee_div_zero 0
		.amdhsa_exception_fp_ieee_overflow 0
		.amdhsa_exception_fp_ieee_underflow 0
		.amdhsa_exception_fp_ieee_inexact 0
		.amdhsa_exception_int_div_zero 0
	.end_amdhsa_kernel
	.section	.text._ZL23rocblas_trmm_lTx_kernelILi16ELb0E19rocblas_complex_numIfES1_KS1_S1_Ev13rocblas_fill_17rocblas_diagonal_iiT2_lPT3_llS7_llPT4_lli,"axG",@progbits,_ZL23rocblas_trmm_lTx_kernelILi16ELb0E19rocblas_complex_numIfES1_KS1_S1_Ev13rocblas_fill_17rocblas_diagonal_iiT2_lPT3_llS7_llPT4_lli,comdat
.Lfunc_end99:
	.size	_ZL23rocblas_trmm_lTx_kernelILi16ELb0E19rocblas_complex_numIfES1_KS1_S1_Ev13rocblas_fill_17rocblas_diagonal_iiT2_lPT3_llS7_llPT4_lli, .Lfunc_end99-_ZL23rocblas_trmm_lTx_kernelILi16ELb0E19rocblas_complex_numIfES1_KS1_S1_Ev13rocblas_fill_17rocblas_diagonal_iiT2_lPT3_llS7_llPT4_lli
                                        ; -- End function
	.set _ZL23rocblas_trmm_lTx_kernelILi16ELb0E19rocblas_complex_numIfES1_KS1_S1_Ev13rocblas_fill_17rocblas_diagonal_iiT2_lPT3_llS7_llPT4_lli.num_vgpr, 58
	.set _ZL23rocblas_trmm_lTx_kernelILi16ELb0E19rocblas_complex_numIfES1_KS1_S1_Ev13rocblas_fill_17rocblas_diagonal_iiT2_lPT3_llS7_llPT4_lli.num_agpr, 0
	.set _ZL23rocblas_trmm_lTx_kernelILi16ELb0E19rocblas_complex_numIfES1_KS1_S1_Ev13rocblas_fill_17rocblas_diagonal_iiT2_lPT3_llS7_llPT4_lli.numbered_sgpr, 30
	.set _ZL23rocblas_trmm_lTx_kernelILi16ELb0E19rocblas_complex_numIfES1_KS1_S1_Ev13rocblas_fill_17rocblas_diagonal_iiT2_lPT3_llS7_llPT4_lli.num_named_barrier, 0
	.set _ZL23rocblas_trmm_lTx_kernelILi16ELb0E19rocblas_complex_numIfES1_KS1_S1_Ev13rocblas_fill_17rocblas_diagonal_iiT2_lPT3_llS7_llPT4_lli.private_seg_size, 0
	.set _ZL23rocblas_trmm_lTx_kernelILi16ELb0E19rocblas_complex_numIfES1_KS1_S1_Ev13rocblas_fill_17rocblas_diagonal_iiT2_lPT3_llS7_llPT4_lli.uses_vcc, 1
	.set _ZL23rocblas_trmm_lTx_kernelILi16ELb0E19rocblas_complex_numIfES1_KS1_S1_Ev13rocblas_fill_17rocblas_diagonal_iiT2_lPT3_llS7_llPT4_lli.uses_flat_scratch, 0
	.set _ZL23rocblas_trmm_lTx_kernelILi16ELb0E19rocblas_complex_numIfES1_KS1_S1_Ev13rocblas_fill_17rocblas_diagonal_iiT2_lPT3_llS7_llPT4_lli.has_dyn_sized_stack, 0
	.set _ZL23rocblas_trmm_lTx_kernelILi16ELb0E19rocblas_complex_numIfES1_KS1_S1_Ev13rocblas_fill_17rocblas_diagonal_iiT2_lPT3_llS7_llPT4_lli.has_recursion, 0
	.set _ZL23rocblas_trmm_lTx_kernelILi16ELb0E19rocblas_complex_numIfES1_KS1_S1_Ev13rocblas_fill_17rocblas_diagonal_iiT2_lPT3_llS7_llPT4_lli.has_indirect_call, 0
	.section	.AMDGPU.csdata,"",@progbits
; Kernel info:
; codeLenInByte = 1356
; TotalNumSgprs: 36
; NumVgprs: 58
; NumAgprs: 0
; TotalNumVgprs: 58
; ScratchSize: 0
; MemoryBound: 0
; FloatMode: 240
; IeeeMode: 1
; LDSByteSize: 4096 bytes/workgroup (compile time only)
; SGPRBlocks: 4
; VGPRBlocks: 7
; NumSGPRsForWavesPerEU: 36
; NumVGPRsForWavesPerEU: 58
; AccumOffset: 60
; Occupancy: 8
; WaveLimiterHint : 0
; COMPUTE_PGM_RSRC2:SCRATCH_EN: 0
; COMPUTE_PGM_RSRC2:USER_SGPR: 2
; COMPUTE_PGM_RSRC2:TRAP_HANDLER: 0
; COMPUTE_PGM_RSRC2:TGID_X_EN: 1
; COMPUTE_PGM_RSRC2:TGID_Y_EN: 0
; COMPUTE_PGM_RSRC2:TGID_Z_EN: 1
; COMPUTE_PGM_RSRC2:TIDIG_COMP_CNT: 1
; COMPUTE_PGM_RSRC3_GFX90A:ACCUM_OFFSET: 14
; COMPUTE_PGM_RSRC3_GFX90A:TG_SPLIT: 0
	.section	.text._ZL23rocblas_trmm_lTx_kernelILi16ELb1E19rocblas_complex_numIfEPKS1_S2_S1_Ev13rocblas_fill_17rocblas_diagonal_iiT2_lPT3_llS8_llPT4_lli,"axG",@progbits,_ZL23rocblas_trmm_lTx_kernelILi16ELb1E19rocblas_complex_numIfEPKS1_S2_S1_Ev13rocblas_fill_17rocblas_diagonal_iiT2_lPT3_llS8_llPT4_lli,comdat
	.globl	_ZL23rocblas_trmm_lTx_kernelILi16ELb1E19rocblas_complex_numIfEPKS1_S2_S1_Ev13rocblas_fill_17rocblas_diagonal_iiT2_lPT3_llS8_llPT4_lli ; -- Begin function _ZL23rocblas_trmm_lTx_kernelILi16ELb1E19rocblas_complex_numIfEPKS1_S2_S1_Ev13rocblas_fill_17rocblas_diagonal_iiT2_lPT3_llS8_llPT4_lli
	.p2align	8
	.type	_ZL23rocblas_trmm_lTx_kernelILi16ELb1E19rocblas_complex_numIfEPKS1_S2_S1_Ev13rocblas_fill_17rocblas_diagonal_iiT2_lPT3_llS8_llPT4_lli,@function
_ZL23rocblas_trmm_lTx_kernelILi16ELb1E19rocblas_complex_numIfEPKS1_S2_S1_Ev13rocblas_fill_17rocblas_diagonal_iiT2_lPT3_llS8_llPT4_lli: ; @_ZL23rocblas_trmm_lTx_kernelILi16ELb1E19rocblas_complex_numIfEPKS1_S2_S1_Ev13rocblas_fill_17rocblas_diagonal_iiT2_lPT3_llS8_llPT4_lli
; %bb.0:
	s_load_dwordx16 s[4:19], s[0:1], 0x10
	s_waitcnt lgkmcnt(0)
	s_mul_i32 s7, s7, s3
	s_mul_hi_u32 s20, s6, s3
	s_add_i32 s7, s20, s7
	s_mul_i32 s6, s6, s3
	s_lshl_b64 s[6:7], s[6:7], 3
	s_add_u32 s4, s4, s6
	s_addc_u32 s5, s5, s7
	s_load_dwordx2 s[24:25], s[4:5], 0x0
	s_waitcnt lgkmcnt(0)
	v_cmp_neq_f32_e64 s[4:5], s24, 0
	v_cmp_neq_f32_e64 s[6:7], s25, 0
	s_or_b64 s[4:5], s[4:5], s[6:7]
	s_andn2_b64 vcc, exec, s[4:5]
	s_mov_b32 s4, 0
	s_cbranch_vccnz .LBB100_15
; %bb.1:
	s_load_dwordx4 s[20:23], s[0:1], 0x0
	v_bfe_u32 v2, v0, 10, 10
	v_and_b32_e32 v5, 0x3ff, v0
	v_lshlrev_b32_e32 v3, 4, v2
	s_mov_b32 s5, s4
	v_add_lshl_u32 v4, v3, v5, 3
	v_mov_b64_e32 v[0:1], s[4:5]
	s_waitcnt lgkmcnt(0)
	v_cmp_gt_i32_e64 s[4:5], s22, v2
	v_cmp_gt_i32_e32 vcc, s22, v5
	ds_write2st64_b64 v4, v[0:1], v[0:1] offset1:4
	s_and_b64 s[6:7], s[4:5], vcc
	v_lshlrev_b32_e32 v0, 3, v5
	s_waitcnt lgkmcnt(0)
	s_barrier
	s_and_saveexec_b64 s[4:5], s[6:7]
	s_cbranch_execz .LBB100_3
; %bb.2:
	s_mul_i32 s6, s13, s3
	s_mul_hi_u32 s7, s12, s3
	s_add_i32 s7, s7, s6
	s_mul_i32 s6, s12, s3
	s_lshl_b64 s[6:7], s[6:7], 3
	s_add_u32 s6, s8, s6
	s_addc_u32 s7, s9, s7
	v_mad_u64_u32 v[6:7], s[8:9], s10, v2, 0
	v_mov_b32_e32 v8, v7
	v_mad_u64_u32 v[8:9], s[8:9], s11, v2, v[8:9]
	v_mov_b32_e32 v7, v8
	v_lshl_add_u64 v[6:7], v[6:7], 3, s[6:7]
	v_mov_b32_e32 v1, 0
	v_lshl_add_u64 v[6:7], v[6:7], 0, v[0:1]
	global_load_dwordx2 v[6:7], v[6:7], off
	v_lshlrev_b32_e32 v1, 3, v2
	v_lshl_add_u32 v1, v5, 7, v1
	s_waitcnt vmcnt(0)
	v_xor_b32_e32 v7, 0x80000000, v7
	ds_write_b64 v1, v[6:7]
.LBB100_3:
	s_or_b64 exec, exec, s[4:5]
	s_add_i32 s4, s23, -1
	s_ashr_i32 s5, s4, 31
	s_lshr_b32 s5, s5, 28
	s_add_i32 s4, s4, s5
	s_ashr_i32 s5, s4, 4
	s_and_b32 s4, s4, -16
	s_sub_i32 s4, s23, s4
	s_cmp_ge_i32 s2, s5
	s_cselect_b32 s4, s4, 16
	s_lshl_b32 s2, s2, 4
	v_cmp_gt_i32_e64 s[4:5], s4, v2
	s_ashr_i32 s10, s2, 31
	s_and_b64 s[4:5], vcc, s[4:5]
	s_and_saveexec_b64 s[6:7], s[4:5]
	s_cbranch_execz .LBB100_5
; %bb.4:
	s_mul_i32 s8, s19, s3
	s_mul_hi_u32 s9, s18, s3
	s_add_i32 s9, s9, s8
	s_mul_i32 s8, s18, s3
	s_lshl_b64 s[8:9], s[8:9], 3
	s_add_u32 s11, s14, s8
	s_addc_u32 s12, s15, s9
	s_mul_i32 s8, s16, s10
	s_mul_hi_u32 s9, s16, s2
	s_add_i32 s8, s9, s8
	s_mul_i32 s9, s17, s2
	s_add_i32 s9, s8, s9
	s_mul_i32 s8, s16, s2
	s_lshl_b64 s[8:9], s[8:9], 3
	s_add_u32 s8, s11, s8
	s_addc_u32 s9, s12, s9
	v_mad_u64_u32 v[6:7], s[12:13], s16, v2, 0
	v_mov_b32_e32 v8, v7
	v_mad_u64_u32 v[8:9], s[12:13], s17, v2, v[8:9]
	v_mov_b32_e32 v7, v8
	v_lshl_add_u64 v[6:7], v[6:7], 3, s[8:9]
	v_mov_b32_e32 v1, 0
	v_lshl_add_u64 v[6:7], v[6:7], 0, v[0:1]
	global_load_dwordx2 v[6:7], v[6:7], off
	v_add_u32_e32 v1, 0x800, v4
	s_waitcnt vmcnt(0)
	ds_write_b64 v1, v[6:7]
.LBB100_5:
	s_or_b64 exec, exec, s[6:7]
	s_cmpk_eq_i32 s21, 0x84
	s_cselect_b64 s[6:7], -1, 0
	v_cmp_eq_u32_e32 vcc, v2, v5
	s_and_b64 s[8:9], vcc, s[6:7]
	s_and_saveexec_b64 s[6:7], s[8:9]
; %bb.6:
	v_mov_b32_e32 v6, 1.0
	v_mov_b32_e32 v7, 0
	ds_write_b64 v4, v[6:7]
; %bb.7:
	s_or_b64 exec, exec, s[6:7]
	s_cmpk_lg_i32 s20, 0x7a
	s_waitcnt lgkmcnt(0)
	s_barrier
	s_cbranch_scc0 .LBB100_9
; %bb.8:
	v_cmp_lt_u32_e32 vcc, v5, v2
	s_and_b64 s[6:7], vcc, exec
	s_cbranch_execz .LBB100_10
	s_branch .LBB100_11
.LBB100_9:
	s_mov_b64 s[6:7], 0
.LBB100_10:
	v_cmp_gt_u32_e32 vcc, v5, v2
	s_andn2_b64 s[6:7], s[6:7], exec
	s_and_b64 s[8:9], vcc, exec
	s_or_b64 s[6:7], s[6:7], s[8:9]
.LBB100_11:
	s_and_saveexec_b64 s[8:9], s[6:7]
; %bb.12:
	v_mov_b32_e32 v6, 0
	v_mov_b32_e32 v7, v6
	ds_write_b64 v4, v[6:7]
; %bb.13:
	s_or_b64 exec, exec, s[8:9]
	s_waitcnt lgkmcnt(0)
	s_barrier
	s_and_saveexec_b64 s[6:7], s[4:5]
	s_cbranch_execz .LBB100_15
; %bb.14:
	v_lshlrev_b32_e32 v1, 3, v3
	s_load_dwordx2 s[8:9], s[0:1], 0x60
	s_load_dwordx4 s[4:7], s[0:1], 0x50
	ds_read_b128 v[4:7], v1 offset:2048
	ds_read2_b64 v[8:11], v0 offset1:16
	ds_read_b128 v[12:15], v1 offset:2064
	ds_read_b128 v[16:19], v1 offset:2080
	;; [unrolled: 1-line block ×3, first 2 shown]
	ds_read2_b64 v[24:27], v0 offset0:32 offset1:48
	s_waitcnt lgkmcnt(0)
	s_mul_i32 s1, s9, s3
	s_mul_hi_u32 s9, s8, s3
	v_mul_f32_e32 v3, v4, v9
	v_fmac_f32_e32 v3, v5, v8
	v_mul_f32_e32 v28, v6, v11
	v_add_f32_e32 v3, 0, v3
	v_fmac_f32_e32 v28, v7, v10
	v_add_f32_e32 v3, v3, v28
	v_mul_f32_e32 v32, v12, v25
	ds_read2_b64 v[28:31], v0 offset0:64 offset1:80
	v_fmac_f32_e32 v32, v13, v24
	v_add_f32_e32 v3, v3, v32
	v_mul_f32_e32 v32, v14, v27
	v_fmac_f32_e32 v32, v15, v26
	v_add_f32_e32 v3, v3, v32
	ds_read2_b64 v[32:35], v0 offset0:96 offset1:112
	s_waitcnt lgkmcnt(1)
	v_mul_f32_e32 v36, v16, v29
	v_fmac_f32_e32 v36, v17, v28
	v_add_f32_e32 v3, v3, v36
	v_mul_f32_e32 v36, v18, v31
	v_fmac_f32_e32 v36, v19, v30
	v_add_f32_e32 v3, v3, v36
	s_waitcnt lgkmcnt(0)
	v_mul_f32_e32 v36, v20, v33
	v_fmac_f32_e32 v36, v21, v32
	v_add_f32_e32 v3, v3, v36
	ds_read_b128 v[36:39], v1 offset:2112
	ds_read2_b64 v[40:43], v0 offset0:128 offset1:144
	v_mul_f32_e32 v44, v22, v35
	v_fmac_f32_e32 v44, v23, v34
	v_add_f32_e32 v3, v3, v44
	ds_read_b128 v[44:47], v1 offset:2128
	ds_read2_b64 v[48:51], v0 offset0:160 offset1:176
	s_waitcnt lgkmcnt(2)
	v_mul_f32_e32 v52, v36, v41
	v_fmac_f32_e32 v52, v37, v40
	v_add_f32_e32 v3, v3, v52
	v_mul_f32_e32 v52, v38, v43
	v_fmac_f32_e32 v52, v39, v42
	v_add_f32_e32 v3, v3, v52
	s_waitcnt lgkmcnt(0)
	v_mul_f32_e32 v52, v44, v49
	v_fmac_f32_e32 v52, v45, v48
	v_add_f32_e32 v3, v3, v52
	v_mul_f32_e32 v52, v46, v51
	v_fmac_f32_e32 v52, v47, v50
	v_mul_f32_e32 v5, v5, v9
	v_add_f32_e32 v3, v3, v52
	ds_read2_b64 v[52:55], v0 offset0:192 offset1:208
	v_fma_f32 v56, v4, v8, -v5
	v_mul_f32_e32 v4, v7, v11
	v_fma_f32 v57, v6, v10, -v4
	ds_read_b128 v[4:7], v1 offset:2144
	ds_read_b128 v[8:11], v1 offset:2160
	v_mul_f32_e32 v1, v13, v25
	v_fma_f32 v1, v12, v24, -v1
	v_mul_f32_e32 v12, v15, v27
	v_fma_f32 v25, v14, v26, -v12
	ds_read2_b64 v[12:15], v0 offset0:224 offset1:240
	s_waitcnt lgkmcnt(2)
	v_mul_f32_e32 v24, v4, v53
	v_fmac_f32_e32 v24, v5, v52
	v_add_f32_e32 v3, v3, v24
	v_mul_f32_e32 v24, v6, v55
	v_fmac_f32_e32 v24, v7, v54
	v_add_f32_e32 v3, v3, v24
	s_waitcnt lgkmcnt(0)
	v_mul_f32_e32 v24, v8, v13
	v_fmac_f32_e32 v24, v9, v12
	v_add_f32_e32 v3, v3, v24
	v_mul_f32_e32 v24, v10, v15
	v_fmac_f32_e32 v24, v11, v14
	v_add_f32_e32 v24, v3, v24
	v_add_f32_e32 v3, 0, v56
	;; [unrolled: 1-line block ×4, first 2 shown]
	v_mul_f32_e32 v3, v17, v29
	v_add_f32_e32 v1, v1, v25
	v_fma_f32 v3, v16, v28, -v3
	v_add_f32_e32 v1, v1, v3
	v_mul_f32_e32 v3, v19, v31
	v_fma_f32 v3, v18, v30, -v3
	v_add_f32_e32 v1, v1, v3
	v_mul_f32_e32 v3, v21, v33
	;; [unrolled: 3-line block ×8, first 2 shown]
	v_fma_f32 v3, v4, v52, -v3
	s_mul_i32 s0, s8, s3
	s_add_i32 s1, s9, s1
	v_add_f32_e32 v1, v1, v3
	v_mul_f32_e32 v3, v7, v55
	s_lshl_b64 s[0:1], s[0:1], 3
	v_fma_f32 v3, v6, v54, -v3
	s_mul_i32 s3, s6, s10
	s_add_u32 s4, s4, s0
	s_mul_hi_u32 s0, s6, s2
	v_add_f32_e32 v1, v1, v3
	v_mul_f32_e32 v3, v9, v13
	s_addc_u32 s5, s5, s1
	s_add_i32 s0, s0, s3
	s_mul_i32 s1, s7, s2
	v_fma_f32 v3, v8, v12, -v3
	s_add_i32 s1, s0, s1
	s_mul_i32 s0, s6, s2
	v_add_f32_e32 v1, v1, v3
	v_mul_f32_e32 v3, v11, v15
	v_mad_u64_u32 v[6:7], s[2:3], s6, v2, 0
	s_lshl_b64 s[0:1], s[0:1], 3
	v_fma_f32 v3, v10, v14, -v3
	v_mov_b32_e32 v8, v7
	s_add_u32 s0, s4, s0
	v_add_f32_e32 v4, v1, v3
	v_mad_u64_u32 v[2:3], s[2:3], s7, v2, v[8:9]
	s_addc_u32 s1, s5, s1
	v_mov_b32_e32 v7, v2
	v_lshl_add_u64 v[2:3], v[6:7], 3, s[0:1]
	v_mov_b32_e32 v1, 0
	v_lshl_add_u64 v[0:1], v[2:3], 0, v[0:1]
	v_pk_mul_f32 v[2:3], s[24:25], v[24:25] op_sel:[1,0] op_sel_hi:[0,0]
	v_pk_fma_f32 v[6:7], s[24:25], v[4:5], v[2:3] neg_lo:[0,0,1] neg_hi:[0,0,1]
	v_pk_fma_f32 v[2:3], s[24:25], v[4:5], v[2:3] op_sel_hi:[1,0,1]
	s_nop 0
	v_mov_b32_e32 v7, v3
	global_store_dwordx2 v[0:1], v[6:7], off
.LBB100_15:
	s_endpgm
	.section	.rodata,"a",@progbits
	.p2align	6, 0x0
	.amdhsa_kernel _ZL23rocblas_trmm_lTx_kernelILi16ELb1E19rocblas_complex_numIfEPKS1_S2_S1_Ev13rocblas_fill_17rocblas_diagonal_iiT2_lPT3_llS8_llPT4_lli
		.amdhsa_group_segment_fixed_size 4096
		.amdhsa_private_segment_fixed_size 0
		.amdhsa_kernarg_size 108
		.amdhsa_user_sgpr_count 2
		.amdhsa_user_sgpr_dispatch_ptr 0
		.amdhsa_user_sgpr_queue_ptr 0
		.amdhsa_user_sgpr_kernarg_segment_ptr 1
		.amdhsa_user_sgpr_dispatch_id 0
		.amdhsa_user_sgpr_kernarg_preload_length 0
		.amdhsa_user_sgpr_kernarg_preload_offset 0
		.amdhsa_user_sgpr_private_segment_size 0
		.amdhsa_uses_dynamic_stack 0
		.amdhsa_enable_private_segment 0
		.amdhsa_system_sgpr_workgroup_id_x 1
		.amdhsa_system_sgpr_workgroup_id_y 0
		.amdhsa_system_sgpr_workgroup_id_z 1
		.amdhsa_system_sgpr_workgroup_info 0
		.amdhsa_system_vgpr_workitem_id 1
		.amdhsa_next_free_vgpr 58
		.amdhsa_next_free_sgpr 26
		.amdhsa_accum_offset 60
		.amdhsa_reserve_vcc 1
		.amdhsa_float_round_mode_32 0
		.amdhsa_float_round_mode_16_64 0
		.amdhsa_float_denorm_mode_32 3
		.amdhsa_float_denorm_mode_16_64 3
		.amdhsa_dx10_clamp 1
		.amdhsa_ieee_mode 1
		.amdhsa_fp16_overflow 0
		.amdhsa_tg_split 0
		.amdhsa_exception_fp_ieee_invalid_op 0
		.amdhsa_exception_fp_denorm_src 0
		.amdhsa_exception_fp_ieee_div_zero 0
		.amdhsa_exception_fp_ieee_overflow 0
		.amdhsa_exception_fp_ieee_underflow 0
		.amdhsa_exception_fp_ieee_inexact 0
		.amdhsa_exception_int_div_zero 0
	.end_amdhsa_kernel
	.section	.text._ZL23rocblas_trmm_lTx_kernelILi16ELb1E19rocblas_complex_numIfEPKS1_S2_S1_Ev13rocblas_fill_17rocblas_diagonal_iiT2_lPT3_llS8_llPT4_lli,"axG",@progbits,_ZL23rocblas_trmm_lTx_kernelILi16ELb1E19rocblas_complex_numIfEPKS1_S2_S1_Ev13rocblas_fill_17rocblas_diagonal_iiT2_lPT3_llS8_llPT4_lli,comdat
.Lfunc_end100:
	.size	_ZL23rocblas_trmm_lTx_kernelILi16ELb1E19rocblas_complex_numIfEPKS1_S2_S1_Ev13rocblas_fill_17rocblas_diagonal_iiT2_lPT3_llS8_llPT4_lli, .Lfunc_end100-_ZL23rocblas_trmm_lTx_kernelILi16ELb1E19rocblas_complex_numIfEPKS1_S2_S1_Ev13rocblas_fill_17rocblas_diagonal_iiT2_lPT3_llS8_llPT4_lli
                                        ; -- End function
	.set _ZL23rocblas_trmm_lTx_kernelILi16ELb1E19rocblas_complex_numIfEPKS1_S2_S1_Ev13rocblas_fill_17rocblas_diagonal_iiT2_lPT3_llS8_llPT4_lli.num_vgpr, 58
	.set _ZL23rocblas_trmm_lTx_kernelILi16ELb1E19rocblas_complex_numIfEPKS1_S2_S1_Ev13rocblas_fill_17rocblas_diagonal_iiT2_lPT3_llS8_llPT4_lli.num_agpr, 0
	.set _ZL23rocblas_trmm_lTx_kernelILi16ELb1E19rocblas_complex_numIfEPKS1_S2_S1_Ev13rocblas_fill_17rocblas_diagonal_iiT2_lPT3_llS8_llPT4_lli.numbered_sgpr, 26
	.set _ZL23rocblas_trmm_lTx_kernelILi16ELb1E19rocblas_complex_numIfEPKS1_S2_S1_Ev13rocblas_fill_17rocblas_diagonal_iiT2_lPT3_llS8_llPT4_lli.num_named_barrier, 0
	.set _ZL23rocblas_trmm_lTx_kernelILi16ELb1E19rocblas_complex_numIfEPKS1_S2_S1_Ev13rocblas_fill_17rocblas_diagonal_iiT2_lPT3_llS8_llPT4_lli.private_seg_size, 0
	.set _ZL23rocblas_trmm_lTx_kernelILi16ELb1E19rocblas_complex_numIfEPKS1_S2_S1_Ev13rocblas_fill_17rocblas_diagonal_iiT2_lPT3_llS8_llPT4_lli.uses_vcc, 1
	.set _ZL23rocblas_trmm_lTx_kernelILi16ELb1E19rocblas_complex_numIfEPKS1_S2_S1_Ev13rocblas_fill_17rocblas_diagonal_iiT2_lPT3_llS8_llPT4_lli.uses_flat_scratch, 0
	.set _ZL23rocblas_trmm_lTx_kernelILi16ELb1E19rocblas_complex_numIfEPKS1_S2_S1_Ev13rocblas_fill_17rocblas_diagonal_iiT2_lPT3_llS8_llPT4_lli.has_dyn_sized_stack, 0
	.set _ZL23rocblas_trmm_lTx_kernelILi16ELb1E19rocblas_complex_numIfEPKS1_S2_S1_Ev13rocblas_fill_17rocblas_diagonal_iiT2_lPT3_llS8_llPT4_lli.has_recursion, 0
	.set _ZL23rocblas_trmm_lTx_kernelILi16ELb1E19rocblas_complex_numIfEPKS1_S2_S1_Ev13rocblas_fill_17rocblas_diagonal_iiT2_lPT3_llS8_llPT4_lli.has_indirect_call, 0
	.section	.AMDGPU.csdata,"",@progbits
; Kernel info:
; codeLenInByte = 1404
; TotalNumSgprs: 32
; NumVgprs: 58
; NumAgprs: 0
; TotalNumVgprs: 58
; ScratchSize: 0
; MemoryBound: 0
; FloatMode: 240
; IeeeMode: 1
; LDSByteSize: 4096 bytes/workgroup (compile time only)
; SGPRBlocks: 3
; VGPRBlocks: 7
; NumSGPRsForWavesPerEU: 32
; NumVGPRsForWavesPerEU: 58
; AccumOffset: 60
; Occupancy: 8
; WaveLimiterHint : 0
; COMPUTE_PGM_RSRC2:SCRATCH_EN: 0
; COMPUTE_PGM_RSRC2:USER_SGPR: 2
; COMPUTE_PGM_RSRC2:TRAP_HANDLER: 0
; COMPUTE_PGM_RSRC2:TGID_X_EN: 1
; COMPUTE_PGM_RSRC2:TGID_Y_EN: 0
; COMPUTE_PGM_RSRC2:TGID_Z_EN: 1
; COMPUTE_PGM_RSRC2:TIDIG_COMP_CNT: 1
; COMPUTE_PGM_RSRC3_GFX90A:ACCUM_OFFSET: 14
; COMPUTE_PGM_RSRC3_GFX90A:TG_SPLIT: 0
	.section	.text._ZL23rocblas_trmm_lTx_kernelILi16ELb1E19rocblas_complex_numIfES1_KS1_S1_Ev13rocblas_fill_17rocblas_diagonal_iiT2_lPT3_llS7_llPT4_lli,"axG",@progbits,_ZL23rocblas_trmm_lTx_kernelILi16ELb1E19rocblas_complex_numIfES1_KS1_S1_Ev13rocblas_fill_17rocblas_diagonal_iiT2_lPT3_llS7_llPT4_lli,comdat
	.globl	_ZL23rocblas_trmm_lTx_kernelILi16ELb1E19rocblas_complex_numIfES1_KS1_S1_Ev13rocblas_fill_17rocblas_diagonal_iiT2_lPT3_llS7_llPT4_lli ; -- Begin function _ZL23rocblas_trmm_lTx_kernelILi16ELb1E19rocblas_complex_numIfES1_KS1_S1_Ev13rocblas_fill_17rocblas_diagonal_iiT2_lPT3_llS7_llPT4_lli
	.p2align	8
	.type	_ZL23rocblas_trmm_lTx_kernelILi16ELb1E19rocblas_complex_numIfES1_KS1_S1_Ev13rocblas_fill_17rocblas_diagonal_iiT2_lPT3_llS7_llPT4_lli,@function
_ZL23rocblas_trmm_lTx_kernelILi16ELb1E19rocblas_complex_numIfES1_KS1_S1_Ev13rocblas_fill_17rocblas_diagonal_iiT2_lPT3_llS7_llPT4_lli: ; @_ZL23rocblas_trmm_lTx_kernelILi16ELb1E19rocblas_complex_numIfES1_KS1_S1_Ev13rocblas_fill_17rocblas_diagonal_iiT2_lPT3_llS7_llPT4_lli
; %bb.0:
	s_load_dwordx2 s[6:7], s[0:1], 0x10
	s_waitcnt lgkmcnt(0)
	v_cmp_neq_f32_e64 s[4:5], s6, 0
	v_cmp_neq_f32_e64 s[8:9], s7, 0
	s_or_b64 s[4:5], s[4:5], s[8:9]
	s_andn2_b64 vcc, exec, s[4:5]
	s_mov_b32 s4, 0
	s_cbranch_vccnz .LBB101_15
; %bb.1:
	s_load_dwordx4 s[24:27], s[0:1], 0x0
	s_load_dwordx16 s[8:23], s[0:1], 0x20
	v_bfe_u32 v2, v0, 10, 10
	v_and_b32_e32 v5, 0x3ff, v0
	v_lshlrev_b32_e32 v3, 4, v2
	s_mov_b32 s5, s4
	v_add_lshl_u32 v4, v3, v5, 3
	v_mov_b64_e32 v[0:1], s[4:5]
	s_waitcnt lgkmcnt(0)
	v_cmp_gt_i32_e64 s[4:5], s26, v2
	v_cmp_gt_i32_e32 vcc, s26, v5
	ds_write2st64_b64 v4, v[0:1], v[0:1] offset1:4
	s_and_b64 s[28:29], s[4:5], vcc
	v_lshlrev_b32_e32 v0, 3, v5
	s_waitcnt lgkmcnt(0)
	s_barrier
	s_and_saveexec_b64 s[4:5], s[28:29]
	s_cbranch_execz .LBB101_3
; %bb.2:
	s_mul_i32 s13, s13, s3
	s_mul_hi_u32 s26, s12, s3
	s_add_i32 s13, s26, s13
	s_mul_i32 s12, s12, s3
	s_lshl_b64 s[12:13], s[12:13], 3
	s_add_u32 s8, s8, s12
	s_addc_u32 s9, s9, s13
	v_mad_u64_u32 v[6:7], s[12:13], s10, v2, 0
	v_mov_b32_e32 v8, v7
	v_mad_u64_u32 v[8:9], s[10:11], s11, v2, v[8:9]
	v_mov_b32_e32 v7, v8
	v_lshl_add_u64 v[6:7], v[6:7], 3, s[8:9]
	v_mov_b32_e32 v1, 0
	v_lshl_add_u64 v[6:7], v[6:7], 0, v[0:1]
	global_load_dwordx2 v[6:7], v[6:7], off
	v_lshlrev_b32_e32 v1, 3, v2
	v_lshl_add_u32 v1, v5, 7, v1
	s_waitcnt vmcnt(0)
	v_xor_b32_e32 v7, 0x80000000, v7
	ds_write_b64 v1, v[6:7]
.LBB101_3:
	s_or_b64 exec, exec, s[4:5]
	s_add_i32 s4, s27, -1
	s_ashr_i32 s5, s4, 31
	s_lshr_b32 s5, s5, 28
	s_add_i32 s4, s4, s5
	s_ashr_i32 s5, s4, 4
	s_and_b32 s4, s4, -16
	s_sub_i32 s4, s27, s4
	s_cmp_ge_i32 s2, s5
	s_cselect_b32 s4, s4, 16
	s_lshl_b32 s2, s2, 4
	v_cmp_gt_i32_e64 s[4:5], s4, v2
	s_ashr_i32 s12, s2, 31
	s_and_b64 s[4:5], vcc, s[4:5]
	s_and_saveexec_b64 s[8:9], s[4:5]
	s_cbranch_execz .LBB101_5
; %bb.4:
	s_mul_i32 s10, s19, s3
	s_mul_hi_u32 s11, s18, s3
	s_add_i32 s11, s11, s10
	s_mul_i32 s10, s18, s3
	s_lshl_b64 s[10:11], s[10:11], 3
	s_add_u32 s13, s14, s10
	s_addc_u32 s14, s15, s11
	s_mul_i32 s10, s16, s12
	s_mul_hi_u32 s11, s16, s2
	s_add_i32 s10, s11, s10
	s_mul_i32 s11, s17, s2
	s_add_i32 s11, s10, s11
	s_mul_i32 s10, s16, s2
	s_lshl_b64 s[10:11], s[10:11], 3
	s_add_u32 s10, s13, s10
	s_addc_u32 s11, s14, s11
	v_mad_u64_u32 v[6:7], s[14:15], s16, v2, 0
	v_mov_b32_e32 v8, v7
	v_mad_u64_u32 v[8:9], s[14:15], s17, v2, v[8:9]
	v_mov_b32_e32 v7, v8
	v_lshl_add_u64 v[6:7], v[6:7], 3, s[10:11]
	v_mov_b32_e32 v1, 0
	v_lshl_add_u64 v[6:7], v[6:7], 0, v[0:1]
	global_load_dwordx2 v[6:7], v[6:7], off
	v_add_u32_e32 v1, 0x800, v4
	s_waitcnt vmcnt(0)
	ds_write_b64 v1, v[6:7]
.LBB101_5:
	s_or_b64 exec, exec, s[8:9]
	s_cmpk_eq_i32 s25, 0x84
	s_cselect_b64 s[8:9], -1, 0
	v_cmp_eq_u32_e32 vcc, v2, v5
	s_and_b64 s[10:11], vcc, s[8:9]
	s_and_saveexec_b64 s[8:9], s[10:11]
; %bb.6:
	v_mov_b32_e32 v6, 1.0
	v_mov_b32_e32 v7, 0
	ds_write_b64 v4, v[6:7]
; %bb.7:
	s_or_b64 exec, exec, s[8:9]
	s_cmpk_lg_i32 s24, 0x7a
	s_waitcnt lgkmcnt(0)
	s_barrier
	s_cbranch_scc0 .LBB101_9
; %bb.8:
	v_cmp_lt_u32_e32 vcc, v5, v2
	s_and_b64 s[8:9], vcc, exec
	s_cbranch_execz .LBB101_10
	s_branch .LBB101_11
.LBB101_9:
	s_mov_b64 s[8:9], 0
.LBB101_10:
	v_cmp_gt_u32_e32 vcc, v5, v2
	s_andn2_b64 s[8:9], s[8:9], exec
	s_and_b64 s[10:11], vcc, exec
	s_or_b64 s[8:9], s[8:9], s[10:11]
.LBB101_11:
	s_and_saveexec_b64 s[10:11], s[8:9]
; %bb.12:
	v_mov_b32_e32 v6, 0
	v_mov_b32_e32 v7, v6
	ds_write_b64 v4, v[6:7]
; %bb.13:
	s_or_b64 exec, exec, s[10:11]
	s_waitcnt lgkmcnt(0)
	s_barrier
	s_and_saveexec_b64 s[8:9], s[4:5]
	s_cbranch_execz .LBB101_15
; %bb.14:
	v_lshlrev_b32_e32 v1, 3, v3
	ds_read_b128 v[4:7], v1 offset:2048
	ds_read2_b64 v[8:11], v0 offset1:16
	ds_read_b128 v[12:15], v1 offset:2064
	ds_read_b128 v[16:19], v1 offset:2080
	ds_read_b128 v[20:23], v1 offset:2096
	ds_read2_b64 v[24:27], v0 offset0:32 offset1:48
	s_load_dwordx2 s[0:1], s[0:1], 0x60
	s_mul_i32 s4, s22, s12
	s_waitcnt lgkmcnt(0)
	v_mul_f32_e32 v3, v4, v9
	v_fmac_f32_e32 v3, v5, v8
	v_mul_f32_e32 v28, v6, v11
	v_add_f32_e32 v3, 0, v3
	v_fmac_f32_e32 v28, v7, v10
	v_add_f32_e32 v3, v3, v28
	v_mul_f32_e32 v32, v12, v25
	ds_read2_b64 v[28:31], v0 offset0:64 offset1:80
	v_fmac_f32_e32 v32, v13, v24
	v_add_f32_e32 v3, v3, v32
	v_mul_f32_e32 v32, v14, v27
	v_fmac_f32_e32 v32, v15, v26
	v_add_f32_e32 v3, v3, v32
	ds_read2_b64 v[32:35], v0 offset0:96 offset1:112
	s_waitcnt lgkmcnt(1)
	v_mul_f32_e32 v36, v16, v29
	v_fmac_f32_e32 v36, v17, v28
	v_add_f32_e32 v3, v3, v36
	v_mul_f32_e32 v36, v18, v31
	v_fmac_f32_e32 v36, v19, v30
	v_add_f32_e32 v3, v3, v36
	s_waitcnt lgkmcnt(0)
	v_mul_f32_e32 v36, v20, v33
	v_fmac_f32_e32 v36, v21, v32
	v_add_f32_e32 v3, v3, v36
	ds_read_b128 v[36:39], v1 offset:2112
	ds_read2_b64 v[40:43], v0 offset0:128 offset1:144
	v_mul_f32_e32 v44, v22, v35
	v_fmac_f32_e32 v44, v23, v34
	v_add_f32_e32 v3, v3, v44
	ds_read_b128 v[44:47], v1 offset:2128
	ds_read2_b64 v[48:51], v0 offset0:160 offset1:176
	s_waitcnt lgkmcnt(2)
	v_mul_f32_e32 v52, v36, v41
	v_fmac_f32_e32 v52, v37, v40
	v_add_f32_e32 v3, v3, v52
	v_mul_f32_e32 v52, v38, v43
	v_fmac_f32_e32 v52, v39, v42
	v_add_f32_e32 v3, v3, v52
	s_waitcnt lgkmcnt(0)
	v_mul_f32_e32 v52, v44, v49
	v_fmac_f32_e32 v52, v45, v48
	v_add_f32_e32 v3, v3, v52
	v_mul_f32_e32 v52, v46, v51
	v_fmac_f32_e32 v52, v47, v50
	v_mul_f32_e32 v5, v5, v9
	v_add_f32_e32 v3, v3, v52
	ds_read2_b64 v[52:55], v0 offset0:192 offset1:208
	v_fma_f32 v56, v4, v8, -v5
	v_mul_f32_e32 v4, v7, v11
	v_fma_f32 v57, v6, v10, -v4
	ds_read_b128 v[4:7], v1 offset:2144
	ds_read_b128 v[8:11], v1 offset:2160
	v_mul_f32_e32 v1, v13, v25
	v_fma_f32 v1, v12, v24, -v1
	v_mul_f32_e32 v12, v15, v27
	v_fma_f32 v25, v14, v26, -v12
	ds_read2_b64 v[12:15], v0 offset0:224 offset1:240
	s_waitcnt lgkmcnt(2)
	v_mul_f32_e32 v24, v4, v53
	v_fmac_f32_e32 v24, v5, v52
	v_add_f32_e32 v3, v3, v24
	v_mul_f32_e32 v24, v6, v55
	v_fmac_f32_e32 v24, v7, v54
	v_add_f32_e32 v3, v3, v24
	s_waitcnt lgkmcnt(0)
	v_mul_f32_e32 v24, v8, v13
	v_fmac_f32_e32 v24, v9, v12
	v_add_f32_e32 v3, v3, v24
	v_mul_f32_e32 v24, v10, v15
	v_fmac_f32_e32 v24, v11, v14
	v_add_f32_e32 v24, v3, v24
	v_add_f32_e32 v3, 0, v56
	;; [unrolled: 1-line block ×4, first 2 shown]
	v_mul_f32_e32 v3, v17, v29
	v_add_f32_e32 v1, v1, v25
	v_fma_f32 v3, v16, v28, -v3
	v_add_f32_e32 v1, v1, v3
	v_mul_f32_e32 v3, v19, v31
	v_fma_f32 v3, v18, v30, -v3
	v_add_f32_e32 v1, v1, v3
	v_mul_f32_e32 v3, v21, v33
	;; [unrolled: 3-line block ×7, first 2 shown]
	s_mul_i32 s1, s1, s3
	s_mul_hi_u32 s8, s0, s3
	v_fma_f32 v3, v46, v50, -v3
	s_mul_i32 s0, s0, s3
	s_add_i32 s1, s8, s1
	v_add_f32_e32 v1, v1, v3
	v_mul_f32_e32 v3, v5, v53
	s_lshl_b64 s[0:1], s[0:1], 3
	v_fma_f32 v3, v4, v52, -v3
	s_mul_hi_u32 s5, s22, s2
	s_add_u32 s3, s20, s0
	v_add_f32_e32 v1, v1, v3
	v_mul_f32_e32 v3, v7, v55
	s_addc_u32 s8, s21, s1
	s_add_i32 s0, s5, s4
	s_mul_i32 s1, s23, s2
	v_fma_f32 v3, v6, v54, -v3
	s_add_i32 s1, s0, s1
	s_mul_i32 s0, s22, s2
	v_add_f32_e32 v1, v1, v3
	v_mul_f32_e32 v3, v9, v13
	s_lshl_b64 s[0:1], s[0:1], 3
	v_fma_f32 v3, v8, v12, -v3
	s_add_u32 s0, s3, s0
	v_add_f32_e32 v1, v1, v3
	v_mul_f32_e32 v3, v11, v15
	v_mad_u64_u32 v[6:7], s[2:3], s22, v2, 0
	v_fma_f32 v3, v10, v14, -v3
	v_mov_b32_e32 v8, v7
	v_add_f32_e32 v4, v1, v3
	v_mad_u64_u32 v[2:3], s[2:3], s23, v2, v[8:9]
	s_addc_u32 s1, s8, s1
	v_mov_b32_e32 v7, v2
	v_lshl_add_u64 v[2:3], v[6:7], 3, s[0:1]
	v_mov_b32_e32 v1, 0
	v_lshl_add_u64 v[0:1], v[2:3], 0, v[0:1]
	v_pk_mul_f32 v[2:3], s[6:7], v[24:25] op_sel:[1,0] op_sel_hi:[0,0]
	v_pk_fma_f32 v[6:7], s[6:7], v[4:5], v[2:3] neg_lo:[0,0,1] neg_hi:[0,0,1]
	v_pk_fma_f32 v[2:3], s[6:7], v[4:5], v[2:3] op_sel_hi:[1,0,1]
	s_nop 0
	v_mov_b32_e32 v7, v3
	global_store_dwordx2 v[0:1], v[6:7], off
.LBB101_15:
	s_endpgm
	.section	.rodata,"a",@progbits
	.p2align	6, 0x0
	.amdhsa_kernel _ZL23rocblas_trmm_lTx_kernelILi16ELb1E19rocblas_complex_numIfES1_KS1_S1_Ev13rocblas_fill_17rocblas_diagonal_iiT2_lPT3_llS7_llPT4_lli
		.amdhsa_group_segment_fixed_size 4096
		.amdhsa_private_segment_fixed_size 0
		.amdhsa_kernarg_size 108
		.amdhsa_user_sgpr_count 2
		.amdhsa_user_sgpr_dispatch_ptr 0
		.amdhsa_user_sgpr_queue_ptr 0
		.amdhsa_user_sgpr_kernarg_segment_ptr 1
		.amdhsa_user_sgpr_dispatch_id 0
		.amdhsa_user_sgpr_kernarg_preload_length 0
		.amdhsa_user_sgpr_kernarg_preload_offset 0
		.amdhsa_user_sgpr_private_segment_size 0
		.amdhsa_uses_dynamic_stack 0
		.amdhsa_enable_private_segment 0
		.amdhsa_system_sgpr_workgroup_id_x 1
		.amdhsa_system_sgpr_workgroup_id_y 0
		.amdhsa_system_sgpr_workgroup_id_z 1
		.amdhsa_system_sgpr_workgroup_info 0
		.amdhsa_system_vgpr_workitem_id 1
		.amdhsa_next_free_vgpr 58
		.amdhsa_next_free_sgpr 30
		.amdhsa_accum_offset 60
		.amdhsa_reserve_vcc 1
		.amdhsa_float_round_mode_32 0
		.amdhsa_float_round_mode_16_64 0
		.amdhsa_float_denorm_mode_32 3
		.amdhsa_float_denorm_mode_16_64 3
		.amdhsa_dx10_clamp 1
		.amdhsa_ieee_mode 1
		.amdhsa_fp16_overflow 0
		.amdhsa_tg_split 0
		.amdhsa_exception_fp_ieee_invalid_op 0
		.amdhsa_exception_fp_denorm_src 0
		.amdhsa_exception_fp_ieee_div_zero 0
		.amdhsa_exception_fp_ieee_overflow 0
		.amdhsa_exception_fp_ieee_underflow 0
		.amdhsa_exception_fp_ieee_inexact 0
		.amdhsa_exception_int_div_zero 0
	.end_amdhsa_kernel
	.section	.text._ZL23rocblas_trmm_lTx_kernelILi16ELb1E19rocblas_complex_numIfES1_KS1_S1_Ev13rocblas_fill_17rocblas_diagonal_iiT2_lPT3_llS7_llPT4_lli,"axG",@progbits,_ZL23rocblas_trmm_lTx_kernelILi16ELb1E19rocblas_complex_numIfES1_KS1_S1_Ev13rocblas_fill_17rocblas_diagonal_iiT2_lPT3_llS7_llPT4_lli,comdat
.Lfunc_end101:
	.size	_ZL23rocblas_trmm_lTx_kernelILi16ELb1E19rocblas_complex_numIfES1_KS1_S1_Ev13rocblas_fill_17rocblas_diagonal_iiT2_lPT3_llS7_llPT4_lli, .Lfunc_end101-_ZL23rocblas_trmm_lTx_kernelILi16ELb1E19rocblas_complex_numIfES1_KS1_S1_Ev13rocblas_fill_17rocblas_diagonal_iiT2_lPT3_llS7_llPT4_lli
                                        ; -- End function
	.set _ZL23rocblas_trmm_lTx_kernelILi16ELb1E19rocblas_complex_numIfES1_KS1_S1_Ev13rocblas_fill_17rocblas_diagonal_iiT2_lPT3_llS7_llPT4_lli.num_vgpr, 58
	.set _ZL23rocblas_trmm_lTx_kernelILi16ELb1E19rocblas_complex_numIfES1_KS1_S1_Ev13rocblas_fill_17rocblas_diagonal_iiT2_lPT3_llS7_llPT4_lli.num_agpr, 0
	.set _ZL23rocblas_trmm_lTx_kernelILi16ELb1E19rocblas_complex_numIfES1_KS1_S1_Ev13rocblas_fill_17rocblas_diagonal_iiT2_lPT3_llS7_llPT4_lli.numbered_sgpr, 30
	.set _ZL23rocblas_trmm_lTx_kernelILi16ELb1E19rocblas_complex_numIfES1_KS1_S1_Ev13rocblas_fill_17rocblas_diagonal_iiT2_lPT3_llS7_llPT4_lli.num_named_barrier, 0
	.set _ZL23rocblas_trmm_lTx_kernelILi16ELb1E19rocblas_complex_numIfES1_KS1_S1_Ev13rocblas_fill_17rocblas_diagonal_iiT2_lPT3_llS7_llPT4_lli.private_seg_size, 0
	.set _ZL23rocblas_trmm_lTx_kernelILi16ELb1E19rocblas_complex_numIfES1_KS1_S1_Ev13rocblas_fill_17rocblas_diagonal_iiT2_lPT3_llS7_llPT4_lli.uses_vcc, 1
	.set _ZL23rocblas_trmm_lTx_kernelILi16ELb1E19rocblas_complex_numIfES1_KS1_S1_Ev13rocblas_fill_17rocblas_diagonal_iiT2_lPT3_llS7_llPT4_lli.uses_flat_scratch, 0
	.set _ZL23rocblas_trmm_lTx_kernelILi16ELb1E19rocblas_complex_numIfES1_KS1_S1_Ev13rocblas_fill_17rocblas_diagonal_iiT2_lPT3_llS7_llPT4_lli.has_dyn_sized_stack, 0
	.set _ZL23rocblas_trmm_lTx_kernelILi16ELb1E19rocblas_complex_numIfES1_KS1_S1_Ev13rocblas_fill_17rocblas_diagonal_iiT2_lPT3_llS7_llPT4_lli.has_recursion, 0
	.set _ZL23rocblas_trmm_lTx_kernelILi16ELb1E19rocblas_complex_numIfES1_KS1_S1_Ev13rocblas_fill_17rocblas_diagonal_iiT2_lPT3_llS7_llPT4_lli.has_indirect_call, 0
	.section	.AMDGPU.csdata,"",@progbits
; Kernel info:
; codeLenInByte = 1364
; TotalNumSgprs: 36
; NumVgprs: 58
; NumAgprs: 0
; TotalNumVgprs: 58
; ScratchSize: 0
; MemoryBound: 0
; FloatMode: 240
; IeeeMode: 1
; LDSByteSize: 4096 bytes/workgroup (compile time only)
; SGPRBlocks: 4
; VGPRBlocks: 7
; NumSGPRsForWavesPerEU: 36
; NumVGPRsForWavesPerEU: 58
; AccumOffset: 60
; Occupancy: 8
; WaveLimiterHint : 0
; COMPUTE_PGM_RSRC2:SCRATCH_EN: 0
; COMPUTE_PGM_RSRC2:USER_SGPR: 2
; COMPUTE_PGM_RSRC2:TRAP_HANDLER: 0
; COMPUTE_PGM_RSRC2:TGID_X_EN: 1
; COMPUTE_PGM_RSRC2:TGID_Y_EN: 0
; COMPUTE_PGM_RSRC2:TGID_Z_EN: 1
; COMPUTE_PGM_RSRC2:TIDIG_COMP_CNT: 1
; COMPUTE_PGM_RSRC3_GFX90A:ACCUM_OFFSET: 14
; COMPUTE_PGM_RSRC3_GFX90A:TG_SPLIT: 0
	.section	.text._ZL23rocblas_trmm_rNx_kernelILi16E19rocblas_complex_numIfEPKS1_S2_S1_Ev13rocblas_fill_17rocblas_diagonal_iiT1_lPT2_llS8_llPT3_lli,"axG",@progbits,_ZL23rocblas_trmm_rNx_kernelILi16E19rocblas_complex_numIfEPKS1_S2_S1_Ev13rocblas_fill_17rocblas_diagonal_iiT1_lPT2_llS8_llPT3_lli,comdat
	.globl	_ZL23rocblas_trmm_rNx_kernelILi16E19rocblas_complex_numIfEPKS1_S2_S1_Ev13rocblas_fill_17rocblas_diagonal_iiT1_lPT2_llS8_llPT3_lli ; -- Begin function _ZL23rocblas_trmm_rNx_kernelILi16E19rocblas_complex_numIfEPKS1_S2_S1_Ev13rocblas_fill_17rocblas_diagonal_iiT1_lPT2_llS8_llPT3_lli
	.p2align	8
	.type	_ZL23rocblas_trmm_rNx_kernelILi16E19rocblas_complex_numIfEPKS1_S2_S1_Ev13rocblas_fill_17rocblas_diagonal_iiT1_lPT2_llS8_llPT3_lli,@function
_ZL23rocblas_trmm_rNx_kernelILi16E19rocblas_complex_numIfEPKS1_S2_S1_Ev13rocblas_fill_17rocblas_diagonal_iiT1_lPT2_llS8_llPT3_lli: ; @_ZL23rocblas_trmm_rNx_kernelILi16E19rocblas_complex_numIfEPKS1_S2_S1_Ev13rocblas_fill_17rocblas_diagonal_iiT1_lPT2_llS8_llPT3_lli
; %bb.0:
	s_load_dwordx16 s[4:19], s[0:1], 0x10
	s_waitcnt lgkmcnt(0)
	s_mul_i32 s7, s7, s3
	s_mul_hi_u32 s20, s6, s3
	s_add_i32 s7, s20, s7
	s_mul_i32 s6, s6, s3
	s_lshl_b64 s[6:7], s[6:7], 3
	s_add_u32 s4, s4, s6
	s_addc_u32 s5, s5, s7
	s_load_dwordx2 s[24:25], s[4:5], 0x0
	s_waitcnt lgkmcnt(0)
	v_cmp_neq_f32_e64 s[4:5], s24, 0
	v_cmp_neq_f32_e64 s[6:7], s25, 0
	s_or_b64 s[4:5], s[4:5], s[6:7]
	s_andn2_b64 vcc, exec, s[4:5]
	s_mov_b32 s4, 0
	s_cbranch_vccnz .LBB102_15
; %bb.1:
	s_load_dwordx4 s[20:23], s[0:1], 0x0
	v_bfe_u32 v2, v0, 10, 10
	v_and_b32_e32 v5, 0x3ff, v0
	v_lshlrev_b32_e32 v3, 4, v2
	s_mov_b32 s5, s4
	v_add_lshl_u32 v4, v3, v5, 3
	v_mov_b64_e32 v[0:1], s[4:5]
	s_waitcnt lgkmcnt(0)
	v_cmp_gt_i32_e32 vcc, s23, v2
	v_cmp_gt_i32_e64 s[4:5], s23, v5
	ds_write2st64_b64 v4, v[0:1], v[0:1] offset1:4
	s_and_b64 s[6:7], vcc, s[4:5]
	v_lshlrev_b32_e32 v0, 3, v5
	s_and_saveexec_b64 s[4:5], s[6:7]
	s_cbranch_execz .LBB102_3
; %bb.2:
	s_mul_i32 s6, s13, s3
	s_mul_hi_u32 s7, s12, s3
	s_add_i32 s7, s7, s6
	s_mul_i32 s6, s12, s3
	s_lshl_b64 s[6:7], s[6:7], 3
	s_add_u32 s6, s8, s6
	s_addc_u32 s7, s9, s7
	v_mad_u64_u32 v[6:7], s[8:9], s10, v2, 0
	v_mov_b32_e32 v8, v7
	v_mad_u64_u32 v[8:9], s[8:9], s11, v2, v[8:9]
	v_mov_b32_e32 v7, v8
	v_lshl_add_u64 v[6:7], v[6:7], 3, s[6:7]
	v_mov_b32_e32 v1, 0
	v_lshl_add_u64 v[6:7], v[6:7], 0, v[0:1]
	global_load_dwordx2 v[6:7], v[6:7], off
	s_waitcnt vmcnt(0)
	ds_write_b64 v4, v[6:7]
.LBB102_3:
	s_or_b64 exec, exec, s[4:5]
	s_add_i32 s4, s22, -1
	s_ashr_i32 s5, s4, 31
	s_lshr_b32 s5, s5, 28
	s_add_i32 s4, s4, s5
	s_ashr_i32 s5, s4, 4
	s_and_b32 s4, s4, -16
	s_sub_i32 s4, s22, s4
	s_cmp_ge_i32 s2, s5
	s_cselect_b32 s4, s4, 16
	s_lshl_b32 s8, s2, 4
	v_cmp_gt_i32_e64 s[4:5], s4, v5
	s_ashr_i32 s9, s8, 31
	s_and_b64 s[4:5], vcc, s[4:5]
	s_and_saveexec_b64 s[6:7], s[4:5]
	s_cbranch_execz .LBB102_5
; %bb.4:
	s_mul_i32 s2, s19, s3
	s_mul_hi_u32 s10, s18, s3
	s_add_i32 s11, s10, s2
	s_mul_i32 s10, s18, s3
	s_lshl_b64 s[10:11], s[10:11], 3
	s_add_u32 s2, s14, s10
	s_addc_u32 s12, s15, s11
	s_lshl_b64 s[10:11], s[8:9], 3
	s_add_u32 s10, s2, s10
	s_addc_u32 s11, s12, s11
	v_mad_u64_u32 v[6:7], s[12:13], s16, v2, 0
	v_mov_b32_e32 v8, v7
	v_mad_u64_u32 v[8:9], s[12:13], s17, v2, v[8:9]
	v_mov_b32_e32 v7, v8
	v_lshl_add_u64 v[6:7], v[6:7], 3, s[10:11]
	v_mov_b32_e32 v1, 0
	v_lshl_add_u64 v[6:7], v[6:7], 0, v[0:1]
	global_load_dwordx2 v[6:7], v[6:7], off
	v_add_u32_e32 v1, 0x800, v4
	s_waitcnt vmcnt(0)
	ds_write_b64 v1, v[6:7]
.LBB102_5:
	s_or_b64 exec, exec, s[6:7]
	s_cmpk_eq_i32 s21, 0x84
	s_cselect_b64 s[6:7], -1, 0
	v_cmp_eq_u32_e32 vcc, v2, v5
	s_and_b64 s[10:11], vcc, s[6:7]
	s_and_saveexec_b64 s[6:7], s[10:11]
; %bb.6:
	v_mov_b32_e32 v6, 1.0
	v_mov_b32_e32 v7, 0
	ds_write_b64 v4, v[6:7]
; %bb.7:
	s_or_b64 exec, exec, s[6:7]
	s_cmpk_lg_i32 s20, 0x79
	s_cbranch_scc0 .LBB102_9
; %bb.8:
	v_cmp_lt_u32_e32 vcc, v5, v2
	s_and_b64 s[6:7], vcc, exec
	s_cbranch_execz .LBB102_10
	s_branch .LBB102_11
.LBB102_9:
	s_mov_b64 s[6:7], 0
.LBB102_10:
	v_cmp_gt_u32_e32 vcc, v5, v2
	s_andn2_b64 s[6:7], s[6:7], exec
	s_and_b64 s[10:11], vcc, exec
	s_or_b64 s[6:7], s[6:7], s[10:11]
.LBB102_11:
	s_and_saveexec_b64 s[10:11], s[6:7]
; %bb.12:
	v_mov_b32_e32 v6, 0
	v_mov_b32_e32 v7, v6
	ds_write_b64 v4, v[6:7]
; %bb.13:
	s_or_b64 exec, exec, s[10:11]
	s_waitcnt lgkmcnt(0)
	s_barrier
	s_and_saveexec_b64 s[6:7], s[4:5]
	s_cbranch_execz .LBB102_15
; %bb.14:
	v_lshlrev_b32_e32 v1, 3, v3
	v_add_u32_e32 v3, 0x800, v0
	s_load_dwordx2 s[10:11], s[0:1], 0x60
	s_load_dwordx4 s[4:7], s[0:1], 0x50
	ds_read_b128 v[4:7], v1
	ds_read2_b64 v[8:11], v3 offset1:16
	ds_read_b128 v[12:15], v1 offset:16
	ds_read_b128 v[16:19], v1 offset:32
	;; [unrolled: 1-line block ×3, first 2 shown]
	ds_read2_b64 v[24:27], v3 offset0:32 offset1:48
	s_waitcnt lgkmcnt(0)
	s_mul_i32 s1, s11, s3
	s_mul_hi_u32 s2, s10, s3
	v_mul_f32_e32 v28, v4, v9
	v_fmac_f32_e32 v28, v5, v8
	v_mul_f32_e32 v29, v6, v11
	v_add_f32_e32 v28, 0, v28
	v_fmac_f32_e32 v29, v7, v10
	v_add_f32_e32 v32, v28, v29
	v_mul_f32_e32 v33, v12, v25
	ds_read2_b64 v[28:31], v3 offset0:64 offset1:80
	v_fmac_f32_e32 v33, v13, v24
	v_add_f32_e32 v32, v32, v33
	v_mul_f32_e32 v33, v14, v27
	v_fmac_f32_e32 v33, v15, v26
	v_add_f32_e32 v36, v32, v33
	ds_read2_b64 v[32:35], v3 offset0:96 offset1:112
	s_waitcnt lgkmcnt(1)
	v_mul_f32_e32 v37, v16, v29
	v_fmac_f32_e32 v37, v17, v28
	v_add_f32_e32 v36, v36, v37
	v_mul_f32_e32 v37, v18, v31
	v_fmac_f32_e32 v37, v19, v30
	v_add_f32_e32 v36, v36, v37
	s_waitcnt lgkmcnt(0)
	v_mul_f32_e32 v37, v20, v33
	v_fmac_f32_e32 v37, v21, v32
	v_add_f32_e32 v44, v36, v37
	ds_read_b128 v[36:39], v1 offset:64
	ds_read2_b64 v[40:43], v3 offset0:128 offset1:144
	v_mul_f32_e32 v45, v22, v35
	v_fmac_f32_e32 v45, v23, v34
	v_add_f32_e32 v52, v44, v45
	ds_read_b128 v[44:47], v1 offset:80
	ds_read2_b64 v[48:51], v3 offset0:160 offset1:176
	s_waitcnt lgkmcnt(2)
	v_mul_f32_e32 v53, v36, v41
	v_fmac_f32_e32 v53, v37, v40
	v_mul_f32_e32 v5, v5, v9
	v_add_f32_e32 v52, v52, v53
	v_mul_f32_e32 v53, v38, v43
	v_fma_f32 v57, v4, v8, -v5
	v_mul_f32_e32 v8, v13, v25
	v_fmac_f32_e32 v53, v39, v42
	v_mul_f32_e32 v4, v7, v11
	v_fma_f32 v25, v12, v24, -v8
	v_mul_f32_e32 v8, v15, v27
	v_add_f32_e32 v52, v52, v53
	v_fma_f32 v58, v6, v10, -v4
	v_fma_f32 v26, v14, v26, -v8
	ds_read_b128 v[8:11], v1 offset:112
	s_waitcnt lgkmcnt(1)
	v_mul_f32_e32 v53, v44, v49
	v_fmac_f32_e32 v53, v45, v48
	v_add_f32_e32 v52, v52, v53
	v_mul_f32_e32 v53, v46, v51
	v_fmac_f32_e32 v53, v47, v50
	v_add_f32_e32 v56, v52, v53
	ds_read_b128 v[52:55], v1 offset:96
	ds_read2_b64 v[4:7], v3 offset0:192 offset1:208
	ds_read2_b64 v[12:15], v3 offset0:224 offset1:240
	s_mul_i32 s0, s10, s3
	s_add_i32 s1, s2, s1
	s_lshl_b64 s[0:1], s[0:1], 3
	s_waitcnt lgkmcnt(1)
	v_mul_f32_e32 v1, v52, v5
	v_fmac_f32_e32 v1, v53, v4
	v_mul_f32_e32 v3, v54, v7
	v_add_f32_e32 v1, v56, v1
	v_fmac_f32_e32 v3, v55, v6
	v_add_f32_e32 v1, v1, v3
	s_waitcnt lgkmcnt(0)
	v_mul_f32_e32 v3, v8, v13
	v_fmac_f32_e32 v3, v9, v12
	v_add_f32_e32 v1, v1, v3
	v_mul_f32_e32 v3, v10, v15
	v_fmac_f32_e32 v3, v11, v14
	v_add_f32_e32 v24, v1, v3
	v_add_f32_e32 v1, 0, v57
	;; [unrolled: 1-line block ×4, first 2 shown]
	v_mul_f32_e32 v3, v17, v29
	v_add_f32_e32 v1, v1, v26
	v_fma_f32 v3, v16, v28, -v3
	v_add_f32_e32 v1, v1, v3
	v_mul_f32_e32 v3, v19, v31
	v_fma_f32 v3, v18, v30, -v3
	v_add_f32_e32 v1, v1, v3
	v_mul_f32_e32 v3, v21, v33
	;; [unrolled: 3-line block ×9, first 2 shown]
	s_add_u32 s2, s4, s0
	v_fma_f32 v3, v54, v6, -v3
	s_addc_u32 s3, s5, s1
	s_lshl_b64 s[0:1], s[8:9], 3
	v_add_f32_e32 v1, v1, v3
	v_mul_f32_e32 v3, v9, v13
	s_add_u32 s0, s2, s0
	v_fma_f32 v3, v8, v12, -v3
	s_addc_u32 s1, s3, s1
	v_add_f32_e32 v1, v1, v3
	v_mul_f32_e32 v3, v11, v15
	v_mad_u64_u32 v[6:7], s[2:3], s6, v2, 0
	v_fma_f32 v3, v10, v14, -v3
	v_mov_b32_e32 v8, v7
	v_add_f32_e32 v4, v1, v3
	v_mad_u64_u32 v[2:3], s[2:3], s7, v2, v[8:9]
	v_mov_b32_e32 v7, v2
	v_lshl_add_u64 v[2:3], v[6:7], 3, s[0:1]
	v_mov_b32_e32 v1, 0
	v_lshl_add_u64 v[0:1], v[2:3], 0, v[0:1]
	v_pk_mul_f32 v[2:3], s[24:25], v[24:25] op_sel:[1,0] op_sel_hi:[0,0]
	v_pk_fma_f32 v[6:7], s[24:25], v[4:5], v[2:3] neg_lo:[0,0,1] neg_hi:[0,0,1]
	v_pk_fma_f32 v[2:3], s[24:25], v[4:5], v[2:3] op_sel_hi:[1,0,1]
	s_nop 0
	v_mov_b32_e32 v7, v3
	global_store_dwordx2 v[0:1], v[6:7], off
.LBB102_15:
	s_endpgm
	.section	.rodata,"a",@progbits
	.p2align	6, 0x0
	.amdhsa_kernel _ZL23rocblas_trmm_rNx_kernelILi16E19rocblas_complex_numIfEPKS1_S2_S1_Ev13rocblas_fill_17rocblas_diagonal_iiT1_lPT2_llS8_llPT3_lli
		.amdhsa_group_segment_fixed_size 4096
		.amdhsa_private_segment_fixed_size 0
		.amdhsa_kernarg_size 108
		.amdhsa_user_sgpr_count 2
		.amdhsa_user_sgpr_dispatch_ptr 0
		.amdhsa_user_sgpr_queue_ptr 0
		.amdhsa_user_sgpr_kernarg_segment_ptr 1
		.amdhsa_user_sgpr_dispatch_id 0
		.amdhsa_user_sgpr_kernarg_preload_length 0
		.amdhsa_user_sgpr_kernarg_preload_offset 0
		.amdhsa_user_sgpr_private_segment_size 0
		.amdhsa_uses_dynamic_stack 0
		.amdhsa_enable_private_segment 0
		.amdhsa_system_sgpr_workgroup_id_x 1
		.amdhsa_system_sgpr_workgroup_id_y 0
		.amdhsa_system_sgpr_workgroup_id_z 1
		.amdhsa_system_sgpr_workgroup_info 0
		.amdhsa_system_vgpr_workitem_id 1
		.amdhsa_next_free_vgpr 59
		.amdhsa_next_free_sgpr 26
		.amdhsa_accum_offset 60
		.amdhsa_reserve_vcc 1
		.amdhsa_float_round_mode_32 0
		.amdhsa_float_round_mode_16_64 0
		.amdhsa_float_denorm_mode_32 3
		.amdhsa_float_denorm_mode_16_64 3
		.amdhsa_dx10_clamp 1
		.amdhsa_ieee_mode 1
		.amdhsa_fp16_overflow 0
		.amdhsa_tg_split 0
		.amdhsa_exception_fp_ieee_invalid_op 0
		.amdhsa_exception_fp_denorm_src 0
		.amdhsa_exception_fp_ieee_div_zero 0
		.amdhsa_exception_fp_ieee_overflow 0
		.amdhsa_exception_fp_ieee_underflow 0
		.amdhsa_exception_fp_ieee_inexact 0
		.amdhsa_exception_int_div_zero 0
	.end_amdhsa_kernel
	.section	.text._ZL23rocblas_trmm_rNx_kernelILi16E19rocblas_complex_numIfEPKS1_S2_S1_Ev13rocblas_fill_17rocblas_diagonal_iiT1_lPT2_llS8_llPT3_lli,"axG",@progbits,_ZL23rocblas_trmm_rNx_kernelILi16E19rocblas_complex_numIfEPKS1_S2_S1_Ev13rocblas_fill_17rocblas_diagonal_iiT1_lPT2_llS8_llPT3_lli,comdat
.Lfunc_end102:
	.size	_ZL23rocblas_trmm_rNx_kernelILi16E19rocblas_complex_numIfEPKS1_S2_S1_Ev13rocblas_fill_17rocblas_diagonal_iiT1_lPT2_llS8_llPT3_lli, .Lfunc_end102-_ZL23rocblas_trmm_rNx_kernelILi16E19rocblas_complex_numIfEPKS1_S2_S1_Ev13rocblas_fill_17rocblas_diagonal_iiT1_lPT2_llS8_llPT3_lli
                                        ; -- End function
	.set _ZL23rocblas_trmm_rNx_kernelILi16E19rocblas_complex_numIfEPKS1_S2_S1_Ev13rocblas_fill_17rocblas_diagonal_iiT1_lPT2_llS8_llPT3_lli.num_vgpr, 59
	.set _ZL23rocblas_trmm_rNx_kernelILi16E19rocblas_complex_numIfEPKS1_S2_S1_Ev13rocblas_fill_17rocblas_diagonal_iiT1_lPT2_llS8_llPT3_lli.num_agpr, 0
	.set _ZL23rocblas_trmm_rNx_kernelILi16E19rocblas_complex_numIfEPKS1_S2_S1_Ev13rocblas_fill_17rocblas_diagonal_iiT1_lPT2_llS8_llPT3_lli.numbered_sgpr, 26
	.set _ZL23rocblas_trmm_rNx_kernelILi16E19rocblas_complex_numIfEPKS1_S2_S1_Ev13rocblas_fill_17rocblas_diagonal_iiT1_lPT2_llS8_llPT3_lli.num_named_barrier, 0
	.set _ZL23rocblas_trmm_rNx_kernelILi16E19rocblas_complex_numIfEPKS1_S2_S1_Ev13rocblas_fill_17rocblas_diagonal_iiT1_lPT2_llS8_llPT3_lli.private_seg_size, 0
	.set _ZL23rocblas_trmm_rNx_kernelILi16E19rocblas_complex_numIfEPKS1_S2_S1_Ev13rocblas_fill_17rocblas_diagonal_iiT1_lPT2_llS8_llPT3_lli.uses_vcc, 1
	.set _ZL23rocblas_trmm_rNx_kernelILi16E19rocblas_complex_numIfEPKS1_S2_S1_Ev13rocblas_fill_17rocblas_diagonal_iiT1_lPT2_llS8_llPT3_lli.uses_flat_scratch, 0
	.set _ZL23rocblas_trmm_rNx_kernelILi16E19rocblas_complex_numIfEPKS1_S2_S1_Ev13rocblas_fill_17rocblas_diagonal_iiT1_lPT2_llS8_llPT3_lli.has_dyn_sized_stack, 0
	.set _ZL23rocblas_trmm_rNx_kernelILi16E19rocblas_complex_numIfEPKS1_S2_S1_Ev13rocblas_fill_17rocblas_diagonal_iiT1_lPT2_llS8_llPT3_lli.has_recursion, 0
	.set _ZL23rocblas_trmm_rNx_kernelILi16E19rocblas_complex_numIfEPKS1_S2_S1_Ev13rocblas_fill_17rocblas_diagonal_iiT1_lPT2_llS8_llPT3_lli.has_indirect_call, 0
	.section	.AMDGPU.csdata,"",@progbits
; Kernel info:
; codeLenInByte = 1328
; TotalNumSgprs: 32
; NumVgprs: 59
; NumAgprs: 0
; TotalNumVgprs: 59
; ScratchSize: 0
; MemoryBound: 0
; FloatMode: 240
; IeeeMode: 1
; LDSByteSize: 4096 bytes/workgroup (compile time only)
; SGPRBlocks: 3
; VGPRBlocks: 7
; NumSGPRsForWavesPerEU: 32
; NumVGPRsForWavesPerEU: 59
; AccumOffset: 60
; Occupancy: 8
; WaveLimiterHint : 0
; COMPUTE_PGM_RSRC2:SCRATCH_EN: 0
; COMPUTE_PGM_RSRC2:USER_SGPR: 2
; COMPUTE_PGM_RSRC2:TRAP_HANDLER: 0
; COMPUTE_PGM_RSRC2:TGID_X_EN: 1
; COMPUTE_PGM_RSRC2:TGID_Y_EN: 0
; COMPUTE_PGM_RSRC2:TGID_Z_EN: 1
; COMPUTE_PGM_RSRC2:TIDIG_COMP_CNT: 1
; COMPUTE_PGM_RSRC3_GFX90A:ACCUM_OFFSET: 14
; COMPUTE_PGM_RSRC3_GFX90A:TG_SPLIT: 0
	.section	.text._ZL23rocblas_trmm_rNx_kernelILi16E19rocblas_complex_numIfES1_KS1_S1_Ev13rocblas_fill_17rocblas_diagonal_iiT1_lPT2_llS7_llPT3_lli,"axG",@progbits,_ZL23rocblas_trmm_rNx_kernelILi16E19rocblas_complex_numIfES1_KS1_S1_Ev13rocblas_fill_17rocblas_diagonal_iiT1_lPT2_llS7_llPT3_lli,comdat
	.globl	_ZL23rocblas_trmm_rNx_kernelILi16E19rocblas_complex_numIfES1_KS1_S1_Ev13rocblas_fill_17rocblas_diagonal_iiT1_lPT2_llS7_llPT3_lli ; -- Begin function _ZL23rocblas_trmm_rNx_kernelILi16E19rocblas_complex_numIfES1_KS1_S1_Ev13rocblas_fill_17rocblas_diagonal_iiT1_lPT2_llS7_llPT3_lli
	.p2align	8
	.type	_ZL23rocblas_trmm_rNx_kernelILi16E19rocblas_complex_numIfES1_KS1_S1_Ev13rocblas_fill_17rocblas_diagonal_iiT1_lPT2_llS7_llPT3_lli,@function
_ZL23rocblas_trmm_rNx_kernelILi16E19rocblas_complex_numIfES1_KS1_S1_Ev13rocblas_fill_17rocblas_diagonal_iiT1_lPT2_llS7_llPT3_lli: ; @_ZL23rocblas_trmm_rNx_kernelILi16E19rocblas_complex_numIfES1_KS1_S1_Ev13rocblas_fill_17rocblas_diagonal_iiT1_lPT2_llS7_llPT3_lli
; %bb.0:
	s_load_dwordx2 s[6:7], s[0:1], 0x10
	s_waitcnt lgkmcnt(0)
	v_cmp_neq_f32_e64 s[4:5], s6, 0
	v_cmp_neq_f32_e64 s[8:9], s7, 0
	s_or_b64 s[4:5], s[4:5], s[8:9]
	s_andn2_b64 vcc, exec, s[4:5]
	s_mov_b32 s4, 0
	s_cbranch_vccnz .LBB103_15
; %bb.1:
	s_load_dwordx4 s[24:27], s[0:1], 0x0
	s_load_dwordx16 s[8:23], s[0:1], 0x20
	v_bfe_u32 v2, v0, 10, 10
	v_and_b32_e32 v5, 0x3ff, v0
	v_lshlrev_b32_e32 v3, 4, v2
	s_mov_b32 s5, s4
	v_add_lshl_u32 v4, v3, v5, 3
	v_mov_b64_e32 v[0:1], s[4:5]
	s_waitcnt lgkmcnt(0)
	v_cmp_gt_i32_e32 vcc, s27, v2
	v_cmp_gt_i32_e64 s[4:5], s27, v5
	ds_write2st64_b64 v4, v[0:1], v[0:1] offset1:4
	s_and_b64 s[28:29], vcc, s[4:5]
	v_lshlrev_b32_e32 v0, 3, v5
	s_and_saveexec_b64 s[4:5], s[28:29]
	s_cbranch_execz .LBB103_3
; %bb.2:
	s_mul_i32 s13, s13, s3
	s_mul_hi_u32 s27, s12, s3
	s_add_i32 s13, s27, s13
	s_mul_i32 s12, s12, s3
	s_lshl_b64 s[12:13], s[12:13], 3
	s_add_u32 s8, s8, s12
	s_addc_u32 s9, s9, s13
	v_mad_u64_u32 v[6:7], s[12:13], s10, v2, 0
	v_mov_b32_e32 v8, v7
	v_mad_u64_u32 v[8:9], s[10:11], s11, v2, v[8:9]
	v_mov_b32_e32 v7, v8
	v_lshl_add_u64 v[6:7], v[6:7], 3, s[8:9]
	v_mov_b32_e32 v1, 0
	v_lshl_add_u64 v[6:7], v[6:7], 0, v[0:1]
	global_load_dwordx2 v[6:7], v[6:7], off
	s_waitcnt vmcnt(0)
	ds_write_b64 v4, v[6:7]
.LBB103_3:
	s_or_b64 exec, exec, s[4:5]
	s_add_i32 s4, s26, -1
	s_ashr_i32 s5, s4, 31
	s_lshr_b32 s5, s5, 28
	s_add_i32 s4, s4, s5
	s_ashr_i32 s5, s4, 4
	s_and_b32 s4, s4, -16
	s_sub_i32 s4, s26, s4
	s_cmp_ge_i32 s2, s5
	s_cselect_b32 s4, s4, 16
	s_lshl_b32 s8, s2, 4
	v_cmp_gt_i32_e64 s[4:5], s4, v5
	s_ashr_i32 s9, s8, 31
	s_and_b64 s[4:5], vcc, s[4:5]
	s_and_saveexec_b64 s[10:11], s[4:5]
	s_cbranch_execz .LBB103_5
; %bb.4:
	s_mul_i32 s2, s19, s3
	s_mul_hi_u32 s12, s18, s3
	s_add_i32 s13, s12, s2
	s_mul_i32 s12, s18, s3
	s_lshl_b64 s[12:13], s[12:13], 3
	s_add_u32 s2, s14, s12
	s_addc_u32 s14, s15, s13
	s_lshl_b64 s[12:13], s[8:9], 3
	s_add_u32 s12, s2, s12
	s_addc_u32 s13, s14, s13
	v_mad_u64_u32 v[6:7], s[14:15], s16, v2, 0
	v_mov_b32_e32 v8, v7
	v_mad_u64_u32 v[8:9], s[14:15], s17, v2, v[8:9]
	v_mov_b32_e32 v7, v8
	v_lshl_add_u64 v[6:7], v[6:7], 3, s[12:13]
	v_mov_b32_e32 v1, 0
	v_lshl_add_u64 v[6:7], v[6:7], 0, v[0:1]
	global_load_dwordx2 v[6:7], v[6:7], off
	v_add_u32_e32 v1, 0x800, v4
	s_waitcnt vmcnt(0)
	ds_write_b64 v1, v[6:7]
.LBB103_5:
	s_or_b64 exec, exec, s[10:11]
	s_cmpk_eq_i32 s25, 0x84
	s_cselect_b64 s[10:11], -1, 0
	v_cmp_eq_u32_e32 vcc, v2, v5
	s_and_b64 s[12:13], vcc, s[10:11]
	s_and_saveexec_b64 s[10:11], s[12:13]
; %bb.6:
	v_mov_b32_e32 v6, 1.0
	v_mov_b32_e32 v7, 0
	ds_write_b64 v4, v[6:7]
; %bb.7:
	s_or_b64 exec, exec, s[10:11]
	s_cmpk_lg_i32 s24, 0x79
	s_cbranch_scc0 .LBB103_9
; %bb.8:
	v_cmp_lt_u32_e32 vcc, v5, v2
	s_and_b64 s[10:11], vcc, exec
	s_cbranch_execz .LBB103_10
	s_branch .LBB103_11
.LBB103_9:
	s_mov_b64 s[10:11], 0
.LBB103_10:
	v_cmp_gt_u32_e32 vcc, v5, v2
	s_andn2_b64 s[10:11], s[10:11], exec
	s_and_b64 s[12:13], vcc, exec
	s_or_b64 s[10:11], s[10:11], s[12:13]
.LBB103_11:
	s_and_saveexec_b64 s[12:13], s[10:11]
; %bb.12:
	v_mov_b32_e32 v6, 0
	v_mov_b32_e32 v7, v6
	ds_write_b64 v4, v[6:7]
; %bb.13:
	s_or_b64 exec, exec, s[12:13]
	s_waitcnt lgkmcnt(0)
	s_barrier
	s_and_saveexec_b64 s[10:11], s[4:5]
	s_cbranch_execz .LBB103_15
; %bb.14:
	v_lshlrev_b32_e32 v1, 3, v3
	v_add_u32_e32 v3, 0x800, v0
	ds_read_b128 v[4:7], v1
	ds_read2_b64 v[8:11], v3 offset1:16
	ds_read_b128 v[12:15], v1 offset:16
	ds_read_b128 v[16:19], v1 offset:32
	;; [unrolled: 1-line block ×3, first 2 shown]
	ds_read2_b64 v[24:27], v3 offset0:32 offset1:48
	s_load_dwordx2 s[0:1], s[0:1], 0x60
	s_waitcnt lgkmcnt(0)
	v_mul_f32_e32 v28, v4, v9
	v_fmac_f32_e32 v28, v5, v8
	v_mul_f32_e32 v29, v6, v11
	v_add_f32_e32 v28, 0, v28
	v_fmac_f32_e32 v29, v7, v10
	v_add_f32_e32 v32, v28, v29
	v_mul_f32_e32 v33, v12, v25
	ds_read2_b64 v[28:31], v3 offset0:64 offset1:80
	v_fmac_f32_e32 v33, v13, v24
	v_add_f32_e32 v32, v32, v33
	v_mul_f32_e32 v33, v14, v27
	v_fmac_f32_e32 v33, v15, v26
	v_add_f32_e32 v36, v32, v33
	ds_read2_b64 v[32:35], v3 offset0:96 offset1:112
	s_waitcnt lgkmcnt(1)
	v_mul_f32_e32 v37, v16, v29
	v_fmac_f32_e32 v37, v17, v28
	v_add_f32_e32 v36, v36, v37
	v_mul_f32_e32 v37, v18, v31
	v_fmac_f32_e32 v37, v19, v30
	v_add_f32_e32 v36, v36, v37
	s_waitcnt lgkmcnt(0)
	v_mul_f32_e32 v37, v20, v33
	v_fmac_f32_e32 v37, v21, v32
	v_add_f32_e32 v44, v36, v37
	ds_read_b128 v[36:39], v1 offset:64
	ds_read2_b64 v[40:43], v3 offset0:128 offset1:144
	v_mul_f32_e32 v45, v22, v35
	v_fmac_f32_e32 v45, v23, v34
	v_add_f32_e32 v52, v44, v45
	ds_read_b128 v[44:47], v1 offset:80
	ds_read2_b64 v[48:51], v3 offset0:160 offset1:176
	s_waitcnt lgkmcnt(2)
	v_mul_f32_e32 v53, v36, v41
	v_fmac_f32_e32 v53, v37, v40
	v_mul_f32_e32 v5, v5, v9
	v_add_f32_e32 v52, v52, v53
	v_mul_f32_e32 v53, v38, v43
	v_fma_f32 v57, v4, v8, -v5
	v_mul_f32_e32 v8, v13, v25
	v_fmac_f32_e32 v53, v39, v42
	v_mul_f32_e32 v4, v7, v11
	v_fma_f32 v25, v12, v24, -v8
	v_mul_f32_e32 v8, v15, v27
	v_add_f32_e32 v52, v52, v53
	v_fma_f32 v58, v6, v10, -v4
	v_fma_f32 v26, v14, v26, -v8
	ds_read_b128 v[8:11], v1 offset:112
	s_waitcnt lgkmcnt(1)
	v_mul_f32_e32 v53, v44, v49
	v_fmac_f32_e32 v53, v45, v48
	v_add_f32_e32 v52, v52, v53
	v_mul_f32_e32 v53, v46, v51
	v_fmac_f32_e32 v53, v47, v50
	v_add_f32_e32 v56, v52, v53
	ds_read_b128 v[52:55], v1 offset:96
	ds_read2_b64 v[4:7], v3 offset0:192 offset1:208
	ds_read2_b64 v[12:15], v3 offset0:224 offset1:240
	s_mul_i32 s1, s1, s3
	s_mul_hi_u32 s2, s0, s3
	s_mul_i32 s0, s0, s3
	s_waitcnt lgkmcnt(1)
	v_mul_f32_e32 v1, v52, v5
	v_fmac_f32_e32 v1, v53, v4
	v_mul_f32_e32 v3, v54, v7
	v_add_f32_e32 v1, v56, v1
	v_fmac_f32_e32 v3, v55, v6
	v_add_f32_e32 v1, v1, v3
	s_waitcnt lgkmcnt(0)
	v_mul_f32_e32 v3, v8, v13
	v_fmac_f32_e32 v3, v9, v12
	v_add_f32_e32 v1, v1, v3
	v_mul_f32_e32 v3, v10, v15
	v_fmac_f32_e32 v3, v11, v14
	v_add_f32_e32 v24, v1, v3
	v_add_f32_e32 v1, 0, v57
	;; [unrolled: 1-line block ×4, first 2 shown]
	v_mul_f32_e32 v3, v17, v29
	v_add_f32_e32 v1, v1, v26
	v_fma_f32 v3, v16, v28, -v3
	v_add_f32_e32 v1, v1, v3
	v_mul_f32_e32 v3, v19, v31
	v_fma_f32 v3, v18, v30, -v3
	v_add_f32_e32 v1, v1, v3
	v_mul_f32_e32 v3, v21, v33
	;; [unrolled: 3-line block ×8, first 2 shown]
	s_add_i32 s1, s2, s1
	v_fma_f32 v3, v52, v4, -v3
	s_lshl_b64 s[0:1], s[0:1], 3
	v_add_f32_e32 v1, v1, v3
	v_mul_f32_e32 v3, v55, v7
	s_add_u32 s2, s20, s0
	v_fma_f32 v3, v54, v6, -v3
	s_addc_u32 s3, s21, s1
	s_lshl_b64 s[0:1], s[8:9], 3
	v_add_f32_e32 v1, v1, v3
	v_mul_f32_e32 v3, v9, v13
	s_add_u32 s0, s2, s0
	v_fma_f32 v3, v8, v12, -v3
	s_addc_u32 s1, s3, s1
	v_add_f32_e32 v1, v1, v3
	v_mul_f32_e32 v3, v11, v15
	v_mad_u64_u32 v[6:7], s[2:3], s22, v2, 0
	v_fma_f32 v3, v10, v14, -v3
	v_mov_b32_e32 v8, v7
	v_add_f32_e32 v4, v1, v3
	v_mad_u64_u32 v[2:3], s[2:3], s23, v2, v[8:9]
	v_mov_b32_e32 v7, v2
	v_lshl_add_u64 v[2:3], v[6:7], 3, s[0:1]
	v_mov_b32_e32 v1, 0
	v_lshl_add_u64 v[0:1], v[2:3], 0, v[0:1]
	v_pk_mul_f32 v[2:3], s[6:7], v[24:25] op_sel:[1,0] op_sel_hi:[0,0]
	v_pk_fma_f32 v[6:7], s[6:7], v[4:5], v[2:3] neg_lo:[0,0,1] neg_hi:[0,0,1]
	v_pk_fma_f32 v[2:3], s[6:7], v[4:5], v[2:3] op_sel_hi:[1,0,1]
	s_nop 0
	v_mov_b32_e32 v7, v3
	global_store_dwordx2 v[0:1], v[6:7], off
.LBB103_15:
	s_endpgm
	.section	.rodata,"a",@progbits
	.p2align	6, 0x0
	.amdhsa_kernel _ZL23rocblas_trmm_rNx_kernelILi16E19rocblas_complex_numIfES1_KS1_S1_Ev13rocblas_fill_17rocblas_diagonal_iiT1_lPT2_llS7_llPT3_lli
		.amdhsa_group_segment_fixed_size 4096
		.amdhsa_private_segment_fixed_size 0
		.amdhsa_kernarg_size 108
		.amdhsa_user_sgpr_count 2
		.amdhsa_user_sgpr_dispatch_ptr 0
		.amdhsa_user_sgpr_queue_ptr 0
		.amdhsa_user_sgpr_kernarg_segment_ptr 1
		.amdhsa_user_sgpr_dispatch_id 0
		.amdhsa_user_sgpr_kernarg_preload_length 0
		.amdhsa_user_sgpr_kernarg_preload_offset 0
		.amdhsa_user_sgpr_private_segment_size 0
		.amdhsa_uses_dynamic_stack 0
		.amdhsa_enable_private_segment 0
		.amdhsa_system_sgpr_workgroup_id_x 1
		.amdhsa_system_sgpr_workgroup_id_y 0
		.amdhsa_system_sgpr_workgroup_id_z 1
		.amdhsa_system_sgpr_workgroup_info 0
		.amdhsa_system_vgpr_workitem_id 1
		.amdhsa_next_free_vgpr 59
		.amdhsa_next_free_sgpr 30
		.amdhsa_accum_offset 60
		.amdhsa_reserve_vcc 1
		.amdhsa_float_round_mode_32 0
		.amdhsa_float_round_mode_16_64 0
		.amdhsa_float_denorm_mode_32 3
		.amdhsa_float_denorm_mode_16_64 3
		.amdhsa_dx10_clamp 1
		.amdhsa_ieee_mode 1
		.amdhsa_fp16_overflow 0
		.amdhsa_tg_split 0
		.amdhsa_exception_fp_ieee_invalid_op 0
		.amdhsa_exception_fp_denorm_src 0
		.amdhsa_exception_fp_ieee_div_zero 0
		.amdhsa_exception_fp_ieee_overflow 0
		.amdhsa_exception_fp_ieee_underflow 0
		.amdhsa_exception_fp_ieee_inexact 0
		.amdhsa_exception_int_div_zero 0
	.end_amdhsa_kernel
	.section	.text._ZL23rocblas_trmm_rNx_kernelILi16E19rocblas_complex_numIfES1_KS1_S1_Ev13rocblas_fill_17rocblas_diagonal_iiT1_lPT2_llS7_llPT3_lli,"axG",@progbits,_ZL23rocblas_trmm_rNx_kernelILi16E19rocblas_complex_numIfES1_KS1_S1_Ev13rocblas_fill_17rocblas_diagonal_iiT1_lPT2_llS7_llPT3_lli,comdat
.Lfunc_end103:
	.size	_ZL23rocblas_trmm_rNx_kernelILi16E19rocblas_complex_numIfES1_KS1_S1_Ev13rocblas_fill_17rocblas_diagonal_iiT1_lPT2_llS7_llPT3_lli, .Lfunc_end103-_ZL23rocblas_trmm_rNx_kernelILi16E19rocblas_complex_numIfES1_KS1_S1_Ev13rocblas_fill_17rocblas_diagonal_iiT1_lPT2_llS7_llPT3_lli
                                        ; -- End function
	.set _ZL23rocblas_trmm_rNx_kernelILi16E19rocblas_complex_numIfES1_KS1_S1_Ev13rocblas_fill_17rocblas_diagonal_iiT1_lPT2_llS7_llPT3_lli.num_vgpr, 59
	.set _ZL23rocblas_trmm_rNx_kernelILi16E19rocblas_complex_numIfES1_KS1_S1_Ev13rocblas_fill_17rocblas_diagonal_iiT1_lPT2_llS7_llPT3_lli.num_agpr, 0
	.set _ZL23rocblas_trmm_rNx_kernelILi16E19rocblas_complex_numIfES1_KS1_S1_Ev13rocblas_fill_17rocblas_diagonal_iiT1_lPT2_llS7_llPT3_lli.numbered_sgpr, 30
	.set _ZL23rocblas_trmm_rNx_kernelILi16E19rocblas_complex_numIfES1_KS1_S1_Ev13rocblas_fill_17rocblas_diagonal_iiT1_lPT2_llS7_llPT3_lli.num_named_barrier, 0
	.set _ZL23rocblas_trmm_rNx_kernelILi16E19rocblas_complex_numIfES1_KS1_S1_Ev13rocblas_fill_17rocblas_diagonal_iiT1_lPT2_llS7_llPT3_lli.private_seg_size, 0
	.set _ZL23rocblas_trmm_rNx_kernelILi16E19rocblas_complex_numIfES1_KS1_S1_Ev13rocblas_fill_17rocblas_diagonal_iiT1_lPT2_llS7_llPT3_lli.uses_vcc, 1
	.set _ZL23rocblas_trmm_rNx_kernelILi16E19rocblas_complex_numIfES1_KS1_S1_Ev13rocblas_fill_17rocblas_diagonal_iiT1_lPT2_llS7_llPT3_lli.uses_flat_scratch, 0
	.set _ZL23rocblas_trmm_rNx_kernelILi16E19rocblas_complex_numIfES1_KS1_S1_Ev13rocblas_fill_17rocblas_diagonal_iiT1_lPT2_llS7_llPT3_lli.has_dyn_sized_stack, 0
	.set _ZL23rocblas_trmm_rNx_kernelILi16E19rocblas_complex_numIfES1_KS1_S1_Ev13rocblas_fill_17rocblas_diagonal_iiT1_lPT2_llS7_llPT3_lli.has_recursion, 0
	.set _ZL23rocblas_trmm_rNx_kernelILi16E19rocblas_complex_numIfES1_KS1_S1_Ev13rocblas_fill_17rocblas_diagonal_iiT1_lPT2_llS7_llPT3_lli.has_indirect_call, 0
	.section	.AMDGPU.csdata,"",@progbits
; Kernel info:
; codeLenInByte = 1288
; TotalNumSgprs: 36
; NumVgprs: 59
; NumAgprs: 0
; TotalNumVgprs: 59
; ScratchSize: 0
; MemoryBound: 0
; FloatMode: 240
; IeeeMode: 1
; LDSByteSize: 4096 bytes/workgroup (compile time only)
; SGPRBlocks: 4
; VGPRBlocks: 7
; NumSGPRsForWavesPerEU: 36
; NumVGPRsForWavesPerEU: 59
; AccumOffset: 60
; Occupancy: 8
; WaveLimiterHint : 0
; COMPUTE_PGM_RSRC2:SCRATCH_EN: 0
; COMPUTE_PGM_RSRC2:USER_SGPR: 2
; COMPUTE_PGM_RSRC2:TRAP_HANDLER: 0
; COMPUTE_PGM_RSRC2:TGID_X_EN: 1
; COMPUTE_PGM_RSRC2:TGID_Y_EN: 0
; COMPUTE_PGM_RSRC2:TGID_Z_EN: 1
; COMPUTE_PGM_RSRC2:TIDIG_COMP_CNT: 1
; COMPUTE_PGM_RSRC3_GFX90A:ACCUM_OFFSET: 14
; COMPUTE_PGM_RSRC3_GFX90A:TG_SPLIT: 0
	.section	.text._ZL23rocblas_trmm_rTx_kernelILi16ELb0E19rocblas_complex_numIfEPKS1_S2_S1_Ev13rocblas_fill_17rocblas_diagonal_iiT2_lPT3_llS8_llPT4_lli,"axG",@progbits,_ZL23rocblas_trmm_rTx_kernelILi16ELb0E19rocblas_complex_numIfEPKS1_S2_S1_Ev13rocblas_fill_17rocblas_diagonal_iiT2_lPT3_llS8_llPT4_lli,comdat
	.globl	_ZL23rocblas_trmm_rTx_kernelILi16ELb0E19rocblas_complex_numIfEPKS1_S2_S1_Ev13rocblas_fill_17rocblas_diagonal_iiT2_lPT3_llS8_llPT4_lli ; -- Begin function _ZL23rocblas_trmm_rTx_kernelILi16ELb0E19rocblas_complex_numIfEPKS1_S2_S1_Ev13rocblas_fill_17rocblas_diagonal_iiT2_lPT3_llS8_llPT4_lli
	.p2align	8
	.type	_ZL23rocblas_trmm_rTx_kernelILi16ELb0E19rocblas_complex_numIfEPKS1_S2_S1_Ev13rocblas_fill_17rocblas_diagonal_iiT2_lPT3_llS8_llPT4_lli,@function
_ZL23rocblas_trmm_rTx_kernelILi16ELb0E19rocblas_complex_numIfEPKS1_S2_S1_Ev13rocblas_fill_17rocblas_diagonal_iiT2_lPT3_llS8_llPT4_lli: ; @_ZL23rocblas_trmm_rTx_kernelILi16ELb0E19rocblas_complex_numIfEPKS1_S2_S1_Ev13rocblas_fill_17rocblas_diagonal_iiT2_lPT3_llS8_llPT4_lli
; %bb.0:
	s_load_dwordx16 s[4:19], s[0:1], 0x10
	s_waitcnt lgkmcnt(0)
	s_mul_i32 s7, s7, s3
	s_mul_hi_u32 s20, s6, s3
	s_add_i32 s7, s20, s7
	s_mul_i32 s6, s6, s3
	s_lshl_b64 s[6:7], s[6:7], 3
	s_add_u32 s4, s4, s6
	s_addc_u32 s5, s5, s7
	s_load_dwordx2 s[24:25], s[4:5], 0x0
	s_waitcnt lgkmcnt(0)
	v_cmp_neq_f32_e64 s[4:5], s24, 0
	v_cmp_neq_f32_e64 s[6:7], s25, 0
	s_or_b64 s[4:5], s[4:5], s[6:7]
	s_andn2_b64 vcc, exec, s[4:5]
	s_mov_b32 s4, 0
	s_cbranch_vccnz .LBB104_15
; %bb.1:
	s_load_dwordx4 s[20:23], s[0:1], 0x0
	v_bfe_u32 v2, v0, 10, 10
	v_and_b32_e32 v4, 0x3ff, v0
	v_lshlrev_b32_e32 v0, 4, v2
	s_mov_b32 s5, s4
	v_add_lshl_u32 v3, v0, v4, 3
	v_mov_b64_e32 v[0:1], s[4:5]
	s_waitcnt lgkmcnt(0)
	v_cmp_gt_i32_e32 vcc, s23, v2
	v_cmp_gt_i32_e64 s[4:5], s23, v4
	ds_write2st64_b64 v3, v[0:1], v[0:1] offset1:4
	s_and_b64 s[6:7], vcc, s[4:5]
	v_lshlrev_b32_e32 v0, 3, v4
	s_and_saveexec_b64 s[4:5], s[6:7]
	s_cbranch_execz .LBB104_3
; %bb.2:
	s_mul_i32 s6, s13, s3
	s_mul_hi_u32 s7, s12, s3
	s_add_i32 s7, s7, s6
	s_mul_i32 s6, s12, s3
	s_lshl_b64 s[6:7], s[6:7], 3
	s_add_u32 s6, s8, s6
	s_addc_u32 s7, s9, s7
	v_mad_u64_u32 v[6:7], s[8:9], s10, v2, 0
	v_mov_b32_e32 v8, v7
	v_mad_u64_u32 v[8:9], s[8:9], s11, v2, v[8:9]
	v_mov_b32_e32 v7, v8
	v_lshl_add_u64 v[6:7], v[6:7], 3, s[6:7]
	v_mov_b32_e32 v1, 0
	v_lshl_add_u64 v[6:7], v[6:7], 0, v[0:1]
	global_load_dwordx2 v[6:7], v[6:7], off
	s_waitcnt vmcnt(0)
	ds_write_b64 v3, v[6:7]
.LBB104_3:
	s_or_b64 exec, exec, s[4:5]
	s_add_i32 s4, s22, -1
	s_ashr_i32 s5, s4, 31
	s_lshr_b32 s5, s5, 28
	s_add_i32 s4, s4, s5
	s_ashr_i32 s5, s4, 4
	s_and_b32 s4, s4, -16
	s_sub_i32 s4, s22, s4
	s_cmp_ge_i32 s2, s5
	s_cselect_b32 s4, s4, 16
	s_lshl_b32 s8, s2, 4
	v_cmp_gt_i32_e64 s[4:5], s4, v4
	s_ashr_i32 s9, s8, 31
	s_and_b64 s[4:5], vcc, s[4:5]
	s_and_saveexec_b64 s[6:7], s[4:5]
	s_cbranch_execz .LBB104_5
; %bb.4:
	s_mul_i32 s2, s19, s3
	s_mul_hi_u32 s10, s18, s3
	s_add_i32 s11, s10, s2
	s_mul_i32 s10, s18, s3
	s_lshl_b64 s[10:11], s[10:11], 3
	s_add_u32 s2, s14, s10
	s_addc_u32 s12, s15, s11
	s_lshl_b64 s[10:11], s[8:9], 3
	s_add_u32 s10, s2, s10
	s_addc_u32 s11, s12, s11
	v_mad_u64_u32 v[6:7], s[12:13], s16, v2, 0
	v_mov_b32_e32 v8, v7
	v_mad_u64_u32 v[8:9], s[12:13], s17, v2, v[8:9]
	v_mov_b32_e32 v7, v8
	v_lshl_add_u64 v[6:7], v[6:7], 3, s[10:11]
	v_mov_b32_e32 v1, 0
	v_lshl_add_u64 v[6:7], v[6:7], 0, v[0:1]
	global_load_dwordx2 v[6:7], v[6:7], off
	v_add_u32_e32 v1, 0x800, v3
	s_waitcnt vmcnt(0)
	ds_write_b64 v1, v[6:7]
.LBB104_5:
	s_or_b64 exec, exec, s[6:7]
	s_cmpk_eq_i32 s21, 0x84
	s_cselect_b64 s[6:7], -1, 0
	v_cmp_eq_u32_e32 vcc, v2, v4
	s_and_b64 s[10:11], vcc, s[6:7]
	s_and_saveexec_b64 s[6:7], s[10:11]
; %bb.6:
	v_mov_b32_e32 v6, 1.0
	v_mov_b32_e32 v7, 0
	ds_write_b64 v3, v[6:7]
; %bb.7:
	s_or_b64 exec, exec, s[6:7]
	s_cmpk_lg_i32 s20, 0x79
	s_cbranch_scc0 .LBB104_9
; %bb.8:
	v_cmp_lt_u32_e32 vcc, v4, v2
	s_and_b64 s[6:7], vcc, exec
	s_cbranch_execz .LBB104_10
	s_branch .LBB104_11
.LBB104_9:
	s_mov_b64 s[6:7], 0
.LBB104_10:
	v_cmp_gt_u32_e32 vcc, v4, v2
	s_andn2_b64 s[6:7], s[6:7], exec
	s_and_b64 s[10:11], vcc, exec
	s_or_b64 s[6:7], s[6:7], s[10:11]
.LBB104_11:
	s_and_saveexec_b64 s[10:11], s[6:7]
; %bb.12:
	v_mov_b32_e32 v4, 0
	v_mov_b32_e32 v5, v4
	ds_write_b64 v3, v[4:5]
; %bb.13:
	s_or_b64 exec, exec, s[10:11]
	s_waitcnt lgkmcnt(0)
	s_barrier
	s_and_saveexec_b64 s[6:7], s[4:5]
	s_cbranch_execz .LBB104_15
; %bb.14:
	v_lshlrev_b32_e32 v1, 3, v2
	v_add_u32_e32 v3, 0x800, v0
	s_load_dwordx2 s[10:11], s[0:1], 0x60
	s_load_dwordx4 s[4:7], s[0:1], 0x50
	ds_read2_b64 v[4:7], v1 offset1:16
	ds_read2_b64 v[8:11], v3 offset1:16
	ds_read2_b64 v[12:15], v1 offset0:32 offset1:48
	ds_read2_b64 v[16:19], v3 offset0:32 offset1:48
	s_waitcnt lgkmcnt(0)
	s_mul_i32 s1, s11, s3
	s_mul_hi_u32 s2, s10, s3
	s_mul_i32 s0, s10, s3
	v_mul_f32_e32 v20, v4, v9
	v_fmac_f32_e32 v20, v5, v8
	v_mul_f32_e32 v21, v6, v11
	v_add_f32_e32 v20, 0, v20
	v_fmac_f32_e32 v21, v7, v10
	v_add_f32_e32 v28, v20, v21
	v_mul_f32_e32 v29, v12, v17
	ds_read2_b64 v[20:23], v1 offset0:64 offset1:80
	ds_read2_b64 v[24:27], v3 offset0:64 offset1:80
	v_fmac_f32_e32 v29, v13, v16
	v_add_f32_e32 v28, v28, v29
	v_mul_f32_e32 v29, v14, v19
	v_fmac_f32_e32 v29, v15, v18
	v_add_f32_e32 v36, v28, v29
	ds_read2_b64 v[28:31], v1 offset0:96 offset1:112
	ds_read2_b64 v[32:35], v3 offset0:96 offset1:112
	s_waitcnt lgkmcnt(2)
	v_mul_f32_e32 v37, v20, v25
	v_fmac_f32_e32 v37, v21, v24
	v_add_f32_e32 v36, v36, v37
	v_mul_f32_e32 v37, v22, v27
	v_fmac_f32_e32 v37, v23, v26
	v_add_f32_e32 v44, v36, v37
	s_waitcnt lgkmcnt(0)
	v_mul_f32_e32 v45, v28, v33
	ds_read2_b64 v[36:39], v1 offset0:128 offset1:144
	ds_read2_b64 v[40:43], v3 offset0:128 offset1:144
	v_fmac_f32_e32 v45, v29, v32
	v_add_f32_e32 v44, v44, v45
	v_mul_f32_e32 v45, v30, v35
	v_fmac_f32_e32 v45, v31, v34
	v_add_f32_e32 v52, v44, v45
	ds_read2_b64 v[44:47], v1 offset0:160 offset1:176
	ds_read2_b64 v[48:51], v3 offset0:160 offset1:176
	s_waitcnt lgkmcnt(2)
	v_mul_f32_e32 v53, v36, v41
	v_fmac_f32_e32 v53, v37, v40
	v_mul_f32_e32 v5, v5, v9
	v_add_f32_e32 v52, v52, v53
	v_mul_f32_e32 v53, v38, v43
	v_fma_f32 v54, v4, v8, -v5
	v_mul_f32_e32 v4, v7, v11
	v_fmac_f32_e32 v53, v39, v42
	v_fma_f32 v55, v6, v10, -v4
	ds_read2_b64 v[4:7], v1 offset0:192 offset1:208
	ds_read2_b64 v[8:11], v3 offset0:192 offset1:208
	v_add_f32_e32 v52, v52, v53
	s_waitcnt lgkmcnt(2)
	v_mul_f32_e32 v53, v44, v49
	v_mul_f32_e32 v13, v13, v17
	v_fmac_f32_e32 v53, v45, v48
	v_fma_f32 v56, v12, v16, -v13
	v_mul_f32_e32 v12, v15, v19
	v_add_f32_e32 v52, v52, v53
	v_mul_f32_e32 v53, v46, v51
	v_fma_f32 v57, v14, v18, -v12
	ds_read2_b64 v[12:15], v1 offset0:224 offset1:240
	ds_read2_b64 v[16:19], v3 offset0:224 offset1:240
	v_fmac_f32_e32 v53, v47, v50
	v_add_f32_e32 v52, v52, v53
	s_waitcnt lgkmcnt(2)
	v_mul_f32_e32 v53, v4, v9
	v_fmac_f32_e32 v53, v5, v8
	v_mul_f32_e32 v3, v6, v11
	v_add_f32_e32 v1, v52, v53
	v_fmac_f32_e32 v3, v7, v10
	v_add_f32_e32 v1, v1, v3
	s_waitcnt lgkmcnt(0)
	v_mul_f32_e32 v3, v12, v17
	v_fmac_f32_e32 v3, v13, v16
	v_add_f32_e32 v1, v1, v3
	v_mul_f32_e32 v3, v14, v19
	v_fmac_f32_e32 v3, v15, v18
	v_add_f32_e32 v52, v1, v3
	v_add_f32_e32 v1, 0, v54
	;; [unrolled: 1-line block ×4, first 2 shown]
	v_mul_f32_e32 v3, v21, v25
	v_add_f32_e32 v1, v1, v57
	v_fma_f32 v3, v20, v24, -v3
	v_add_f32_e32 v1, v1, v3
	v_mul_f32_e32 v3, v23, v27
	v_fma_f32 v3, v22, v26, -v3
	v_add_f32_e32 v1, v1, v3
	v_mul_f32_e32 v3, v29, v33
	;; [unrolled: 3-line block ×8, first 2 shown]
	s_add_i32 s1, s2, s1
	v_fma_f32 v3, v4, v8, -v3
	s_lshl_b64 s[0:1], s[0:1], 3
	v_add_f32_e32 v1, v1, v3
	v_mul_f32_e32 v3, v7, v11
	s_add_u32 s2, s4, s0
	v_fma_f32 v3, v6, v10, -v3
	s_addc_u32 s3, s5, s1
	s_lshl_b64 s[0:1], s[8:9], 3
	v_add_f32_e32 v1, v1, v3
	v_mul_f32_e32 v3, v13, v17
	s_add_u32 s0, s2, s0
	v_fma_f32 v3, v12, v16, -v3
	s_addc_u32 s1, s3, s1
	v_add_f32_e32 v1, v1, v3
	v_mul_f32_e32 v3, v15, v19
	v_mad_u64_u32 v[6:7], s[2:3], s6, v2, 0
	v_fma_f32 v3, v14, v18, -v3
	v_mov_b32_e32 v8, v7
	v_add_f32_e32 v4, v1, v3
	v_mad_u64_u32 v[2:3], s[2:3], s7, v2, v[8:9]
	v_mov_b32_e32 v7, v2
	v_lshl_add_u64 v[2:3], v[6:7], 3, s[0:1]
	v_mov_b32_e32 v1, 0
	v_lshl_add_u64 v[0:1], v[2:3], 0, v[0:1]
	v_pk_mul_f32 v[2:3], s[24:25], v[52:53] op_sel:[1,0] op_sel_hi:[0,0]
	v_pk_fma_f32 v[6:7], s[24:25], v[4:5], v[2:3] neg_lo:[0,0,1] neg_hi:[0,0,1]
	v_pk_fma_f32 v[2:3], s[24:25], v[4:5], v[2:3] op_sel_hi:[1,0,1]
	s_nop 0
	v_mov_b32_e32 v7, v3
	global_store_dwordx2 v[0:1], v[6:7], off
.LBB104_15:
	s_endpgm
	.section	.rodata,"a",@progbits
	.p2align	6, 0x0
	.amdhsa_kernel _ZL23rocblas_trmm_rTx_kernelILi16ELb0E19rocblas_complex_numIfEPKS1_S2_S1_Ev13rocblas_fill_17rocblas_diagonal_iiT2_lPT3_llS8_llPT4_lli
		.amdhsa_group_segment_fixed_size 4096
		.amdhsa_private_segment_fixed_size 0
		.amdhsa_kernarg_size 108
		.amdhsa_user_sgpr_count 2
		.amdhsa_user_sgpr_dispatch_ptr 0
		.amdhsa_user_sgpr_queue_ptr 0
		.amdhsa_user_sgpr_kernarg_segment_ptr 1
		.amdhsa_user_sgpr_dispatch_id 0
		.amdhsa_user_sgpr_kernarg_preload_length 0
		.amdhsa_user_sgpr_kernarg_preload_offset 0
		.amdhsa_user_sgpr_private_segment_size 0
		.amdhsa_uses_dynamic_stack 0
		.amdhsa_enable_private_segment 0
		.amdhsa_system_sgpr_workgroup_id_x 1
		.amdhsa_system_sgpr_workgroup_id_y 0
		.amdhsa_system_sgpr_workgroup_id_z 1
		.amdhsa_system_sgpr_workgroup_info 0
		.amdhsa_system_vgpr_workitem_id 1
		.amdhsa_next_free_vgpr 58
		.amdhsa_next_free_sgpr 26
		.amdhsa_accum_offset 60
		.amdhsa_reserve_vcc 1
		.amdhsa_float_round_mode_32 0
		.amdhsa_float_round_mode_16_64 0
		.amdhsa_float_denorm_mode_32 3
		.amdhsa_float_denorm_mode_16_64 3
		.amdhsa_dx10_clamp 1
		.amdhsa_ieee_mode 1
		.amdhsa_fp16_overflow 0
		.amdhsa_tg_split 0
		.amdhsa_exception_fp_ieee_invalid_op 0
		.amdhsa_exception_fp_denorm_src 0
		.amdhsa_exception_fp_ieee_div_zero 0
		.amdhsa_exception_fp_ieee_overflow 0
		.amdhsa_exception_fp_ieee_underflow 0
		.amdhsa_exception_fp_ieee_inexact 0
		.amdhsa_exception_int_div_zero 0
	.end_amdhsa_kernel
	.section	.text._ZL23rocblas_trmm_rTx_kernelILi16ELb0E19rocblas_complex_numIfEPKS1_S2_S1_Ev13rocblas_fill_17rocblas_diagonal_iiT2_lPT3_llS8_llPT4_lli,"axG",@progbits,_ZL23rocblas_trmm_rTx_kernelILi16ELb0E19rocblas_complex_numIfEPKS1_S2_S1_Ev13rocblas_fill_17rocblas_diagonal_iiT2_lPT3_llS8_llPT4_lli,comdat
.Lfunc_end104:
	.size	_ZL23rocblas_trmm_rTx_kernelILi16ELb0E19rocblas_complex_numIfEPKS1_S2_S1_Ev13rocblas_fill_17rocblas_diagonal_iiT2_lPT3_llS8_llPT4_lli, .Lfunc_end104-_ZL23rocblas_trmm_rTx_kernelILi16ELb0E19rocblas_complex_numIfEPKS1_S2_S1_Ev13rocblas_fill_17rocblas_diagonal_iiT2_lPT3_llS8_llPT4_lli
                                        ; -- End function
	.set _ZL23rocblas_trmm_rTx_kernelILi16ELb0E19rocblas_complex_numIfEPKS1_S2_S1_Ev13rocblas_fill_17rocblas_diagonal_iiT2_lPT3_llS8_llPT4_lli.num_vgpr, 58
	.set _ZL23rocblas_trmm_rTx_kernelILi16ELb0E19rocblas_complex_numIfEPKS1_S2_S1_Ev13rocblas_fill_17rocblas_diagonal_iiT2_lPT3_llS8_llPT4_lli.num_agpr, 0
	.set _ZL23rocblas_trmm_rTx_kernelILi16ELb0E19rocblas_complex_numIfEPKS1_S2_S1_Ev13rocblas_fill_17rocblas_diagonal_iiT2_lPT3_llS8_llPT4_lli.numbered_sgpr, 26
	.set _ZL23rocblas_trmm_rTx_kernelILi16ELb0E19rocblas_complex_numIfEPKS1_S2_S1_Ev13rocblas_fill_17rocblas_diagonal_iiT2_lPT3_llS8_llPT4_lli.num_named_barrier, 0
	.set _ZL23rocblas_trmm_rTx_kernelILi16ELb0E19rocblas_complex_numIfEPKS1_S2_S1_Ev13rocblas_fill_17rocblas_diagonal_iiT2_lPT3_llS8_llPT4_lli.private_seg_size, 0
	.set _ZL23rocblas_trmm_rTx_kernelILi16ELb0E19rocblas_complex_numIfEPKS1_S2_S1_Ev13rocblas_fill_17rocblas_diagonal_iiT2_lPT3_llS8_llPT4_lli.uses_vcc, 1
	.set _ZL23rocblas_trmm_rTx_kernelILi16ELb0E19rocblas_complex_numIfEPKS1_S2_S1_Ev13rocblas_fill_17rocblas_diagonal_iiT2_lPT3_llS8_llPT4_lli.uses_flat_scratch, 0
	.set _ZL23rocblas_trmm_rTx_kernelILi16ELb0E19rocblas_complex_numIfEPKS1_S2_S1_Ev13rocblas_fill_17rocblas_diagonal_iiT2_lPT3_llS8_llPT4_lli.has_dyn_sized_stack, 0
	.set _ZL23rocblas_trmm_rTx_kernelILi16ELb0E19rocblas_complex_numIfEPKS1_S2_S1_Ev13rocblas_fill_17rocblas_diagonal_iiT2_lPT3_llS8_llPT4_lli.has_recursion, 0
	.set _ZL23rocblas_trmm_rTx_kernelILi16ELb0E19rocblas_complex_numIfEPKS1_S2_S1_Ev13rocblas_fill_17rocblas_diagonal_iiT2_lPT3_llS8_llPT4_lli.has_indirect_call, 0
	.section	.AMDGPU.csdata,"",@progbits
; Kernel info:
; codeLenInByte = 1328
; TotalNumSgprs: 32
; NumVgprs: 58
; NumAgprs: 0
; TotalNumVgprs: 58
; ScratchSize: 0
; MemoryBound: 0
; FloatMode: 240
; IeeeMode: 1
; LDSByteSize: 4096 bytes/workgroup (compile time only)
; SGPRBlocks: 3
; VGPRBlocks: 7
; NumSGPRsForWavesPerEU: 32
; NumVGPRsForWavesPerEU: 58
; AccumOffset: 60
; Occupancy: 8
; WaveLimiterHint : 0
; COMPUTE_PGM_RSRC2:SCRATCH_EN: 0
; COMPUTE_PGM_RSRC2:USER_SGPR: 2
; COMPUTE_PGM_RSRC2:TRAP_HANDLER: 0
; COMPUTE_PGM_RSRC2:TGID_X_EN: 1
; COMPUTE_PGM_RSRC2:TGID_Y_EN: 0
; COMPUTE_PGM_RSRC2:TGID_Z_EN: 1
; COMPUTE_PGM_RSRC2:TIDIG_COMP_CNT: 1
; COMPUTE_PGM_RSRC3_GFX90A:ACCUM_OFFSET: 14
; COMPUTE_PGM_RSRC3_GFX90A:TG_SPLIT: 0
	.section	.text._ZL23rocblas_trmm_rTx_kernelILi16ELb0E19rocblas_complex_numIfES1_KS1_S1_Ev13rocblas_fill_17rocblas_diagonal_iiT2_lPT3_llS7_llPT4_lli,"axG",@progbits,_ZL23rocblas_trmm_rTx_kernelILi16ELb0E19rocblas_complex_numIfES1_KS1_S1_Ev13rocblas_fill_17rocblas_diagonal_iiT2_lPT3_llS7_llPT4_lli,comdat
	.globl	_ZL23rocblas_trmm_rTx_kernelILi16ELb0E19rocblas_complex_numIfES1_KS1_S1_Ev13rocblas_fill_17rocblas_diagonal_iiT2_lPT3_llS7_llPT4_lli ; -- Begin function _ZL23rocblas_trmm_rTx_kernelILi16ELb0E19rocblas_complex_numIfES1_KS1_S1_Ev13rocblas_fill_17rocblas_diagonal_iiT2_lPT3_llS7_llPT4_lli
	.p2align	8
	.type	_ZL23rocblas_trmm_rTx_kernelILi16ELb0E19rocblas_complex_numIfES1_KS1_S1_Ev13rocblas_fill_17rocblas_diagonal_iiT2_lPT3_llS7_llPT4_lli,@function
_ZL23rocblas_trmm_rTx_kernelILi16ELb0E19rocblas_complex_numIfES1_KS1_S1_Ev13rocblas_fill_17rocblas_diagonal_iiT2_lPT3_llS7_llPT4_lli: ; @_ZL23rocblas_trmm_rTx_kernelILi16ELb0E19rocblas_complex_numIfES1_KS1_S1_Ev13rocblas_fill_17rocblas_diagonal_iiT2_lPT3_llS7_llPT4_lli
; %bb.0:
	s_load_dwordx2 s[6:7], s[0:1], 0x10
	s_waitcnt lgkmcnt(0)
	v_cmp_neq_f32_e64 s[4:5], s6, 0
	v_cmp_neq_f32_e64 s[8:9], s7, 0
	s_or_b64 s[4:5], s[4:5], s[8:9]
	s_andn2_b64 vcc, exec, s[4:5]
	s_mov_b32 s4, 0
	s_cbranch_vccnz .LBB105_15
; %bb.1:
	s_load_dwordx4 s[24:27], s[0:1], 0x0
	s_load_dwordx16 s[8:23], s[0:1], 0x20
	v_bfe_u32 v2, v0, 10, 10
	v_and_b32_e32 v4, 0x3ff, v0
	v_lshlrev_b32_e32 v0, 4, v2
	s_mov_b32 s5, s4
	v_add_lshl_u32 v3, v0, v4, 3
	v_mov_b64_e32 v[0:1], s[4:5]
	s_waitcnt lgkmcnt(0)
	v_cmp_gt_i32_e32 vcc, s27, v2
	v_cmp_gt_i32_e64 s[4:5], s27, v4
	ds_write2st64_b64 v3, v[0:1], v[0:1] offset1:4
	s_and_b64 s[28:29], vcc, s[4:5]
	v_lshlrev_b32_e32 v0, 3, v4
	s_and_saveexec_b64 s[4:5], s[28:29]
	s_cbranch_execz .LBB105_3
; %bb.2:
	s_mul_i32 s13, s13, s3
	s_mul_hi_u32 s27, s12, s3
	s_add_i32 s13, s27, s13
	s_mul_i32 s12, s12, s3
	s_lshl_b64 s[12:13], s[12:13], 3
	s_add_u32 s8, s8, s12
	s_addc_u32 s9, s9, s13
	v_mad_u64_u32 v[6:7], s[12:13], s10, v2, 0
	v_mov_b32_e32 v8, v7
	v_mad_u64_u32 v[8:9], s[10:11], s11, v2, v[8:9]
	v_mov_b32_e32 v7, v8
	v_lshl_add_u64 v[6:7], v[6:7], 3, s[8:9]
	v_mov_b32_e32 v1, 0
	v_lshl_add_u64 v[6:7], v[6:7], 0, v[0:1]
	global_load_dwordx2 v[6:7], v[6:7], off
	s_waitcnt vmcnt(0)
	ds_write_b64 v3, v[6:7]
.LBB105_3:
	s_or_b64 exec, exec, s[4:5]
	s_add_i32 s4, s26, -1
	s_ashr_i32 s5, s4, 31
	s_lshr_b32 s5, s5, 28
	s_add_i32 s4, s4, s5
	s_ashr_i32 s5, s4, 4
	s_and_b32 s4, s4, -16
	s_sub_i32 s4, s26, s4
	s_cmp_ge_i32 s2, s5
	s_cselect_b32 s4, s4, 16
	s_lshl_b32 s8, s2, 4
	v_cmp_gt_i32_e64 s[4:5], s4, v4
	s_ashr_i32 s9, s8, 31
	s_and_b64 s[4:5], vcc, s[4:5]
	s_and_saveexec_b64 s[10:11], s[4:5]
	s_cbranch_execz .LBB105_5
; %bb.4:
	s_mul_i32 s2, s19, s3
	s_mul_hi_u32 s12, s18, s3
	s_add_i32 s13, s12, s2
	s_mul_i32 s12, s18, s3
	s_lshl_b64 s[12:13], s[12:13], 3
	s_add_u32 s2, s14, s12
	s_addc_u32 s14, s15, s13
	s_lshl_b64 s[12:13], s[8:9], 3
	s_add_u32 s12, s2, s12
	s_addc_u32 s13, s14, s13
	v_mad_u64_u32 v[6:7], s[14:15], s16, v2, 0
	v_mov_b32_e32 v8, v7
	v_mad_u64_u32 v[8:9], s[14:15], s17, v2, v[8:9]
	v_mov_b32_e32 v7, v8
	v_lshl_add_u64 v[6:7], v[6:7], 3, s[12:13]
	v_mov_b32_e32 v1, 0
	v_lshl_add_u64 v[6:7], v[6:7], 0, v[0:1]
	global_load_dwordx2 v[6:7], v[6:7], off
	v_add_u32_e32 v1, 0x800, v3
	s_waitcnt vmcnt(0)
	ds_write_b64 v1, v[6:7]
.LBB105_5:
	s_or_b64 exec, exec, s[10:11]
	s_cmpk_eq_i32 s25, 0x84
	s_cselect_b64 s[10:11], -1, 0
	v_cmp_eq_u32_e32 vcc, v2, v4
	s_and_b64 s[12:13], vcc, s[10:11]
	s_and_saveexec_b64 s[10:11], s[12:13]
; %bb.6:
	v_mov_b32_e32 v6, 1.0
	v_mov_b32_e32 v7, 0
	ds_write_b64 v3, v[6:7]
; %bb.7:
	s_or_b64 exec, exec, s[10:11]
	s_cmpk_lg_i32 s24, 0x79
	s_cbranch_scc0 .LBB105_9
; %bb.8:
	v_cmp_lt_u32_e32 vcc, v4, v2
	s_and_b64 s[10:11], vcc, exec
	s_cbranch_execz .LBB105_10
	s_branch .LBB105_11
.LBB105_9:
	s_mov_b64 s[10:11], 0
.LBB105_10:
	v_cmp_gt_u32_e32 vcc, v4, v2
	s_andn2_b64 s[10:11], s[10:11], exec
	s_and_b64 s[12:13], vcc, exec
	s_or_b64 s[10:11], s[10:11], s[12:13]
.LBB105_11:
	s_and_saveexec_b64 s[12:13], s[10:11]
; %bb.12:
	v_mov_b32_e32 v4, 0
	v_mov_b32_e32 v5, v4
	ds_write_b64 v3, v[4:5]
; %bb.13:
	s_or_b64 exec, exec, s[12:13]
	s_waitcnt lgkmcnt(0)
	s_barrier
	s_and_saveexec_b64 s[10:11], s[4:5]
	s_cbranch_execz .LBB105_15
; %bb.14:
	v_lshlrev_b32_e32 v1, 3, v2
	v_add_u32_e32 v3, 0x800, v0
	ds_read2_b64 v[4:7], v1 offset1:16
	ds_read2_b64 v[8:11], v3 offset1:16
	ds_read2_b64 v[12:15], v1 offset0:32 offset1:48
	ds_read2_b64 v[16:19], v3 offset0:32 offset1:48
	s_load_dwordx2 s[0:1], s[0:1], 0x60
	s_waitcnt lgkmcnt(0)
	v_mul_f32_e32 v20, v4, v9
	v_fmac_f32_e32 v20, v5, v8
	v_mul_f32_e32 v21, v6, v11
	v_add_f32_e32 v20, 0, v20
	v_fmac_f32_e32 v21, v7, v10
	v_add_f32_e32 v28, v20, v21
	v_mul_f32_e32 v29, v12, v17
	ds_read2_b64 v[20:23], v1 offset0:64 offset1:80
	ds_read2_b64 v[24:27], v3 offset0:64 offset1:80
	v_fmac_f32_e32 v29, v13, v16
	v_add_f32_e32 v28, v28, v29
	v_mul_f32_e32 v29, v14, v19
	v_fmac_f32_e32 v29, v15, v18
	v_add_f32_e32 v36, v28, v29
	ds_read2_b64 v[28:31], v1 offset0:96 offset1:112
	ds_read2_b64 v[32:35], v3 offset0:96 offset1:112
	s_waitcnt lgkmcnt(2)
	v_mul_f32_e32 v37, v20, v25
	v_fmac_f32_e32 v37, v21, v24
	v_add_f32_e32 v36, v36, v37
	v_mul_f32_e32 v37, v22, v27
	v_fmac_f32_e32 v37, v23, v26
	v_add_f32_e32 v44, v36, v37
	s_waitcnt lgkmcnt(0)
	v_mul_f32_e32 v45, v28, v33
	ds_read2_b64 v[36:39], v1 offset0:128 offset1:144
	ds_read2_b64 v[40:43], v3 offset0:128 offset1:144
	v_fmac_f32_e32 v45, v29, v32
	v_add_f32_e32 v44, v44, v45
	v_mul_f32_e32 v45, v30, v35
	v_fmac_f32_e32 v45, v31, v34
	v_add_f32_e32 v52, v44, v45
	ds_read2_b64 v[44:47], v1 offset0:160 offset1:176
	ds_read2_b64 v[48:51], v3 offset0:160 offset1:176
	s_waitcnt lgkmcnt(2)
	v_mul_f32_e32 v53, v36, v41
	v_fmac_f32_e32 v53, v37, v40
	v_mul_f32_e32 v5, v5, v9
	v_add_f32_e32 v52, v52, v53
	v_mul_f32_e32 v53, v38, v43
	v_fma_f32 v54, v4, v8, -v5
	v_mul_f32_e32 v4, v7, v11
	v_fmac_f32_e32 v53, v39, v42
	v_fma_f32 v55, v6, v10, -v4
	ds_read2_b64 v[4:7], v1 offset0:192 offset1:208
	ds_read2_b64 v[8:11], v3 offset0:192 offset1:208
	v_add_f32_e32 v52, v52, v53
	s_waitcnt lgkmcnt(2)
	v_mul_f32_e32 v53, v44, v49
	v_mul_f32_e32 v13, v13, v17
	v_fmac_f32_e32 v53, v45, v48
	v_fma_f32 v56, v12, v16, -v13
	v_mul_f32_e32 v12, v15, v19
	v_add_f32_e32 v52, v52, v53
	v_mul_f32_e32 v53, v46, v51
	v_fma_f32 v57, v14, v18, -v12
	ds_read2_b64 v[12:15], v1 offset0:224 offset1:240
	ds_read2_b64 v[16:19], v3 offset0:224 offset1:240
	v_fmac_f32_e32 v53, v47, v50
	v_add_f32_e32 v52, v52, v53
	s_waitcnt lgkmcnt(2)
	v_mul_f32_e32 v53, v4, v9
	v_fmac_f32_e32 v53, v5, v8
	v_mul_f32_e32 v3, v6, v11
	v_add_f32_e32 v1, v52, v53
	v_fmac_f32_e32 v3, v7, v10
	v_add_f32_e32 v1, v1, v3
	s_waitcnt lgkmcnt(0)
	v_mul_f32_e32 v3, v12, v17
	v_fmac_f32_e32 v3, v13, v16
	v_add_f32_e32 v1, v1, v3
	v_mul_f32_e32 v3, v14, v19
	v_fmac_f32_e32 v3, v15, v18
	v_add_f32_e32 v52, v1, v3
	v_add_f32_e32 v1, 0, v54
	;; [unrolled: 1-line block ×4, first 2 shown]
	v_mul_f32_e32 v3, v21, v25
	v_add_f32_e32 v1, v1, v57
	v_fma_f32 v3, v20, v24, -v3
	v_add_f32_e32 v1, v1, v3
	v_mul_f32_e32 v3, v23, v27
	v_fma_f32 v3, v22, v26, -v3
	v_add_f32_e32 v1, v1, v3
	v_mul_f32_e32 v3, v29, v33
	;; [unrolled: 3-line block ×7, first 2 shown]
	v_fma_f32 v3, v46, v50, -v3
	s_mul_i32 s1, s1, s3
	s_mul_hi_u32 s2, s0, s3
	v_add_f32_e32 v1, v1, v3
	v_mul_f32_e32 v3, v5, v9
	s_mul_i32 s0, s0, s3
	s_add_i32 s1, s2, s1
	v_fma_f32 v3, v4, v8, -v3
	s_lshl_b64 s[0:1], s[0:1], 3
	v_add_f32_e32 v1, v1, v3
	v_mul_f32_e32 v3, v7, v11
	s_add_u32 s2, s20, s0
	v_fma_f32 v3, v6, v10, -v3
	s_addc_u32 s3, s21, s1
	s_lshl_b64 s[0:1], s[8:9], 3
	v_add_f32_e32 v1, v1, v3
	v_mul_f32_e32 v3, v13, v17
	s_add_u32 s0, s2, s0
	v_fma_f32 v3, v12, v16, -v3
	s_addc_u32 s1, s3, s1
	v_add_f32_e32 v1, v1, v3
	v_mul_f32_e32 v3, v15, v19
	v_mad_u64_u32 v[6:7], s[2:3], s22, v2, 0
	v_fma_f32 v3, v14, v18, -v3
	v_mov_b32_e32 v8, v7
	v_add_f32_e32 v4, v1, v3
	v_mad_u64_u32 v[2:3], s[2:3], s23, v2, v[8:9]
	v_mov_b32_e32 v7, v2
	v_lshl_add_u64 v[2:3], v[6:7], 3, s[0:1]
	v_mov_b32_e32 v1, 0
	v_lshl_add_u64 v[0:1], v[2:3], 0, v[0:1]
	v_pk_mul_f32 v[2:3], s[6:7], v[52:53] op_sel:[1,0] op_sel_hi:[0,0]
	v_pk_fma_f32 v[6:7], s[6:7], v[4:5], v[2:3] neg_lo:[0,0,1] neg_hi:[0,0,1]
	v_pk_fma_f32 v[2:3], s[6:7], v[4:5], v[2:3] op_sel_hi:[1,0,1]
	s_nop 0
	v_mov_b32_e32 v7, v3
	global_store_dwordx2 v[0:1], v[6:7], off
.LBB105_15:
	s_endpgm
	.section	.rodata,"a",@progbits
	.p2align	6, 0x0
	.amdhsa_kernel _ZL23rocblas_trmm_rTx_kernelILi16ELb0E19rocblas_complex_numIfES1_KS1_S1_Ev13rocblas_fill_17rocblas_diagonal_iiT2_lPT3_llS7_llPT4_lli
		.amdhsa_group_segment_fixed_size 4096
		.amdhsa_private_segment_fixed_size 0
		.amdhsa_kernarg_size 108
		.amdhsa_user_sgpr_count 2
		.amdhsa_user_sgpr_dispatch_ptr 0
		.amdhsa_user_sgpr_queue_ptr 0
		.amdhsa_user_sgpr_kernarg_segment_ptr 1
		.amdhsa_user_sgpr_dispatch_id 0
		.amdhsa_user_sgpr_kernarg_preload_length 0
		.amdhsa_user_sgpr_kernarg_preload_offset 0
		.amdhsa_user_sgpr_private_segment_size 0
		.amdhsa_uses_dynamic_stack 0
		.amdhsa_enable_private_segment 0
		.amdhsa_system_sgpr_workgroup_id_x 1
		.amdhsa_system_sgpr_workgroup_id_y 0
		.amdhsa_system_sgpr_workgroup_id_z 1
		.amdhsa_system_sgpr_workgroup_info 0
		.amdhsa_system_vgpr_workitem_id 1
		.amdhsa_next_free_vgpr 58
		.amdhsa_next_free_sgpr 30
		.amdhsa_accum_offset 60
		.amdhsa_reserve_vcc 1
		.amdhsa_float_round_mode_32 0
		.amdhsa_float_round_mode_16_64 0
		.amdhsa_float_denorm_mode_32 3
		.amdhsa_float_denorm_mode_16_64 3
		.amdhsa_dx10_clamp 1
		.amdhsa_ieee_mode 1
		.amdhsa_fp16_overflow 0
		.amdhsa_tg_split 0
		.amdhsa_exception_fp_ieee_invalid_op 0
		.amdhsa_exception_fp_denorm_src 0
		.amdhsa_exception_fp_ieee_div_zero 0
		.amdhsa_exception_fp_ieee_overflow 0
		.amdhsa_exception_fp_ieee_underflow 0
		.amdhsa_exception_fp_ieee_inexact 0
		.amdhsa_exception_int_div_zero 0
	.end_amdhsa_kernel
	.section	.text._ZL23rocblas_trmm_rTx_kernelILi16ELb0E19rocblas_complex_numIfES1_KS1_S1_Ev13rocblas_fill_17rocblas_diagonal_iiT2_lPT3_llS7_llPT4_lli,"axG",@progbits,_ZL23rocblas_trmm_rTx_kernelILi16ELb0E19rocblas_complex_numIfES1_KS1_S1_Ev13rocblas_fill_17rocblas_diagonal_iiT2_lPT3_llS7_llPT4_lli,comdat
.Lfunc_end105:
	.size	_ZL23rocblas_trmm_rTx_kernelILi16ELb0E19rocblas_complex_numIfES1_KS1_S1_Ev13rocblas_fill_17rocblas_diagonal_iiT2_lPT3_llS7_llPT4_lli, .Lfunc_end105-_ZL23rocblas_trmm_rTx_kernelILi16ELb0E19rocblas_complex_numIfES1_KS1_S1_Ev13rocblas_fill_17rocblas_diagonal_iiT2_lPT3_llS7_llPT4_lli
                                        ; -- End function
	.set _ZL23rocblas_trmm_rTx_kernelILi16ELb0E19rocblas_complex_numIfES1_KS1_S1_Ev13rocblas_fill_17rocblas_diagonal_iiT2_lPT3_llS7_llPT4_lli.num_vgpr, 58
	.set _ZL23rocblas_trmm_rTx_kernelILi16ELb0E19rocblas_complex_numIfES1_KS1_S1_Ev13rocblas_fill_17rocblas_diagonal_iiT2_lPT3_llS7_llPT4_lli.num_agpr, 0
	.set _ZL23rocblas_trmm_rTx_kernelILi16ELb0E19rocblas_complex_numIfES1_KS1_S1_Ev13rocblas_fill_17rocblas_diagonal_iiT2_lPT3_llS7_llPT4_lli.numbered_sgpr, 30
	.set _ZL23rocblas_trmm_rTx_kernelILi16ELb0E19rocblas_complex_numIfES1_KS1_S1_Ev13rocblas_fill_17rocblas_diagonal_iiT2_lPT3_llS7_llPT4_lli.num_named_barrier, 0
	.set _ZL23rocblas_trmm_rTx_kernelILi16ELb0E19rocblas_complex_numIfES1_KS1_S1_Ev13rocblas_fill_17rocblas_diagonal_iiT2_lPT3_llS7_llPT4_lli.private_seg_size, 0
	.set _ZL23rocblas_trmm_rTx_kernelILi16ELb0E19rocblas_complex_numIfES1_KS1_S1_Ev13rocblas_fill_17rocblas_diagonal_iiT2_lPT3_llS7_llPT4_lli.uses_vcc, 1
	.set _ZL23rocblas_trmm_rTx_kernelILi16ELb0E19rocblas_complex_numIfES1_KS1_S1_Ev13rocblas_fill_17rocblas_diagonal_iiT2_lPT3_llS7_llPT4_lli.uses_flat_scratch, 0
	.set _ZL23rocblas_trmm_rTx_kernelILi16ELb0E19rocblas_complex_numIfES1_KS1_S1_Ev13rocblas_fill_17rocblas_diagonal_iiT2_lPT3_llS7_llPT4_lli.has_dyn_sized_stack, 0
	.set _ZL23rocblas_trmm_rTx_kernelILi16ELb0E19rocblas_complex_numIfES1_KS1_S1_Ev13rocblas_fill_17rocblas_diagonal_iiT2_lPT3_llS7_llPT4_lli.has_recursion, 0
	.set _ZL23rocblas_trmm_rTx_kernelILi16ELb0E19rocblas_complex_numIfES1_KS1_S1_Ev13rocblas_fill_17rocblas_diagonal_iiT2_lPT3_llS7_llPT4_lli.has_indirect_call, 0
	.section	.AMDGPU.csdata,"",@progbits
; Kernel info:
; codeLenInByte = 1288
; TotalNumSgprs: 36
; NumVgprs: 58
; NumAgprs: 0
; TotalNumVgprs: 58
; ScratchSize: 0
; MemoryBound: 0
; FloatMode: 240
; IeeeMode: 1
; LDSByteSize: 4096 bytes/workgroup (compile time only)
; SGPRBlocks: 4
; VGPRBlocks: 7
; NumSGPRsForWavesPerEU: 36
; NumVGPRsForWavesPerEU: 58
; AccumOffset: 60
; Occupancy: 8
; WaveLimiterHint : 0
; COMPUTE_PGM_RSRC2:SCRATCH_EN: 0
; COMPUTE_PGM_RSRC2:USER_SGPR: 2
; COMPUTE_PGM_RSRC2:TRAP_HANDLER: 0
; COMPUTE_PGM_RSRC2:TGID_X_EN: 1
; COMPUTE_PGM_RSRC2:TGID_Y_EN: 0
; COMPUTE_PGM_RSRC2:TGID_Z_EN: 1
; COMPUTE_PGM_RSRC2:TIDIG_COMP_CNT: 1
; COMPUTE_PGM_RSRC3_GFX90A:ACCUM_OFFSET: 14
; COMPUTE_PGM_RSRC3_GFX90A:TG_SPLIT: 0
	.section	.text._ZL23rocblas_trmm_rTx_kernelILi16ELb1E19rocblas_complex_numIfEPKS1_S2_S1_Ev13rocblas_fill_17rocblas_diagonal_iiT2_lPT3_llS8_llPT4_lli,"axG",@progbits,_ZL23rocblas_trmm_rTx_kernelILi16ELb1E19rocblas_complex_numIfEPKS1_S2_S1_Ev13rocblas_fill_17rocblas_diagonal_iiT2_lPT3_llS8_llPT4_lli,comdat
	.globl	_ZL23rocblas_trmm_rTx_kernelILi16ELb1E19rocblas_complex_numIfEPKS1_S2_S1_Ev13rocblas_fill_17rocblas_diagonal_iiT2_lPT3_llS8_llPT4_lli ; -- Begin function _ZL23rocblas_trmm_rTx_kernelILi16ELb1E19rocblas_complex_numIfEPKS1_S2_S1_Ev13rocblas_fill_17rocblas_diagonal_iiT2_lPT3_llS8_llPT4_lli
	.p2align	8
	.type	_ZL23rocblas_trmm_rTx_kernelILi16ELb1E19rocblas_complex_numIfEPKS1_S2_S1_Ev13rocblas_fill_17rocblas_diagonal_iiT2_lPT3_llS8_llPT4_lli,@function
_ZL23rocblas_trmm_rTx_kernelILi16ELb1E19rocblas_complex_numIfEPKS1_S2_S1_Ev13rocblas_fill_17rocblas_diagonal_iiT2_lPT3_llS8_llPT4_lli: ; @_ZL23rocblas_trmm_rTx_kernelILi16ELb1E19rocblas_complex_numIfEPKS1_S2_S1_Ev13rocblas_fill_17rocblas_diagonal_iiT2_lPT3_llS8_llPT4_lli
; %bb.0:
	s_load_dwordx16 s[4:19], s[0:1], 0x10
	s_waitcnt lgkmcnt(0)
	s_mul_i32 s7, s7, s3
	s_mul_hi_u32 s20, s6, s3
	s_add_i32 s7, s20, s7
	s_mul_i32 s6, s6, s3
	s_lshl_b64 s[6:7], s[6:7], 3
	s_add_u32 s4, s4, s6
	s_addc_u32 s5, s5, s7
	s_load_dwordx2 s[24:25], s[4:5], 0x0
	s_waitcnt lgkmcnt(0)
	v_cmp_neq_f32_e64 s[4:5], s24, 0
	v_cmp_neq_f32_e64 s[6:7], s25, 0
	s_or_b64 s[4:5], s[4:5], s[6:7]
	s_andn2_b64 vcc, exec, s[4:5]
	s_mov_b32 s4, 0
	s_cbranch_vccnz .LBB106_15
; %bb.1:
	s_load_dwordx4 s[20:23], s[0:1], 0x0
	v_bfe_u32 v2, v0, 10, 10
	v_and_b32_e32 v4, 0x3ff, v0
	v_lshlrev_b32_e32 v0, 4, v2
	s_mov_b32 s5, s4
	v_add_lshl_u32 v3, v0, v4, 3
	v_mov_b64_e32 v[0:1], s[4:5]
	s_waitcnt lgkmcnt(0)
	v_cmp_gt_i32_e32 vcc, s23, v2
	v_cmp_gt_i32_e64 s[4:5], s23, v4
	ds_write2st64_b64 v3, v[0:1], v[0:1] offset1:4
	s_and_b64 s[6:7], vcc, s[4:5]
	v_lshlrev_b32_e32 v0, 3, v4
	s_and_saveexec_b64 s[4:5], s[6:7]
	s_cbranch_execz .LBB106_3
; %bb.2:
	s_mul_i32 s6, s13, s3
	s_mul_hi_u32 s7, s12, s3
	s_add_i32 s7, s7, s6
	s_mul_i32 s6, s12, s3
	s_lshl_b64 s[6:7], s[6:7], 3
	s_add_u32 s6, s8, s6
	s_addc_u32 s7, s9, s7
	v_mad_u64_u32 v[6:7], s[8:9], s10, v2, 0
	v_mov_b32_e32 v8, v7
	v_mad_u64_u32 v[8:9], s[8:9], s11, v2, v[8:9]
	v_mov_b32_e32 v7, v8
	v_lshl_add_u64 v[6:7], v[6:7], 3, s[6:7]
	v_mov_b32_e32 v1, 0
	v_lshl_add_u64 v[6:7], v[6:7], 0, v[0:1]
	global_load_dwordx2 v[6:7], v[6:7], off
	s_waitcnt vmcnt(0)
	v_xor_b32_e32 v7, 0x80000000, v7
	ds_write_b64 v3, v[6:7]
.LBB106_3:
	s_or_b64 exec, exec, s[4:5]
	s_add_i32 s4, s22, -1
	s_ashr_i32 s5, s4, 31
	s_lshr_b32 s5, s5, 28
	s_add_i32 s4, s4, s5
	s_ashr_i32 s5, s4, 4
	s_and_b32 s4, s4, -16
	s_sub_i32 s4, s22, s4
	s_cmp_ge_i32 s2, s5
	s_cselect_b32 s4, s4, 16
	s_lshl_b32 s8, s2, 4
	v_cmp_gt_i32_e64 s[4:5], s4, v4
	s_ashr_i32 s9, s8, 31
	s_and_b64 s[4:5], vcc, s[4:5]
	s_and_saveexec_b64 s[6:7], s[4:5]
	s_cbranch_execz .LBB106_5
; %bb.4:
	s_mul_i32 s2, s19, s3
	s_mul_hi_u32 s10, s18, s3
	s_add_i32 s11, s10, s2
	s_mul_i32 s10, s18, s3
	s_lshl_b64 s[10:11], s[10:11], 3
	s_add_u32 s2, s14, s10
	s_addc_u32 s12, s15, s11
	s_lshl_b64 s[10:11], s[8:9], 3
	s_add_u32 s10, s2, s10
	s_addc_u32 s11, s12, s11
	v_mad_u64_u32 v[6:7], s[12:13], s16, v2, 0
	v_mov_b32_e32 v8, v7
	v_mad_u64_u32 v[8:9], s[12:13], s17, v2, v[8:9]
	v_mov_b32_e32 v7, v8
	v_lshl_add_u64 v[6:7], v[6:7], 3, s[10:11]
	v_mov_b32_e32 v1, 0
	v_lshl_add_u64 v[6:7], v[6:7], 0, v[0:1]
	global_load_dwordx2 v[6:7], v[6:7], off
	v_add_u32_e32 v1, 0x800, v3
	s_waitcnt vmcnt(0)
	ds_write_b64 v1, v[6:7]
.LBB106_5:
	s_or_b64 exec, exec, s[6:7]
	s_cmpk_eq_i32 s21, 0x84
	s_cselect_b64 s[6:7], -1, 0
	v_cmp_eq_u32_e32 vcc, v2, v4
	s_and_b64 s[10:11], vcc, s[6:7]
	s_and_saveexec_b64 s[6:7], s[10:11]
; %bb.6:
	v_mov_b32_e32 v6, 1.0
	v_mov_b32_e32 v7, 0
	ds_write_b64 v3, v[6:7]
; %bb.7:
	s_or_b64 exec, exec, s[6:7]
	s_cmpk_lg_i32 s20, 0x79
	s_cbranch_scc0 .LBB106_9
; %bb.8:
	v_cmp_lt_u32_e32 vcc, v4, v2
	s_and_b64 s[6:7], vcc, exec
	s_cbranch_execz .LBB106_10
	s_branch .LBB106_11
.LBB106_9:
	s_mov_b64 s[6:7], 0
.LBB106_10:
	v_cmp_gt_u32_e32 vcc, v4, v2
	s_andn2_b64 s[6:7], s[6:7], exec
	s_and_b64 s[10:11], vcc, exec
	s_or_b64 s[6:7], s[6:7], s[10:11]
.LBB106_11:
	s_and_saveexec_b64 s[10:11], s[6:7]
; %bb.12:
	v_mov_b32_e32 v4, 0
	v_mov_b32_e32 v5, v4
	ds_write_b64 v3, v[4:5]
; %bb.13:
	s_or_b64 exec, exec, s[10:11]
	s_waitcnt lgkmcnt(0)
	s_barrier
	s_and_saveexec_b64 s[6:7], s[4:5]
	s_cbranch_execz .LBB106_15
; %bb.14:
	v_lshlrev_b32_e32 v1, 3, v2
	v_add_u32_e32 v3, 0x800, v0
	s_load_dwordx2 s[10:11], s[0:1], 0x60
	s_load_dwordx4 s[4:7], s[0:1], 0x50
	ds_read2_b64 v[4:7], v1 offset1:16
	ds_read2_b64 v[8:11], v3 offset1:16
	ds_read2_b64 v[12:15], v1 offset0:32 offset1:48
	ds_read2_b64 v[16:19], v3 offset0:32 offset1:48
	s_waitcnt lgkmcnt(0)
	s_mul_i32 s1, s11, s3
	s_mul_hi_u32 s2, s10, s3
	s_mul_i32 s0, s10, s3
	v_mul_f32_e32 v20, v4, v9
	v_fmac_f32_e32 v20, v5, v8
	v_mul_f32_e32 v21, v6, v11
	v_add_f32_e32 v20, 0, v20
	v_fmac_f32_e32 v21, v7, v10
	v_add_f32_e32 v28, v20, v21
	v_mul_f32_e32 v29, v12, v17
	ds_read2_b64 v[20:23], v1 offset0:64 offset1:80
	ds_read2_b64 v[24:27], v3 offset0:64 offset1:80
	v_fmac_f32_e32 v29, v13, v16
	v_add_f32_e32 v28, v28, v29
	v_mul_f32_e32 v29, v14, v19
	v_fmac_f32_e32 v29, v15, v18
	v_add_f32_e32 v36, v28, v29
	ds_read2_b64 v[28:31], v1 offset0:96 offset1:112
	ds_read2_b64 v[32:35], v3 offset0:96 offset1:112
	s_waitcnt lgkmcnt(2)
	v_mul_f32_e32 v37, v20, v25
	v_fmac_f32_e32 v37, v21, v24
	v_add_f32_e32 v36, v36, v37
	v_mul_f32_e32 v37, v22, v27
	v_fmac_f32_e32 v37, v23, v26
	v_add_f32_e32 v44, v36, v37
	s_waitcnt lgkmcnt(0)
	v_mul_f32_e32 v45, v28, v33
	ds_read2_b64 v[36:39], v1 offset0:128 offset1:144
	ds_read2_b64 v[40:43], v3 offset0:128 offset1:144
	v_fmac_f32_e32 v45, v29, v32
	v_add_f32_e32 v44, v44, v45
	v_mul_f32_e32 v45, v30, v35
	v_fmac_f32_e32 v45, v31, v34
	v_add_f32_e32 v52, v44, v45
	ds_read2_b64 v[44:47], v1 offset0:160 offset1:176
	ds_read2_b64 v[48:51], v3 offset0:160 offset1:176
	s_waitcnt lgkmcnt(2)
	v_mul_f32_e32 v53, v36, v41
	v_fmac_f32_e32 v53, v37, v40
	v_mul_f32_e32 v5, v5, v9
	v_add_f32_e32 v52, v52, v53
	v_mul_f32_e32 v53, v38, v43
	v_fma_f32 v54, v4, v8, -v5
	v_mul_f32_e32 v4, v7, v11
	v_fmac_f32_e32 v53, v39, v42
	v_fma_f32 v55, v6, v10, -v4
	ds_read2_b64 v[4:7], v1 offset0:192 offset1:208
	ds_read2_b64 v[8:11], v3 offset0:192 offset1:208
	v_add_f32_e32 v52, v52, v53
	s_waitcnt lgkmcnt(2)
	v_mul_f32_e32 v53, v44, v49
	v_mul_f32_e32 v13, v13, v17
	v_fmac_f32_e32 v53, v45, v48
	v_fma_f32 v56, v12, v16, -v13
	v_mul_f32_e32 v12, v15, v19
	v_add_f32_e32 v52, v52, v53
	v_mul_f32_e32 v53, v46, v51
	v_fma_f32 v57, v14, v18, -v12
	ds_read2_b64 v[12:15], v1 offset0:224 offset1:240
	ds_read2_b64 v[16:19], v3 offset0:224 offset1:240
	v_fmac_f32_e32 v53, v47, v50
	v_add_f32_e32 v52, v52, v53
	s_waitcnt lgkmcnt(2)
	v_mul_f32_e32 v53, v4, v9
	v_fmac_f32_e32 v53, v5, v8
	v_mul_f32_e32 v3, v6, v11
	v_add_f32_e32 v1, v52, v53
	v_fmac_f32_e32 v3, v7, v10
	v_add_f32_e32 v1, v1, v3
	s_waitcnt lgkmcnt(0)
	v_mul_f32_e32 v3, v12, v17
	v_fmac_f32_e32 v3, v13, v16
	v_add_f32_e32 v1, v1, v3
	v_mul_f32_e32 v3, v14, v19
	v_fmac_f32_e32 v3, v15, v18
	v_add_f32_e32 v52, v1, v3
	v_add_f32_e32 v1, 0, v54
	;; [unrolled: 1-line block ×4, first 2 shown]
	v_mul_f32_e32 v3, v21, v25
	v_add_f32_e32 v1, v1, v57
	v_fma_f32 v3, v20, v24, -v3
	v_add_f32_e32 v1, v1, v3
	v_mul_f32_e32 v3, v23, v27
	v_fma_f32 v3, v22, v26, -v3
	v_add_f32_e32 v1, v1, v3
	v_mul_f32_e32 v3, v29, v33
	;; [unrolled: 3-line block ×8, first 2 shown]
	s_add_i32 s1, s2, s1
	v_fma_f32 v3, v4, v8, -v3
	s_lshl_b64 s[0:1], s[0:1], 3
	v_add_f32_e32 v1, v1, v3
	v_mul_f32_e32 v3, v7, v11
	s_add_u32 s2, s4, s0
	v_fma_f32 v3, v6, v10, -v3
	s_addc_u32 s3, s5, s1
	s_lshl_b64 s[0:1], s[8:9], 3
	v_add_f32_e32 v1, v1, v3
	v_mul_f32_e32 v3, v13, v17
	s_add_u32 s0, s2, s0
	v_fma_f32 v3, v12, v16, -v3
	s_addc_u32 s1, s3, s1
	v_add_f32_e32 v1, v1, v3
	v_mul_f32_e32 v3, v15, v19
	v_mad_u64_u32 v[6:7], s[2:3], s6, v2, 0
	v_fma_f32 v3, v14, v18, -v3
	v_mov_b32_e32 v8, v7
	v_add_f32_e32 v4, v1, v3
	v_mad_u64_u32 v[2:3], s[2:3], s7, v2, v[8:9]
	v_mov_b32_e32 v7, v2
	v_lshl_add_u64 v[2:3], v[6:7], 3, s[0:1]
	v_mov_b32_e32 v1, 0
	v_lshl_add_u64 v[0:1], v[2:3], 0, v[0:1]
	v_pk_mul_f32 v[2:3], s[24:25], v[52:53] op_sel:[1,0] op_sel_hi:[0,0]
	v_pk_fma_f32 v[6:7], s[24:25], v[4:5], v[2:3] neg_lo:[0,0,1] neg_hi:[0,0,1]
	v_pk_fma_f32 v[2:3], s[24:25], v[4:5], v[2:3] op_sel_hi:[1,0,1]
	s_nop 0
	v_mov_b32_e32 v7, v3
	global_store_dwordx2 v[0:1], v[6:7], off
.LBB106_15:
	s_endpgm
	.section	.rodata,"a",@progbits
	.p2align	6, 0x0
	.amdhsa_kernel _ZL23rocblas_trmm_rTx_kernelILi16ELb1E19rocblas_complex_numIfEPKS1_S2_S1_Ev13rocblas_fill_17rocblas_diagonal_iiT2_lPT3_llS8_llPT4_lli
		.amdhsa_group_segment_fixed_size 4096
		.amdhsa_private_segment_fixed_size 0
		.amdhsa_kernarg_size 108
		.amdhsa_user_sgpr_count 2
		.amdhsa_user_sgpr_dispatch_ptr 0
		.amdhsa_user_sgpr_queue_ptr 0
		.amdhsa_user_sgpr_kernarg_segment_ptr 1
		.amdhsa_user_sgpr_dispatch_id 0
		.amdhsa_user_sgpr_kernarg_preload_length 0
		.amdhsa_user_sgpr_kernarg_preload_offset 0
		.amdhsa_user_sgpr_private_segment_size 0
		.amdhsa_uses_dynamic_stack 0
		.amdhsa_enable_private_segment 0
		.amdhsa_system_sgpr_workgroup_id_x 1
		.amdhsa_system_sgpr_workgroup_id_y 0
		.amdhsa_system_sgpr_workgroup_id_z 1
		.amdhsa_system_sgpr_workgroup_info 0
		.amdhsa_system_vgpr_workitem_id 1
		.amdhsa_next_free_vgpr 58
		.amdhsa_next_free_sgpr 26
		.amdhsa_accum_offset 60
		.amdhsa_reserve_vcc 1
		.amdhsa_float_round_mode_32 0
		.amdhsa_float_round_mode_16_64 0
		.amdhsa_float_denorm_mode_32 3
		.amdhsa_float_denorm_mode_16_64 3
		.amdhsa_dx10_clamp 1
		.amdhsa_ieee_mode 1
		.amdhsa_fp16_overflow 0
		.amdhsa_tg_split 0
		.amdhsa_exception_fp_ieee_invalid_op 0
		.amdhsa_exception_fp_denorm_src 0
		.amdhsa_exception_fp_ieee_div_zero 0
		.amdhsa_exception_fp_ieee_overflow 0
		.amdhsa_exception_fp_ieee_underflow 0
		.amdhsa_exception_fp_ieee_inexact 0
		.amdhsa_exception_int_div_zero 0
	.end_amdhsa_kernel
	.section	.text._ZL23rocblas_trmm_rTx_kernelILi16ELb1E19rocblas_complex_numIfEPKS1_S2_S1_Ev13rocblas_fill_17rocblas_diagonal_iiT2_lPT3_llS8_llPT4_lli,"axG",@progbits,_ZL23rocblas_trmm_rTx_kernelILi16ELb1E19rocblas_complex_numIfEPKS1_S2_S1_Ev13rocblas_fill_17rocblas_diagonal_iiT2_lPT3_llS8_llPT4_lli,comdat
.Lfunc_end106:
	.size	_ZL23rocblas_trmm_rTx_kernelILi16ELb1E19rocblas_complex_numIfEPKS1_S2_S1_Ev13rocblas_fill_17rocblas_diagonal_iiT2_lPT3_llS8_llPT4_lli, .Lfunc_end106-_ZL23rocblas_trmm_rTx_kernelILi16ELb1E19rocblas_complex_numIfEPKS1_S2_S1_Ev13rocblas_fill_17rocblas_diagonal_iiT2_lPT3_llS8_llPT4_lli
                                        ; -- End function
	.set _ZL23rocblas_trmm_rTx_kernelILi16ELb1E19rocblas_complex_numIfEPKS1_S2_S1_Ev13rocblas_fill_17rocblas_diagonal_iiT2_lPT3_llS8_llPT4_lli.num_vgpr, 58
	.set _ZL23rocblas_trmm_rTx_kernelILi16ELb1E19rocblas_complex_numIfEPKS1_S2_S1_Ev13rocblas_fill_17rocblas_diagonal_iiT2_lPT3_llS8_llPT4_lli.num_agpr, 0
	.set _ZL23rocblas_trmm_rTx_kernelILi16ELb1E19rocblas_complex_numIfEPKS1_S2_S1_Ev13rocblas_fill_17rocblas_diagonal_iiT2_lPT3_llS8_llPT4_lli.numbered_sgpr, 26
	.set _ZL23rocblas_trmm_rTx_kernelILi16ELb1E19rocblas_complex_numIfEPKS1_S2_S1_Ev13rocblas_fill_17rocblas_diagonal_iiT2_lPT3_llS8_llPT4_lli.num_named_barrier, 0
	.set _ZL23rocblas_trmm_rTx_kernelILi16ELb1E19rocblas_complex_numIfEPKS1_S2_S1_Ev13rocblas_fill_17rocblas_diagonal_iiT2_lPT3_llS8_llPT4_lli.private_seg_size, 0
	.set _ZL23rocblas_trmm_rTx_kernelILi16ELb1E19rocblas_complex_numIfEPKS1_S2_S1_Ev13rocblas_fill_17rocblas_diagonal_iiT2_lPT3_llS8_llPT4_lli.uses_vcc, 1
	.set _ZL23rocblas_trmm_rTx_kernelILi16ELb1E19rocblas_complex_numIfEPKS1_S2_S1_Ev13rocblas_fill_17rocblas_diagonal_iiT2_lPT3_llS8_llPT4_lli.uses_flat_scratch, 0
	.set _ZL23rocblas_trmm_rTx_kernelILi16ELb1E19rocblas_complex_numIfEPKS1_S2_S1_Ev13rocblas_fill_17rocblas_diagonal_iiT2_lPT3_llS8_llPT4_lli.has_dyn_sized_stack, 0
	.set _ZL23rocblas_trmm_rTx_kernelILi16ELb1E19rocblas_complex_numIfEPKS1_S2_S1_Ev13rocblas_fill_17rocblas_diagonal_iiT2_lPT3_llS8_llPT4_lli.has_recursion, 0
	.set _ZL23rocblas_trmm_rTx_kernelILi16ELb1E19rocblas_complex_numIfEPKS1_S2_S1_Ev13rocblas_fill_17rocblas_diagonal_iiT2_lPT3_llS8_llPT4_lli.has_indirect_call, 0
	.section	.AMDGPU.csdata,"",@progbits
; Kernel info:
; codeLenInByte = 1336
; TotalNumSgprs: 32
; NumVgprs: 58
; NumAgprs: 0
; TotalNumVgprs: 58
; ScratchSize: 0
; MemoryBound: 0
; FloatMode: 240
; IeeeMode: 1
; LDSByteSize: 4096 bytes/workgroup (compile time only)
; SGPRBlocks: 3
; VGPRBlocks: 7
; NumSGPRsForWavesPerEU: 32
; NumVGPRsForWavesPerEU: 58
; AccumOffset: 60
; Occupancy: 8
; WaveLimiterHint : 0
; COMPUTE_PGM_RSRC2:SCRATCH_EN: 0
; COMPUTE_PGM_RSRC2:USER_SGPR: 2
; COMPUTE_PGM_RSRC2:TRAP_HANDLER: 0
; COMPUTE_PGM_RSRC2:TGID_X_EN: 1
; COMPUTE_PGM_RSRC2:TGID_Y_EN: 0
; COMPUTE_PGM_RSRC2:TGID_Z_EN: 1
; COMPUTE_PGM_RSRC2:TIDIG_COMP_CNT: 1
; COMPUTE_PGM_RSRC3_GFX90A:ACCUM_OFFSET: 14
; COMPUTE_PGM_RSRC3_GFX90A:TG_SPLIT: 0
	.section	.text._ZL23rocblas_trmm_rTx_kernelILi16ELb1E19rocblas_complex_numIfES1_KS1_S1_Ev13rocblas_fill_17rocblas_diagonal_iiT2_lPT3_llS7_llPT4_lli,"axG",@progbits,_ZL23rocblas_trmm_rTx_kernelILi16ELb1E19rocblas_complex_numIfES1_KS1_S1_Ev13rocblas_fill_17rocblas_diagonal_iiT2_lPT3_llS7_llPT4_lli,comdat
	.globl	_ZL23rocblas_trmm_rTx_kernelILi16ELb1E19rocblas_complex_numIfES1_KS1_S1_Ev13rocblas_fill_17rocblas_diagonal_iiT2_lPT3_llS7_llPT4_lli ; -- Begin function _ZL23rocblas_trmm_rTx_kernelILi16ELb1E19rocblas_complex_numIfES1_KS1_S1_Ev13rocblas_fill_17rocblas_diagonal_iiT2_lPT3_llS7_llPT4_lli
	.p2align	8
	.type	_ZL23rocblas_trmm_rTx_kernelILi16ELb1E19rocblas_complex_numIfES1_KS1_S1_Ev13rocblas_fill_17rocblas_diagonal_iiT2_lPT3_llS7_llPT4_lli,@function
_ZL23rocblas_trmm_rTx_kernelILi16ELb1E19rocblas_complex_numIfES1_KS1_S1_Ev13rocblas_fill_17rocblas_diagonal_iiT2_lPT3_llS7_llPT4_lli: ; @_ZL23rocblas_trmm_rTx_kernelILi16ELb1E19rocblas_complex_numIfES1_KS1_S1_Ev13rocblas_fill_17rocblas_diagonal_iiT2_lPT3_llS7_llPT4_lli
; %bb.0:
	s_load_dwordx2 s[6:7], s[0:1], 0x10
	s_waitcnt lgkmcnt(0)
	v_cmp_neq_f32_e64 s[4:5], s6, 0
	v_cmp_neq_f32_e64 s[8:9], s7, 0
	s_or_b64 s[4:5], s[4:5], s[8:9]
	s_andn2_b64 vcc, exec, s[4:5]
	s_mov_b32 s4, 0
	s_cbranch_vccnz .LBB107_15
; %bb.1:
	s_load_dwordx4 s[24:27], s[0:1], 0x0
	s_load_dwordx16 s[8:23], s[0:1], 0x20
	v_bfe_u32 v2, v0, 10, 10
	v_and_b32_e32 v4, 0x3ff, v0
	v_lshlrev_b32_e32 v0, 4, v2
	s_mov_b32 s5, s4
	v_add_lshl_u32 v3, v0, v4, 3
	v_mov_b64_e32 v[0:1], s[4:5]
	s_waitcnt lgkmcnt(0)
	v_cmp_gt_i32_e32 vcc, s27, v2
	v_cmp_gt_i32_e64 s[4:5], s27, v4
	ds_write2st64_b64 v3, v[0:1], v[0:1] offset1:4
	s_and_b64 s[28:29], vcc, s[4:5]
	v_lshlrev_b32_e32 v0, 3, v4
	s_and_saveexec_b64 s[4:5], s[28:29]
	s_cbranch_execz .LBB107_3
; %bb.2:
	s_mul_i32 s13, s13, s3
	s_mul_hi_u32 s27, s12, s3
	s_add_i32 s13, s27, s13
	s_mul_i32 s12, s12, s3
	s_lshl_b64 s[12:13], s[12:13], 3
	s_add_u32 s8, s8, s12
	s_addc_u32 s9, s9, s13
	v_mad_u64_u32 v[6:7], s[12:13], s10, v2, 0
	v_mov_b32_e32 v8, v7
	v_mad_u64_u32 v[8:9], s[10:11], s11, v2, v[8:9]
	v_mov_b32_e32 v7, v8
	v_lshl_add_u64 v[6:7], v[6:7], 3, s[8:9]
	v_mov_b32_e32 v1, 0
	v_lshl_add_u64 v[6:7], v[6:7], 0, v[0:1]
	global_load_dwordx2 v[6:7], v[6:7], off
	s_waitcnt vmcnt(0)
	v_xor_b32_e32 v7, 0x80000000, v7
	ds_write_b64 v3, v[6:7]
.LBB107_3:
	s_or_b64 exec, exec, s[4:5]
	s_add_i32 s4, s26, -1
	s_ashr_i32 s5, s4, 31
	s_lshr_b32 s5, s5, 28
	s_add_i32 s4, s4, s5
	s_ashr_i32 s5, s4, 4
	s_and_b32 s4, s4, -16
	s_sub_i32 s4, s26, s4
	s_cmp_ge_i32 s2, s5
	s_cselect_b32 s4, s4, 16
	s_lshl_b32 s8, s2, 4
	v_cmp_gt_i32_e64 s[4:5], s4, v4
	s_ashr_i32 s9, s8, 31
	s_and_b64 s[4:5], vcc, s[4:5]
	s_and_saveexec_b64 s[10:11], s[4:5]
	s_cbranch_execz .LBB107_5
; %bb.4:
	s_mul_i32 s2, s19, s3
	s_mul_hi_u32 s12, s18, s3
	s_add_i32 s13, s12, s2
	s_mul_i32 s12, s18, s3
	s_lshl_b64 s[12:13], s[12:13], 3
	s_add_u32 s2, s14, s12
	s_addc_u32 s14, s15, s13
	s_lshl_b64 s[12:13], s[8:9], 3
	s_add_u32 s12, s2, s12
	s_addc_u32 s13, s14, s13
	v_mad_u64_u32 v[6:7], s[14:15], s16, v2, 0
	v_mov_b32_e32 v8, v7
	v_mad_u64_u32 v[8:9], s[14:15], s17, v2, v[8:9]
	v_mov_b32_e32 v7, v8
	v_lshl_add_u64 v[6:7], v[6:7], 3, s[12:13]
	v_mov_b32_e32 v1, 0
	v_lshl_add_u64 v[6:7], v[6:7], 0, v[0:1]
	global_load_dwordx2 v[6:7], v[6:7], off
	v_add_u32_e32 v1, 0x800, v3
	s_waitcnt vmcnt(0)
	ds_write_b64 v1, v[6:7]
.LBB107_5:
	s_or_b64 exec, exec, s[10:11]
	s_cmpk_eq_i32 s25, 0x84
	s_cselect_b64 s[10:11], -1, 0
	v_cmp_eq_u32_e32 vcc, v2, v4
	s_and_b64 s[12:13], vcc, s[10:11]
	s_and_saveexec_b64 s[10:11], s[12:13]
; %bb.6:
	v_mov_b32_e32 v6, 1.0
	v_mov_b32_e32 v7, 0
	ds_write_b64 v3, v[6:7]
; %bb.7:
	s_or_b64 exec, exec, s[10:11]
	s_cmpk_lg_i32 s24, 0x79
	s_cbranch_scc0 .LBB107_9
; %bb.8:
	v_cmp_lt_u32_e32 vcc, v4, v2
	s_and_b64 s[10:11], vcc, exec
	s_cbranch_execz .LBB107_10
	s_branch .LBB107_11
.LBB107_9:
	s_mov_b64 s[10:11], 0
.LBB107_10:
	v_cmp_gt_u32_e32 vcc, v4, v2
	s_andn2_b64 s[10:11], s[10:11], exec
	s_and_b64 s[12:13], vcc, exec
	s_or_b64 s[10:11], s[10:11], s[12:13]
.LBB107_11:
	s_and_saveexec_b64 s[12:13], s[10:11]
; %bb.12:
	v_mov_b32_e32 v4, 0
	v_mov_b32_e32 v5, v4
	ds_write_b64 v3, v[4:5]
; %bb.13:
	s_or_b64 exec, exec, s[12:13]
	s_waitcnt lgkmcnt(0)
	s_barrier
	s_and_saveexec_b64 s[10:11], s[4:5]
	s_cbranch_execz .LBB107_15
; %bb.14:
	v_lshlrev_b32_e32 v1, 3, v2
	v_add_u32_e32 v3, 0x800, v0
	ds_read2_b64 v[4:7], v1 offset1:16
	ds_read2_b64 v[8:11], v3 offset1:16
	ds_read2_b64 v[12:15], v1 offset0:32 offset1:48
	ds_read2_b64 v[16:19], v3 offset0:32 offset1:48
	s_load_dwordx2 s[0:1], s[0:1], 0x60
	s_waitcnt lgkmcnt(0)
	v_mul_f32_e32 v20, v4, v9
	v_fmac_f32_e32 v20, v5, v8
	v_mul_f32_e32 v21, v6, v11
	v_add_f32_e32 v20, 0, v20
	v_fmac_f32_e32 v21, v7, v10
	v_add_f32_e32 v28, v20, v21
	v_mul_f32_e32 v29, v12, v17
	ds_read2_b64 v[20:23], v1 offset0:64 offset1:80
	ds_read2_b64 v[24:27], v3 offset0:64 offset1:80
	v_fmac_f32_e32 v29, v13, v16
	v_add_f32_e32 v28, v28, v29
	v_mul_f32_e32 v29, v14, v19
	v_fmac_f32_e32 v29, v15, v18
	v_add_f32_e32 v36, v28, v29
	ds_read2_b64 v[28:31], v1 offset0:96 offset1:112
	ds_read2_b64 v[32:35], v3 offset0:96 offset1:112
	s_waitcnt lgkmcnt(2)
	v_mul_f32_e32 v37, v20, v25
	v_fmac_f32_e32 v37, v21, v24
	v_add_f32_e32 v36, v36, v37
	v_mul_f32_e32 v37, v22, v27
	v_fmac_f32_e32 v37, v23, v26
	v_add_f32_e32 v44, v36, v37
	s_waitcnt lgkmcnt(0)
	v_mul_f32_e32 v45, v28, v33
	ds_read2_b64 v[36:39], v1 offset0:128 offset1:144
	ds_read2_b64 v[40:43], v3 offset0:128 offset1:144
	v_fmac_f32_e32 v45, v29, v32
	v_add_f32_e32 v44, v44, v45
	v_mul_f32_e32 v45, v30, v35
	v_fmac_f32_e32 v45, v31, v34
	v_add_f32_e32 v52, v44, v45
	ds_read2_b64 v[44:47], v1 offset0:160 offset1:176
	ds_read2_b64 v[48:51], v3 offset0:160 offset1:176
	s_waitcnt lgkmcnt(2)
	v_mul_f32_e32 v53, v36, v41
	v_fmac_f32_e32 v53, v37, v40
	v_mul_f32_e32 v5, v5, v9
	v_add_f32_e32 v52, v52, v53
	v_mul_f32_e32 v53, v38, v43
	v_fma_f32 v54, v4, v8, -v5
	v_mul_f32_e32 v4, v7, v11
	v_fmac_f32_e32 v53, v39, v42
	v_fma_f32 v55, v6, v10, -v4
	ds_read2_b64 v[4:7], v1 offset0:192 offset1:208
	ds_read2_b64 v[8:11], v3 offset0:192 offset1:208
	v_add_f32_e32 v52, v52, v53
	s_waitcnt lgkmcnt(2)
	v_mul_f32_e32 v53, v44, v49
	v_mul_f32_e32 v13, v13, v17
	v_fmac_f32_e32 v53, v45, v48
	v_fma_f32 v56, v12, v16, -v13
	v_mul_f32_e32 v12, v15, v19
	v_add_f32_e32 v52, v52, v53
	v_mul_f32_e32 v53, v46, v51
	v_fma_f32 v57, v14, v18, -v12
	ds_read2_b64 v[12:15], v1 offset0:224 offset1:240
	ds_read2_b64 v[16:19], v3 offset0:224 offset1:240
	v_fmac_f32_e32 v53, v47, v50
	v_add_f32_e32 v52, v52, v53
	s_waitcnt lgkmcnt(2)
	v_mul_f32_e32 v53, v4, v9
	v_fmac_f32_e32 v53, v5, v8
	v_mul_f32_e32 v3, v6, v11
	v_add_f32_e32 v1, v52, v53
	v_fmac_f32_e32 v3, v7, v10
	v_add_f32_e32 v1, v1, v3
	s_waitcnt lgkmcnt(0)
	v_mul_f32_e32 v3, v12, v17
	v_fmac_f32_e32 v3, v13, v16
	v_add_f32_e32 v1, v1, v3
	v_mul_f32_e32 v3, v14, v19
	v_fmac_f32_e32 v3, v15, v18
	v_add_f32_e32 v52, v1, v3
	v_add_f32_e32 v1, 0, v54
	;; [unrolled: 1-line block ×4, first 2 shown]
	v_mul_f32_e32 v3, v21, v25
	v_add_f32_e32 v1, v1, v57
	v_fma_f32 v3, v20, v24, -v3
	v_add_f32_e32 v1, v1, v3
	v_mul_f32_e32 v3, v23, v27
	v_fma_f32 v3, v22, v26, -v3
	v_add_f32_e32 v1, v1, v3
	v_mul_f32_e32 v3, v29, v33
	;; [unrolled: 3-line block ×7, first 2 shown]
	v_fma_f32 v3, v46, v50, -v3
	s_mul_i32 s1, s1, s3
	s_mul_hi_u32 s2, s0, s3
	v_add_f32_e32 v1, v1, v3
	v_mul_f32_e32 v3, v5, v9
	s_mul_i32 s0, s0, s3
	s_add_i32 s1, s2, s1
	v_fma_f32 v3, v4, v8, -v3
	s_lshl_b64 s[0:1], s[0:1], 3
	v_add_f32_e32 v1, v1, v3
	v_mul_f32_e32 v3, v7, v11
	s_add_u32 s2, s20, s0
	v_fma_f32 v3, v6, v10, -v3
	s_addc_u32 s3, s21, s1
	s_lshl_b64 s[0:1], s[8:9], 3
	v_add_f32_e32 v1, v1, v3
	v_mul_f32_e32 v3, v13, v17
	s_add_u32 s0, s2, s0
	v_fma_f32 v3, v12, v16, -v3
	s_addc_u32 s1, s3, s1
	v_add_f32_e32 v1, v1, v3
	v_mul_f32_e32 v3, v15, v19
	v_mad_u64_u32 v[6:7], s[2:3], s22, v2, 0
	v_fma_f32 v3, v14, v18, -v3
	v_mov_b32_e32 v8, v7
	v_add_f32_e32 v4, v1, v3
	v_mad_u64_u32 v[2:3], s[2:3], s23, v2, v[8:9]
	v_mov_b32_e32 v7, v2
	v_lshl_add_u64 v[2:3], v[6:7], 3, s[0:1]
	v_mov_b32_e32 v1, 0
	v_lshl_add_u64 v[0:1], v[2:3], 0, v[0:1]
	v_pk_mul_f32 v[2:3], s[6:7], v[52:53] op_sel:[1,0] op_sel_hi:[0,0]
	v_pk_fma_f32 v[6:7], s[6:7], v[4:5], v[2:3] neg_lo:[0,0,1] neg_hi:[0,0,1]
	v_pk_fma_f32 v[2:3], s[6:7], v[4:5], v[2:3] op_sel_hi:[1,0,1]
	s_nop 0
	v_mov_b32_e32 v7, v3
	global_store_dwordx2 v[0:1], v[6:7], off
.LBB107_15:
	s_endpgm
	.section	.rodata,"a",@progbits
	.p2align	6, 0x0
	.amdhsa_kernel _ZL23rocblas_trmm_rTx_kernelILi16ELb1E19rocblas_complex_numIfES1_KS1_S1_Ev13rocblas_fill_17rocblas_diagonal_iiT2_lPT3_llS7_llPT4_lli
		.amdhsa_group_segment_fixed_size 4096
		.amdhsa_private_segment_fixed_size 0
		.amdhsa_kernarg_size 108
		.amdhsa_user_sgpr_count 2
		.amdhsa_user_sgpr_dispatch_ptr 0
		.amdhsa_user_sgpr_queue_ptr 0
		.amdhsa_user_sgpr_kernarg_segment_ptr 1
		.amdhsa_user_sgpr_dispatch_id 0
		.amdhsa_user_sgpr_kernarg_preload_length 0
		.amdhsa_user_sgpr_kernarg_preload_offset 0
		.amdhsa_user_sgpr_private_segment_size 0
		.amdhsa_uses_dynamic_stack 0
		.amdhsa_enable_private_segment 0
		.amdhsa_system_sgpr_workgroup_id_x 1
		.amdhsa_system_sgpr_workgroup_id_y 0
		.amdhsa_system_sgpr_workgroup_id_z 1
		.amdhsa_system_sgpr_workgroup_info 0
		.amdhsa_system_vgpr_workitem_id 1
		.amdhsa_next_free_vgpr 58
		.amdhsa_next_free_sgpr 30
		.amdhsa_accum_offset 60
		.amdhsa_reserve_vcc 1
		.amdhsa_float_round_mode_32 0
		.amdhsa_float_round_mode_16_64 0
		.amdhsa_float_denorm_mode_32 3
		.amdhsa_float_denorm_mode_16_64 3
		.amdhsa_dx10_clamp 1
		.amdhsa_ieee_mode 1
		.amdhsa_fp16_overflow 0
		.amdhsa_tg_split 0
		.amdhsa_exception_fp_ieee_invalid_op 0
		.amdhsa_exception_fp_denorm_src 0
		.amdhsa_exception_fp_ieee_div_zero 0
		.amdhsa_exception_fp_ieee_overflow 0
		.amdhsa_exception_fp_ieee_underflow 0
		.amdhsa_exception_fp_ieee_inexact 0
		.amdhsa_exception_int_div_zero 0
	.end_amdhsa_kernel
	.section	.text._ZL23rocblas_trmm_rTx_kernelILi16ELb1E19rocblas_complex_numIfES1_KS1_S1_Ev13rocblas_fill_17rocblas_diagonal_iiT2_lPT3_llS7_llPT4_lli,"axG",@progbits,_ZL23rocblas_trmm_rTx_kernelILi16ELb1E19rocblas_complex_numIfES1_KS1_S1_Ev13rocblas_fill_17rocblas_diagonal_iiT2_lPT3_llS7_llPT4_lli,comdat
.Lfunc_end107:
	.size	_ZL23rocblas_trmm_rTx_kernelILi16ELb1E19rocblas_complex_numIfES1_KS1_S1_Ev13rocblas_fill_17rocblas_diagonal_iiT2_lPT3_llS7_llPT4_lli, .Lfunc_end107-_ZL23rocblas_trmm_rTx_kernelILi16ELb1E19rocblas_complex_numIfES1_KS1_S1_Ev13rocblas_fill_17rocblas_diagonal_iiT2_lPT3_llS7_llPT4_lli
                                        ; -- End function
	.set _ZL23rocblas_trmm_rTx_kernelILi16ELb1E19rocblas_complex_numIfES1_KS1_S1_Ev13rocblas_fill_17rocblas_diagonal_iiT2_lPT3_llS7_llPT4_lli.num_vgpr, 58
	.set _ZL23rocblas_trmm_rTx_kernelILi16ELb1E19rocblas_complex_numIfES1_KS1_S1_Ev13rocblas_fill_17rocblas_diagonal_iiT2_lPT3_llS7_llPT4_lli.num_agpr, 0
	.set _ZL23rocblas_trmm_rTx_kernelILi16ELb1E19rocblas_complex_numIfES1_KS1_S1_Ev13rocblas_fill_17rocblas_diagonal_iiT2_lPT3_llS7_llPT4_lli.numbered_sgpr, 30
	.set _ZL23rocblas_trmm_rTx_kernelILi16ELb1E19rocblas_complex_numIfES1_KS1_S1_Ev13rocblas_fill_17rocblas_diagonal_iiT2_lPT3_llS7_llPT4_lli.num_named_barrier, 0
	.set _ZL23rocblas_trmm_rTx_kernelILi16ELb1E19rocblas_complex_numIfES1_KS1_S1_Ev13rocblas_fill_17rocblas_diagonal_iiT2_lPT3_llS7_llPT4_lli.private_seg_size, 0
	.set _ZL23rocblas_trmm_rTx_kernelILi16ELb1E19rocblas_complex_numIfES1_KS1_S1_Ev13rocblas_fill_17rocblas_diagonal_iiT2_lPT3_llS7_llPT4_lli.uses_vcc, 1
	.set _ZL23rocblas_trmm_rTx_kernelILi16ELb1E19rocblas_complex_numIfES1_KS1_S1_Ev13rocblas_fill_17rocblas_diagonal_iiT2_lPT3_llS7_llPT4_lli.uses_flat_scratch, 0
	.set _ZL23rocblas_trmm_rTx_kernelILi16ELb1E19rocblas_complex_numIfES1_KS1_S1_Ev13rocblas_fill_17rocblas_diagonal_iiT2_lPT3_llS7_llPT4_lli.has_dyn_sized_stack, 0
	.set _ZL23rocblas_trmm_rTx_kernelILi16ELb1E19rocblas_complex_numIfES1_KS1_S1_Ev13rocblas_fill_17rocblas_diagonal_iiT2_lPT3_llS7_llPT4_lli.has_recursion, 0
	.set _ZL23rocblas_trmm_rTx_kernelILi16ELb1E19rocblas_complex_numIfES1_KS1_S1_Ev13rocblas_fill_17rocblas_diagonal_iiT2_lPT3_llS7_llPT4_lli.has_indirect_call, 0
	.section	.AMDGPU.csdata,"",@progbits
; Kernel info:
; codeLenInByte = 1296
; TotalNumSgprs: 36
; NumVgprs: 58
; NumAgprs: 0
; TotalNumVgprs: 58
; ScratchSize: 0
; MemoryBound: 0
; FloatMode: 240
; IeeeMode: 1
; LDSByteSize: 4096 bytes/workgroup (compile time only)
; SGPRBlocks: 4
; VGPRBlocks: 7
; NumSGPRsForWavesPerEU: 36
; NumVGPRsForWavesPerEU: 58
; AccumOffset: 60
; Occupancy: 8
; WaveLimiterHint : 0
; COMPUTE_PGM_RSRC2:SCRATCH_EN: 0
; COMPUTE_PGM_RSRC2:USER_SGPR: 2
; COMPUTE_PGM_RSRC2:TRAP_HANDLER: 0
; COMPUTE_PGM_RSRC2:TGID_X_EN: 1
; COMPUTE_PGM_RSRC2:TGID_Y_EN: 0
; COMPUTE_PGM_RSRC2:TGID_Z_EN: 1
; COMPUTE_PGM_RSRC2:TIDIG_COMP_CNT: 1
; COMPUTE_PGM_RSRC3_GFX90A:ACCUM_OFFSET: 14
; COMPUTE_PGM_RSRC3_GFX90A:TG_SPLIT: 0
	.section	.text._ZL30rocblas_trmm_outofplace_kernelI19rocblas_complex_numIdELi32ELi2ELb1ELb0ELb0ELb0EPKS1_S2_S1_Ev17rocblas_diagonal_iiT6_lPT7_lllS7_lllPT8_llli,"axG",@progbits,_ZL30rocblas_trmm_outofplace_kernelI19rocblas_complex_numIdELi32ELi2ELb1ELb0ELb0ELb0EPKS1_S2_S1_Ev17rocblas_diagonal_iiT6_lPT7_lllS7_lllPT8_llli,comdat
	.globl	_ZL30rocblas_trmm_outofplace_kernelI19rocblas_complex_numIdELi32ELi2ELb1ELb0ELb0ELb0EPKS1_S2_S1_Ev17rocblas_diagonal_iiT6_lPT7_lllS7_lllPT8_llli ; -- Begin function _ZL30rocblas_trmm_outofplace_kernelI19rocblas_complex_numIdELi32ELi2ELb1ELb0ELb0ELb0EPKS1_S2_S1_Ev17rocblas_diagonal_iiT6_lPT7_lllS7_lllPT8_llli
	.p2align	8
	.type	_ZL30rocblas_trmm_outofplace_kernelI19rocblas_complex_numIdELi32ELi2ELb1ELb0ELb0ELb0EPKS1_S2_S1_Ev17rocblas_diagonal_iiT6_lPT7_lllS7_lllPT8_llli,@function
_ZL30rocblas_trmm_outofplace_kernelI19rocblas_complex_numIdELi32ELi2ELb1ELb0ELb0ELb0EPKS1_S2_S1_Ev17rocblas_diagonal_iiT6_lPT7_lllS7_lllPT8_llli: ; @_ZL30rocblas_trmm_outofplace_kernelI19rocblas_complex_numIdELi32ELi2ELb1ELb0ELb0ELb0EPKS1_S2_S1_Ev17rocblas_diagonal_iiT6_lPT7_lllS7_lllPT8_llli
; %bb.0:
	s_load_dwordx16 s[16:31], s[0:1], 0x10
	s_waitcnt lgkmcnt(0)
	s_mul_i32 s5, s19, s4
	s_mul_hi_u32 s6, s18, s4
	s_add_i32 s7, s6, s5
	s_mul_i32 s6, s18, s4
	s_lshl_b64 s[6:7], s[6:7], 4
	s_add_u32 s6, s16, s6
	s_addc_u32 s7, s17, s7
	s_load_dwordx4 s[44:47], s[6:7], 0x0
	s_waitcnt lgkmcnt(0)
	v_cmp_eq_f64_e64 s[6:7], s[44:45], 0
	v_cmp_eq_f64_e64 s[8:9], s[46:47], 0
	s_and_b64 s[6:7], s[6:7], s[8:9]
	s_and_b64 vcc, exec, s[6:7]
	s_cbranch_vccnz .LBB108_63
; %bb.1:
	s_load_dwordx4 s[48:51], s[0:1], 0x0
	s_waitcnt lgkmcnt(0)
	s_add_i32 s5, s50, -1
	s_ashr_i32 s6, s5, 31
	s_lshr_b32 s6, s6, 27
	s_add_i32 s5, s5, s6
	s_ashr_i32 s33, s5, 5
	s_cmp_gt_i32 s3, s33
	s_cbranch_scc1 .LBB108_63
; %bb.2:
	s_load_dwordx4 s[52:55], s[0:1], 0x70
	s_load_dwordx8 s[36:43], s[0:1], 0x50
	s_load_dword s51, s[0:1], 0x8c
	v_bfe_u32 v12, v0, 10, 10
	v_mov_b32_e32 v13, 0
	v_and_b32_e32 v14, 0x3ff, v0
	s_waitcnt lgkmcnt(0)
	s_mul_i32 s0, s55, s4
	s_mul_hi_u32 s1, s54, s4
	s_add_i32 s1, s1, s0
	s_mul_i32 s0, s54, s4
	s_lshl_b64 s[0:1], s[0:1], 4
	s_add_u32 s5, s40, s0
	s_addc_u32 s6, s41, s1
	s_lshl_b64 s[0:1], s[42:43], 4
	s_add_u32 s18, s5, s0
	s_addc_u32 s19, s6, s1
	s_lshl_b32 s58, s2, 5
	s_cmp_gt_i32 s2, -1
	s_cselect_b64 s[34:35], -1, 0
	s_cmpk_eq_i32 s48, 0x84
	s_cselect_b64 s[40:41], -1, 0
	s_ashr_i32 s43, s49, 31
	s_ashr_i32 s2, s50, 31
	s_lshl_b64 s[54:55], s[24:25], 9
	s_add_u32 s56, s49, -16
	s_mul_i32 s5, s39, s4
	s_mul_hi_u32 s8, s38, s4
	s_addc_u32 s57, s43, -1
	s_add_i32 s9, s8, s5
	s_mul_i32 s8, s38, s4
	s_lshl_b64 s[8:9], s[8:9], 4
	s_lshl_b64 s[10:11], s[30:31], 4
	s_add_u32 s5, s8, s10
	s_addc_u32 s9, s9, s11
	s_add_u32 s8, s28, s5
	s_mul_i32 s5, s27, s4
	s_mul_hi_u32 s10, s26, s4
	s_addc_u32 s9, s29, s9
	s_add_i32 s5, s10, s5
	s_mul_i32 s4, s26, s4
	s_lshl_b64 s[28:29], s[36:37], 4
	s_lshl_b32 s38, s51, 5
	s_lshl_b64 s[4:5], s[4:5], 4
	s_lshl_b64 s[10:11], s[22:23], 4
	s_add_u32 s10, s20, s10
	v_lshlrev_b32_e32 v0, 9, v12
	v_lshlrev_b32_e32 v18, 4, v14
	v_mov_b32_e32 v19, v13
	s_addc_u32 s11, s21, s11
	v_add_u32_e32 v41, v18, v0
	v_add_u32_e32 v66, 0x4000, v0
	v_lshl_add_u64 v[0:1], s[8:9], 0, v[18:19]
	s_mov_b64 s[8:9], 0x100
	s_add_u32 s4, s10, s4
	v_lshl_add_u64 v[30:31], v[0:1], 0, s[8:9]
	v_mov_b32_e32 v0, 0x100
	s_addc_u32 s5, s11, s5
	v_lshl_add_u32 v3, v12, 4, v0
	v_mov_b64_e32 v[0:1], s[4:5]
	v_mad_u64_u32 v[0:1], s[10:11], s24, v3, v[0:1]
	v_mov_b32_e32 v2, v1
	v_mad_u64_u32 v[2:3], s[10:11], s25, v3, v[2:3]
	v_mov_b32_e32 v1, v2
	v_lshl_add_u64 v[36:37], v[0:1], 0, s[8:9]
	v_mad_u64_u32 v[0:1], s[10:11], s24, v12, 0
	v_mov_b32_e32 v2, v1
	v_add_u32_e32 v16, s58, v14
	v_mad_u64_u32 v[2:3], s[10:11], s25, v12, v[2:3]
	v_ashrrev_i32_e32 v17, 31, v16
	v_sub_co_u32_e32 v24, vcc, v16, v12
	v_mov_b32_e32 v1, v2
	s_mov_b32 s42, s49
	v_lshl_add_u64 v[20:21], v[16:17], 0, 16
	v_add_u32_e32 v22, 16, v16
	v_subbrev_co_u32_e32 v25, vcc, 0, v17, vcc
	v_lshl_add_u64 v[0:1], v[0:1], 4, s[4:5]
	v_mov_b32_e32 v15, v13
	v_add_u32_e32 v67, v66, v18
	v_cmp_le_i32_e64 s[0:1], s49, v16
	v_cmp_le_i64_e64 s[14:15], s[42:43], v[20:21]
	v_cmp_gt_i32_e64 s[16:17], s49, v16
	v_cmp_gt_i32_e64 s[6:7], s49, v22
	v_ashrrev_i32_e32 v23, 31, v22
	v_lshl_add_u64 v[26:27], v[24:25], 0, 16
	v_lshl_add_u64 v[28:29], v[24:25], 0, -16
	v_lshl_add_u32 v32, s3, 5, v12
	v_lshlrev_b64 v[34:35], 4, v[16:17]
	v_lshl_add_u64 v[38:39], v[0:1], 0, s[8:9]
	s_mov_b64 s[20:21], 0x200
	v_mov_b32_e32 v68, v13
	v_mov_b32_e32 v69, v13
	;; [unrolled: 1-line block ×8, first 2 shown]
	s_branch .LBB108_4
.LBB108_3:                              ;   in Loop: Header=BB108_4 Depth=1
	s_or_b64 exec, exec, s[4:5]
	s_add_i32 s3, s51, s3
	s_cmp_le_i32 s3, s33
	v_add_u32_e32 v32, s38, v32
	s_cbranch_scc0 .LBB108_63
.LBB108_4:                              ; =>This Loop Header: Depth=1
                                        ;     Child Loop BB108_7 Depth 2
	v_lshl_add_u32 v40, s3, 5, v12
	v_ashrrev_i32_e32 v19, 31, v40
	v_mov_b64_e32 v[62:63], 0
	s_andn2_b64 vcc, exec, s[34:35]
	v_mov_b64_e32 v[64:65], 0
	v_mov_b64_e32 v[58:59], 0
	;; [unrolled: 1-line block ×7, first 2 shown]
	s_cbranch_vccnz .LBB108_55
; %bb.5:                                ;   in Loop: Header=BB108_4 Depth=1
	v_ashrrev_i32_e32 v33, 31, v32
	v_mad_u64_u32 v[42:43], s[4:5], s28, v32, v[30:31]
	v_mul_lo_u32 v4, s29, v32
	v_mul_lo_u32 v5, s28, v33
	v_add3_u32 v43, v4, v43, v5
	v_mov_b64_e32 v[4:5], 0x100
	v_lshl_add_u64 v[4:5], v[32:33], 4, v[4:5]
	v_mul_lo_u32 v5, s36, v5
	v_mul_lo_u32 v6, s37, v4
	v_mad_u64_u32 v[44:45], s[4:5], s36, v4, v[30:31]
	v_add3_u32 v45, v6, v45, v5
	v_mov_b32_e32 v5, s2
	v_sub_co_u32_e32 v4, vcc, s50, v40
	s_mov_b64 s[22:23], 0
	s_nop 0
	v_subb_co_u32_e32 v5, vcc, v5, v19, vcc
	v_cmp_lt_i64_e32 vcc, 0, v[4:5]
	v_cmp_lt_i64_e64 s[8:9], 16, v[4:5]
	v_mov_b64_e32 v[50:51], 0
	v_mov_b64_e32 v[46:47], v[38:39]
	;; [unrolled: 1-line block ×10, first 2 shown]
	s_branch .LBB108_7
.LBB108_6:                              ;   in Loop: Header=BB108_7 Depth=2
	s_or_b64 exec, exec, s[4:5]
	s_waitcnt lgkmcnt(0)
	s_barrier
	ds_read_b128 v[72:75], v18
	ds_read_b128 v[76:79], v66
	ds_read_b128 v[80:83], v66 offset:16
	ds_read_b128 v[8:11], v66 offset:32
	;; [unrolled: 1-line block ×4, first 2 shown]
	s_waitcnt lgkmcnt(4)
	v_mul_f64 v[88:89], v[78:79], v[74:75]
	v_fma_f64 v[88:89], v[76:77], v[72:73], -v[88:89]
	v_mul_f64 v[90:91], v[76:77], v[74:75]
	v_fmac_f64_e32 v[90:91], v[78:79], v[72:73]
	v_add_f64 v[88:89], v[62:63], v[88:89]
	s_waitcnt lgkmcnt(0)
	v_mul_f64 v[62:63], v[78:79], v[86:87]
	v_add_f64 v[90:91], v[90:91], v[64:65]
	v_fma_f64 v[92:93], v[76:77], v[84:85], -v[62:63]
	ds_read_b128 v[62:65], v66 offset:8192
	v_mul_f64 v[76:77], v[76:77], v[86:87]
	v_fmac_f64_e32 v[76:77], v[78:79], v[84:85]
	v_add_f64 v[78:79], v[58:59], v[92:93]
	v_add_f64 v[76:77], v[76:77], v[60:61]
	ds_read_b128 v[58:61], v66 offset:8208
	s_waitcnt lgkmcnt(1)
	v_mul_f64 v[92:93], v[64:65], v[74:75]
	v_fma_f64 v[92:93], v[62:63], v[72:73], -v[92:93]
	v_mul_f64 v[74:75], v[62:63], v[74:75]
	v_fmac_f64_e32 v[74:75], v[64:65], v[72:73]
	v_add_f64 v[72:73], v[54:55], v[92:93]
	v_mul_f64 v[54:55], v[64:65], v[86:87]
	v_add_f64 v[74:75], v[74:75], v[56:57]
	v_fma_f64 v[92:93], v[62:63], v[84:85], -v[54:55]
	v_mul_f64 v[62:63], v[62:63], v[86:87]
	ds_read_b128 v[54:57], v18 offset:512
	v_fmac_f64_e32 v[62:63], v[64:65], v[84:85]
	v_add_f64 v[64:65], v[52:53], v[92:93]
	v_add_f64 v[62:63], v[62:63], v[50:51]
	ds_read_b128 v[50:53], v18 offset:768
	s_waitcnt lgkmcnt(1)
	v_mul_f64 v[84:85], v[82:83], v[56:57]
	v_fma_f64 v[84:85], v[80:81], v[54:55], -v[84:85]
	v_add_f64 v[84:85], v[88:89], v[84:85]
	v_mul_f64 v[86:87], v[80:81], v[56:57]
	s_waitcnt lgkmcnt(0)
	v_mul_f64 v[88:89], v[82:83], v[52:53]
	v_fma_f64 v[88:89], v[80:81], v[50:51], -v[88:89]
	v_mul_f64 v[80:81], v[80:81], v[52:53]
	v_fmac_f64_e32 v[80:81], v[82:83], v[50:51]
	v_add_f64 v[76:77], v[80:81], v[76:77]
	v_mul_f64 v[80:81], v[60:61], v[56:57]
	v_mul_f64 v[56:57], v[58:59], v[56:57]
	v_fmac_f64_e32 v[86:87], v[82:83], v[54:55]
	v_fma_f64 v[80:81], v[58:59], v[54:55], -v[80:81]
	v_fmac_f64_e32 v[56:57], v[60:61], v[54:55]
	v_mul_f64 v[54:55], v[60:61], v[52:53]
	v_add_f64 v[74:75], v[56:57], v[74:75]
	v_fma_f64 v[56:57], v[58:59], v[50:51], -v[54:55]
	v_mul_f64 v[58:59], v[58:59], v[52:53]
	ds_read_b128 v[52:55], v18 offset:1024
	v_fmac_f64_e32 v[58:59], v[60:61], v[50:51]
	v_add_f64 v[72:73], v[72:73], v[80:81]
	v_add_f64 v[64:65], v[64:65], v[56:57]
	;; [unrolled: 1-line block ×3, first 2 shown]
	ds_read_b128 v[56:59], v18 offset:1280
	s_waitcnt lgkmcnt(1)
	v_mul_f64 v[50:51], v[10:11], v[54:55]
	v_mul_f64 v[60:61], v[8:9], v[54:55]
	v_add_f64 v[86:87], v[86:87], v[90:91]
	v_fma_f64 v[50:51], v[8:9], v[52:53], -v[50:51]
	v_fmac_f64_e32 v[60:61], v[10:11], v[52:53]
	v_add_f64 v[82:83], v[84:85], v[50:51]
	v_add_f64 v[84:85], v[60:61], v[86:87]
	ds_read_b128 v[60:63], v66 offset:8224
	s_waitcnt lgkmcnt(1)
	v_mul_f64 v[50:51], v[10:11], v[58:59]
	v_fma_f64 v[50:51], v[8:9], v[56:57], -v[50:51]
	v_mul_f64 v[8:9], v[8:9], v[58:59]
	v_add_f64 v[78:79], v[78:79], v[88:89]
	v_fmac_f64_e32 v[8:9], v[10:11], v[56:57]
	v_add_f64 v[78:79], v[78:79], v[50:51]
	v_add_f64 v[76:77], v[8:9], v[76:77]
	ds_read_b128 v[8:11], v66 offset:8240
	s_waitcnt lgkmcnt(1)
	v_mul_f64 v[50:51], v[62:63], v[54:55]
	v_fma_f64 v[50:51], v[60:61], v[52:53], -v[50:51]
	v_mul_f64 v[54:55], v[60:61], v[54:55]
	v_fmac_f64_e32 v[54:55], v[62:63], v[52:53]
	v_add_f64 v[72:73], v[72:73], v[50:51]
	v_mul_f64 v[50:51], v[62:63], v[58:59]
	v_add_f64 v[74:75], v[54:55], v[74:75]
	v_fma_f64 v[54:55], v[60:61], v[56:57], -v[50:51]
	v_mul_f64 v[58:59], v[60:61], v[58:59]
	ds_read_b128 v[50:53], v18 offset:1536
	v_fmac_f64_e32 v[58:59], v[62:63], v[56:57]
	v_add_f64 v[60:61], v[64:65], v[54:55]
	ds_read_b128 v[54:57], v18 offset:1792
	v_add_f64 v[58:59], v[58:59], v[80:81]
	s_waitcnt lgkmcnt(1)
	v_mul_f64 v[62:63], v[6:7], v[52:53]
	v_fma_f64 v[62:63], v[4:5], v[50:51], -v[62:63]
	v_mul_f64 v[64:65], v[4:5], v[52:53]
	s_waitcnt lgkmcnt(0)
	v_mul_f64 v[80:81], v[6:7], v[56:57]
	v_fma_f64 v[80:81], v[4:5], v[54:55], -v[80:81]
	v_mul_f64 v[4:5], v[4:5], v[56:57]
	v_fmac_f64_e32 v[4:5], v[6:7], v[54:55]
	v_add_f64 v[76:77], v[4:5], v[76:77]
	v_mul_f64 v[4:5], v[10:11], v[52:53]
	v_fmac_f64_e32 v[64:65], v[6:7], v[50:51]
	v_fma_f64 v[4:5], v[8:9], v[50:51], -v[4:5]
	v_mul_f64 v[6:7], v[8:9], v[52:53]
	v_fmac_f64_e32 v[6:7], v[10:11], v[50:51]
	v_add_f64 v[72:73], v[72:73], v[4:5]
	v_mul_f64 v[4:5], v[10:11], v[56:57]
	v_mul_f64 v[52:53], v[8:9], v[56:57]
	v_add_f64 v[74:75], v[6:7], v[74:75]
	v_fma_f64 v[50:51], v[8:9], v[54:55], -v[4:5]
	v_fmac_f64_e32 v[52:53], v[10:11], v[54:55]
	ds_read_b128 v[4:7], v66 offset:64
	ds_read_b128 v[8:11], v18 offset:2048
	v_add_f64 v[62:63], v[82:83], v[62:63]
	v_add_f64 v[78:79], v[78:79], v[80:81]
	;; [unrolled: 1-line block ×4, first 2 shown]
	ds_read_b128 v[50:53], v18 offset:2304
	ds_read_b128 v[54:57], v66 offset:80
	s_waitcnt lgkmcnt(2)
	v_mul_f64 v[58:59], v[6:7], v[10:11]
	v_fma_f64 v[58:59], v[4:5], v[8:9], -v[58:59]
	v_mul_f64 v[60:61], v[4:5], v[10:11]
	v_add_f64 v[64:65], v[64:65], v[84:85]
	v_fmac_f64_e32 v[60:61], v[6:7], v[8:9]
	v_add_f64 v[62:63], v[62:63], v[58:59]
	s_waitcnt lgkmcnt(1)
	v_mul_f64 v[58:59], v[6:7], v[52:53]
	v_add_f64 v[64:65], v[60:61], v[64:65]
	v_fma_f64 v[84:85], v[4:5], v[50:51], -v[58:59]
	ds_read_b128 v[58:61], v66 offset:8256
	v_mul_f64 v[4:5], v[4:5], v[52:53]
	v_fmac_f64_e32 v[4:5], v[6:7], v[50:51]
	v_add_f64 v[78:79], v[78:79], v[84:85]
	v_add_f64 v[76:77], v[4:5], v[76:77]
	ds_read_b128 v[4:7], v66 offset:8272
	s_waitcnt lgkmcnt(1)
	v_mul_f64 v[84:85], v[60:61], v[10:11]
	v_mul_f64 v[10:11], v[58:59], v[10:11]
	v_fma_f64 v[84:85], v[58:59], v[8:9], -v[84:85]
	v_fmac_f64_e32 v[10:11], v[60:61], v[8:9]
	v_mul_f64 v[8:9], v[60:61], v[52:53]
	v_add_f64 v[72:73], v[72:73], v[84:85]
	v_add_f64 v[74:75], v[10:11], v[74:75]
	v_fma_f64 v[84:85], v[58:59], v[50:51], -v[8:9]
	v_mul_f64 v[52:53], v[58:59], v[52:53]
	ds_read_b128 v[8:11], v18 offset:2560
	v_fmac_f64_e32 v[52:53], v[60:61], v[50:51]
	v_add_f64 v[60:61], v[52:53], v[82:83]
	ds_read_b128 v[50:53], v18 offset:2816
	v_add_f64 v[58:59], v[80:81], v[84:85]
	s_waitcnt lgkmcnt(1)
	v_mul_f64 v[80:81], v[56:57], v[10:11]
	v_fma_f64 v[80:81], v[54:55], v[8:9], -v[80:81]
	v_add_f64 v[62:63], v[62:63], v[80:81]
	s_waitcnt lgkmcnt(0)
	v_mul_f64 v[80:81], v[56:57], v[52:53]
	v_mul_f64 v[82:83], v[54:55], v[10:11]
	v_fma_f64 v[80:81], v[54:55], v[50:51], -v[80:81]
	v_mul_f64 v[54:55], v[54:55], v[52:53]
	v_fmac_f64_e32 v[54:55], v[56:57], v[50:51]
	v_add_f64 v[76:77], v[54:55], v[76:77]
	v_mul_f64 v[54:55], v[6:7], v[10:11]
	v_mul_f64 v[10:11], v[4:5], v[10:11]
	v_fmac_f64_e32 v[82:83], v[56:57], v[8:9]
	v_fma_f64 v[54:55], v[4:5], v[8:9], -v[54:55]
	v_fmac_f64_e32 v[10:11], v[6:7], v[8:9]
	v_mul_f64 v[8:9], v[6:7], v[52:53]
	v_mul_f64 v[52:53], v[4:5], v[52:53]
	v_add_f64 v[72:73], v[72:73], v[54:55]
	v_add_f64 v[74:75], v[10:11], v[74:75]
	v_fma_f64 v[54:55], v[4:5], v[50:51], -v[8:9]
	v_fmac_f64_e32 v[52:53], v[6:7], v[50:51]
	ds_read_b128 v[4:7], v66 offset:96
	ds_read_b128 v[8:11], v18 offset:3072
	v_add_f64 v[64:65], v[82:83], v[64:65]
	v_add_f64 v[78:79], v[78:79], v[80:81]
	v_add_f64 v[80:81], v[58:59], v[54:55]
	v_add_f64 v[82:83], v[52:53], v[60:61]
	ds_read_b128 v[50:53], v18 offset:3328
	ds_read_b128 v[54:57], v66 offset:112
	s_waitcnt lgkmcnt(2)
	v_mul_f64 v[58:59], v[6:7], v[10:11]
	v_fma_f64 v[58:59], v[4:5], v[8:9], -v[58:59]
	v_mul_f64 v[60:61], v[4:5], v[10:11]
	v_fmac_f64_e32 v[60:61], v[6:7], v[8:9]
	v_add_f64 v[62:63], v[62:63], v[58:59]
	s_waitcnt lgkmcnt(1)
	v_mul_f64 v[58:59], v[6:7], v[52:53]
	v_add_f64 v[64:65], v[60:61], v[64:65]
	v_fma_f64 v[84:85], v[4:5], v[50:51], -v[58:59]
	ds_read_b128 v[58:61], v66 offset:8288
	v_mul_f64 v[4:5], v[4:5], v[52:53]
	v_fmac_f64_e32 v[4:5], v[6:7], v[50:51]
	v_add_f64 v[78:79], v[78:79], v[84:85]
	v_add_f64 v[76:77], v[4:5], v[76:77]
	ds_read_b128 v[4:7], v66 offset:8304
	s_waitcnt lgkmcnt(1)
	v_mul_f64 v[84:85], v[60:61], v[10:11]
	v_mul_f64 v[10:11], v[58:59], v[10:11]
	v_fma_f64 v[84:85], v[58:59], v[8:9], -v[84:85]
	v_fmac_f64_e32 v[10:11], v[60:61], v[8:9]
	v_mul_f64 v[8:9], v[60:61], v[52:53]
	v_add_f64 v[72:73], v[72:73], v[84:85]
	v_add_f64 v[74:75], v[10:11], v[74:75]
	v_fma_f64 v[84:85], v[58:59], v[50:51], -v[8:9]
	v_mul_f64 v[52:53], v[58:59], v[52:53]
	ds_read_b128 v[8:11], v18 offset:3584
	v_fmac_f64_e32 v[52:53], v[60:61], v[50:51]
	v_add_f64 v[60:61], v[52:53], v[82:83]
	ds_read_b128 v[50:53], v18 offset:3840
	v_add_f64 v[58:59], v[80:81], v[84:85]
	s_waitcnt lgkmcnt(1)
	v_mul_f64 v[80:81], v[56:57], v[10:11]
	v_fma_f64 v[80:81], v[54:55], v[8:9], -v[80:81]
	v_add_f64 v[62:63], v[62:63], v[80:81]
	s_waitcnt lgkmcnt(0)
	v_mul_f64 v[80:81], v[56:57], v[52:53]
	v_mul_f64 v[82:83], v[54:55], v[10:11]
	v_fma_f64 v[80:81], v[54:55], v[50:51], -v[80:81]
	v_mul_f64 v[54:55], v[54:55], v[52:53]
	v_fmac_f64_e32 v[54:55], v[56:57], v[50:51]
	v_add_f64 v[76:77], v[54:55], v[76:77]
	v_mul_f64 v[54:55], v[6:7], v[10:11]
	v_mul_f64 v[10:11], v[4:5], v[10:11]
	v_fmac_f64_e32 v[82:83], v[56:57], v[8:9]
	v_fma_f64 v[54:55], v[4:5], v[8:9], -v[54:55]
	v_fmac_f64_e32 v[10:11], v[6:7], v[8:9]
	v_mul_f64 v[8:9], v[6:7], v[52:53]
	v_mul_f64 v[52:53], v[4:5], v[52:53]
	v_add_f64 v[72:73], v[72:73], v[54:55]
	v_add_f64 v[74:75], v[10:11], v[74:75]
	v_fma_f64 v[54:55], v[4:5], v[50:51], -v[8:9]
	v_fmac_f64_e32 v[52:53], v[6:7], v[50:51]
	ds_read_b128 v[4:7], v66 offset:128
	ds_read_b128 v[8:11], v18 offset:4096
	v_add_f64 v[64:65], v[82:83], v[64:65]
	v_add_f64 v[78:79], v[78:79], v[80:81]
	v_add_f64 v[80:81], v[58:59], v[54:55]
	v_add_f64 v[82:83], v[52:53], v[60:61]
	ds_read_b128 v[50:53], v18 offset:4352
	ds_read_b128 v[54:57], v66 offset:144
	s_waitcnt lgkmcnt(2)
	v_mul_f64 v[58:59], v[6:7], v[10:11]
	v_fma_f64 v[58:59], v[4:5], v[8:9], -v[58:59]
	v_mul_f64 v[60:61], v[4:5], v[10:11]
	;; [unrolled: 61-line block ×13, first 2 shown]
	v_fmac_f64_e32 v[60:61], v[6:7], v[8:9]
	v_add_f64 v[62:63], v[62:63], v[58:59]
	s_waitcnt lgkmcnt(1)
	v_mul_f64 v[58:59], v[6:7], v[52:53]
	v_add_f64 v[64:65], v[60:61], v[64:65]
	v_fma_f64 v[84:85], v[4:5], v[50:51], -v[58:59]
	ds_read_b128 v[58:61], v66 offset:8672
	v_mul_f64 v[4:5], v[4:5], v[52:53]
	v_fmac_f64_e32 v[4:5], v[6:7], v[50:51]
	v_add_f64 v[78:79], v[78:79], v[84:85]
	v_add_f64 v[76:77], v[4:5], v[76:77]
	ds_read_b128 v[4:7], v66 offset:8688
	s_waitcnt lgkmcnt(1)
	v_mul_f64 v[84:85], v[60:61], v[10:11]
	v_mul_f64 v[10:11], v[58:59], v[10:11]
	v_fma_f64 v[84:85], v[58:59], v[8:9], -v[84:85]
	v_fmac_f64_e32 v[10:11], v[60:61], v[8:9]
	v_mul_f64 v[8:9], v[60:61], v[52:53]
	v_add_f64 v[72:73], v[72:73], v[84:85]
	v_add_f64 v[74:75], v[10:11], v[74:75]
	v_fma_f64 v[84:85], v[58:59], v[50:51], -v[8:9]
	v_mul_f64 v[52:53], v[58:59], v[52:53]
	ds_read_b128 v[8:11], v18 offset:15872
	v_fmac_f64_e32 v[52:53], v[60:61], v[50:51]
	v_add_f64 v[82:83], v[52:53], v[82:83]
	ds_read_b128 v[50:53], v18 offset:16128
	s_add_u32 s22, s22, 32
	s_waitcnt lgkmcnt(1)
	v_mul_f64 v[58:59], v[56:57], v[10:11]
	v_fma_f64 v[58:59], v[54:55], v[8:9], -v[58:59]
	v_add_f64 v[62:63], v[62:63], v[58:59]
	s_waitcnt lgkmcnt(0)
	v_mul_f64 v[58:59], v[56:57], v[52:53]
	v_mul_f64 v[60:61], v[54:55], v[10:11]
	v_fma_f64 v[58:59], v[54:55], v[50:51], -v[58:59]
	v_mul_f64 v[54:55], v[54:55], v[52:53]
	v_fmac_f64_e32 v[60:61], v[56:57], v[8:9]
	v_fmac_f64_e32 v[54:55], v[56:57], v[50:51]
	v_add_f64 v[64:65], v[60:61], v[64:65]
	v_add_f64 v[60:61], v[54:55], v[76:77]
	v_mul_f64 v[54:55], v[6:7], v[10:11]
	v_mul_f64 v[10:11], v[4:5], v[10:11]
	v_fma_f64 v[54:55], v[4:5], v[8:9], -v[54:55]
	v_fmac_f64_e32 v[10:11], v[6:7], v[8:9]
	v_mul_f64 v[8:9], v[6:7], v[52:53]
	v_fma_f64 v[8:9], v[4:5], v[50:51], -v[8:9]
	v_mul_f64 v[4:5], v[4:5], v[52:53]
	v_add_f64 v[80:81], v[80:81], v[84:85]
	v_fmac_f64_e32 v[4:5], v[6:7], v[50:51]
	s_addc_u32 s23, s23, 0
	s_sub_i32 s4, s22, 32
	v_add_f64 v[58:59], v[78:79], v[58:59]
	v_add_f64 v[54:55], v[72:73], v[54:55]
	;; [unrolled: 1-line block ×5, first 2 shown]
	v_lshl_add_u64 v[42:43], v[42:43], 0, s[20:21]
	v_lshl_add_u64 v[48:49], v[48:49], 0, s[54:55]
	;; [unrolled: 1-line block ×3, first 2 shown]
	s_cmp_ge_i32 s4, s58
	v_lshl_add_u64 v[44:45], v[44:45], 0, s[20:21]
	s_barrier
	s_cbranch_scc1 .LBB108_55
.LBB108_7:                              ;   Parent Loop BB108_4 Depth=1
                                        ; =>  This Inner Loop Header: Depth=2
	v_lshl_add_u64 v[4:5], v[12:13], 0, s[22:23]
	v_cmp_le_i64_e64 s[12:13], s[42:43], v[4:5]
	v_cmp_eq_u64_e64 s[4:5], s[22:23], v[24:25]
	v_cmp_gt_i64_e64 s[10:11], v[4:5], v[16:17]
	s_and_b64 s[26:27], s[40:41], s[4:5]
	s_or_b64 s[4:5], s[12:13], s[10:11]
	s_or_b64 s[4:5], s[4:5], s[26:27]
	v_lshl_add_u64 v[6:7], v[46:47], 0, v[34:35]
	s_nor_b64 s[4:5], s[0:1], s[4:5]
	s_and_saveexec_b64 s[24:25], s[4:5]
	s_xor_b64 s[4:5], exec, s[24:25]
	s_cbranch_execz .LBB108_9
; %bb.8:                                ;   in Loop: Header=BB108_7 Depth=2
	global_load_dwordx4 v[8:11], v[6:7], off offset:-256
	s_waitcnt vmcnt(0)
	ds_write2_b64 v41, v[8:9], v[10:11] offset1:1
.LBB108_9:                              ;   in Loop: Header=BB108_7 Depth=2
	s_or_saveexec_b64 s[4:5], s[4:5]
	s_xor_b64 s[24:25], s[26:27], -1
	s_xor_b64 exec, exec, s[4:5]
	s_cbranch_execz .LBB108_15
; %bb.10:                               ;   in Loop: Header=BB108_7 Depth=2
	s_and_saveexec_b64 s[30:31], s[24:25]
	s_xor_b64 s[30:31], exec, s[30:31]
; %bb.11:                               ;   in Loop: Header=BB108_7 Depth=2
	ds_write_b128 v41, v[68:71]
; %bb.12:                               ;   in Loop: Header=BB108_7 Depth=2
	s_andn2_saveexec_b64 s[30:31], s[30:31]
; %bb.13:                               ;   in Loop: Header=BB108_7 Depth=2
	ds_write_b128 v41, v[0:3]
; %bb.14:                               ;   in Loop: Header=BB108_7 Depth=2
	s_or_b64 exec, exec, s[30:31]
.LBB108_15:                             ;   in Loop: Header=BB108_7 Depth=2
	s_or_b64 exec, exec, s[4:5]
	v_cmp_eq_u64_e64 s[4:5], s[22:23], v[26:27]
	s_and_b64 s[30:31], s[40:41], s[4:5]
	v_cmp_lt_i64_e64 s[4:5], v[20:21], v[4:5]
	s_or_b64 s[4:5], s[12:13], s[4:5]
	s_or_b64 s[4:5], s[4:5], s[30:31]
	s_nor_b64 s[4:5], s[14:15], s[4:5]
	s_and_saveexec_b64 s[12:13], s[4:5]
	s_xor_b64 s[4:5], exec, s[12:13]
	s_cbranch_execz .LBB108_17
; %bb.16:                               ;   in Loop: Header=BB108_7 Depth=2
	global_load_dwordx4 v[6:9], v[6:7], off
	v_add_u32_e32 v10, 0x100, v41
	s_waitcnt vmcnt(0)
	ds_write2_b64 v10, v[6:7], v[8:9] offset1:1
.LBB108_17:                             ;   in Loop: Header=BB108_7 Depth=2
	s_andn2_saveexec_b64 s[4:5], s[4:5]
	s_cbranch_execz .LBB108_23
; %bb.18:                               ;   in Loop: Header=BB108_7 Depth=2
	s_xor_b64 s[12:13], s[30:31], -1
	s_and_saveexec_b64 s[30:31], s[12:13]
	s_xor_b64 s[12:13], exec, s[30:31]
; %bb.19:                               ;   in Loop: Header=BB108_7 Depth=2
	ds_write_b128 v41, v[68:71] offset:256
; %bb.20:                               ;   in Loop: Header=BB108_7 Depth=2
	s_andn2_saveexec_b64 s[12:13], s[12:13]
; %bb.21:                               ;   in Loop: Header=BB108_7 Depth=2
	ds_write_b128 v41, v[0:3] offset:256
; %bb.22:                               ;   in Loop: Header=BB108_7 Depth=2
	s_or_b64 exec, exec, s[12:13]
.LBB108_23:                             ;   in Loop: Header=BB108_7 Depth=2
	s_or_b64 exec, exec, s[4:5]
	v_lshl_add_u64 v[6:7], v[4:5], 0, 16
	v_cmp_eq_u64_e64 s[4:5], s[22:23], v[28:29]
	v_cmp_le_i64_e64 s[12:13], s[42:43], v[6:7]
	s_and_b64 s[30:31], s[40:41], s[4:5]
	v_cmp_gt_i64_e64 s[4:5], v[6:7], v[16:17]
	s_or_b64 s[4:5], s[12:13], s[4:5]
	s_or_b64 s[4:5], s[4:5], s[30:31]
	v_lshl_add_u64 v[4:5], v[48:49], 0, v[34:35]
	s_nor_b64 s[4:5], s[0:1], s[4:5]
	s_and_saveexec_b64 s[48:49], s[4:5]
	s_xor_b64 s[4:5], exec, s[48:49]
	s_cbranch_execz .LBB108_25
; %bb.24:                               ;   in Loop: Header=BB108_7 Depth=2
	global_load_dwordx4 v[6:9], v[4:5], off offset:-256
	v_add_u32_e32 v10, 0x2000, v41
	s_waitcnt vmcnt(0)
	ds_write2_b64 v10, v[6:7], v[8:9] offset1:1
.LBB108_25:                             ;   in Loop: Header=BB108_7 Depth=2
	s_andn2_saveexec_b64 s[4:5], s[4:5]
	s_cbranch_execz .LBB108_31
; %bb.26:                               ;   in Loop: Header=BB108_7 Depth=2
	s_xor_b64 s[30:31], s[30:31], -1
	s_and_saveexec_b64 s[48:49], s[30:31]
	s_xor_b64 s[30:31], exec, s[48:49]
; %bb.27:                               ;   in Loop: Header=BB108_7 Depth=2
	ds_write_b128 v41, v[68:71] offset:8192
; %bb.28:                               ;   in Loop: Header=BB108_7 Depth=2
	s_andn2_saveexec_b64 s[30:31], s[30:31]
; %bb.29:                               ;   in Loop: Header=BB108_7 Depth=2
	ds_write_b128 v41, v[0:3] offset:8192
; %bb.30:                               ;   in Loop: Header=BB108_7 Depth=2
	s_or_b64 exec, exec, s[30:31]
.LBB108_31:                             ;   in Loop: Header=BB108_7 Depth=2
	s_or_b64 exec, exec, s[4:5]
	s_or_b64 s[4:5], s[12:13], s[10:11]
	s_or_b64 s[4:5], s[4:5], s[26:27]
	s_nor_b64 s[4:5], s[14:15], s[4:5]
	s_and_saveexec_b64 s[10:11], s[4:5]
	s_xor_b64 s[4:5], exec, s[10:11]
	s_cbranch_execz .LBB108_33
; %bb.32:                               ;   in Loop: Header=BB108_7 Depth=2
	global_load_dwordx4 v[4:7], v[4:5], off
	v_add_u32_e32 v8, 0x2100, v41
	s_waitcnt vmcnt(0)
	ds_write2_b64 v8, v[4:5], v[6:7] offset1:1
.LBB108_33:                             ;   in Loop: Header=BB108_7 Depth=2
	s_andn2_saveexec_b64 s[4:5], s[4:5]
	s_cbranch_execz .LBB108_39
; %bb.34:                               ;   in Loop: Header=BB108_7 Depth=2
	s_and_saveexec_b64 s[10:11], s[24:25]
	s_xor_b64 s[10:11], exec, s[10:11]
; %bb.35:                               ;   in Loop: Header=BB108_7 Depth=2
	ds_write_b128 v41, v[68:71] offset:8448
; %bb.36:                               ;   in Loop: Header=BB108_7 Depth=2
	s_andn2_saveexec_b64 s[10:11], s[10:11]
; %bb.37:                               ;   in Loop: Header=BB108_7 Depth=2
	ds_write_b128 v41, v[0:3] offset:8448
; %bb.38:                               ;   in Loop: Header=BB108_7 Depth=2
	s_or_b64 exec, exec, s[10:11]
.LBB108_39:                             ;   in Loop: Header=BB108_7 Depth=2
	s_or_b64 exec, exec, s[4:5]
	v_lshl_add_u64 v[4:5], v[14:15], 0, s[22:23]
	v_cmp_gt_i64_e64 s[10:11], s[42:43], v[4:5]
	s_and_b64 s[4:5], vcc, s[10:11]
	s_xor_b64 s[4:5], s[4:5], -1
	s_and_saveexec_b64 s[12:13], s[4:5]
	s_xor_b64 s[4:5], exec, s[12:13]
; %bb.40:                               ;   in Loop: Header=BB108_7 Depth=2
	ds_write_b128 v67, v[68:71]
; %bb.41:                               ;   in Loop: Header=BB108_7 Depth=2
	s_andn2_saveexec_b64 s[4:5], s[4:5]
	s_cbranch_execz .LBB108_43
; %bb.42:                               ;   in Loop: Header=BB108_7 Depth=2
	global_load_dwordx4 v[6:9], v[42:43], off offset:-256
	s_waitcnt vmcnt(0)
	ds_write2_b64 v67, v[6:7], v[8:9] offset1:1
.LBB108_43:                             ;   in Loop: Header=BB108_7 Depth=2
	s_or_b64 exec, exec, s[4:5]
	v_cmp_gt_i64_e64 s[12:13], s[56:57], v[4:5]
	s_and_b64 s[4:5], vcc, s[12:13]
	s_xor_b64 s[4:5], s[4:5], -1
	s_and_saveexec_b64 s[24:25], s[4:5]
	s_xor_b64 s[4:5], exec, s[24:25]
; %bb.44:                               ;   in Loop: Header=BB108_7 Depth=2
	ds_write_b128 v67, v[68:71] offset:256
; %bb.45:                               ;   in Loop: Header=BB108_7 Depth=2
	s_andn2_saveexec_b64 s[4:5], s[4:5]
	s_cbranch_execz .LBB108_47
; %bb.46:                               ;   in Loop: Header=BB108_7 Depth=2
	global_load_dwordx4 v[4:7], v[42:43], off
	v_add_u32_e32 v8, 0x100, v67
	s_waitcnt vmcnt(0)
	ds_write2_b64 v8, v[4:5], v[6:7] offset1:1
.LBB108_47:                             ;   in Loop: Header=BB108_7 Depth=2
	s_or_b64 exec, exec, s[4:5]
	s_and_b64 s[4:5], s[8:9], s[10:11]
	s_xor_b64 s[4:5], s[4:5], -1
	s_and_saveexec_b64 s[10:11], s[4:5]
	s_xor_b64 s[4:5], exec, s[10:11]
; %bb.48:                               ;   in Loop: Header=BB108_7 Depth=2
	ds_write_b128 v67, v[68:71] offset:8192
; %bb.49:                               ;   in Loop: Header=BB108_7 Depth=2
	s_andn2_saveexec_b64 s[4:5], s[4:5]
	s_cbranch_execz .LBB108_51
; %bb.50:                               ;   in Loop: Header=BB108_7 Depth=2
	global_load_dwordx4 v[4:7], v[44:45], off offset:-256
	v_add_u32_e32 v8, 0x2000, v67
	s_waitcnt vmcnt(0)
	ds_write2_b64 v8, v[4:5], v[6:7] offset1:1
.LBB108_51:                             ;   in Loop: Header=BB108_7 Depth=2
	s_or_b64 exec, exec, s[4:5]
	s_and_b64 s[4:5], s[8:9], s[12:13]
	s_xor_b64 s[4:5], s[4:5], -1
	s_and_saveexec_b64 s[10:11], s[4:5]
	s_xor_b64 s[4:5], exec, s[10:11]
; %bb.52:                               ;   in Loop: Header=BB108_7 Depth=2
	ds_write_b128 v67, v[68:71] offset:8448
; %bb.53:                               ;   in Loop: Header=BB108_7 Depth=2
	s_andn2_saveexec_b64 s[4:5], s[4:5]
	s_cbranch_execz .LBB108_6
; %bb.54:                               ;   in Loop: Header=BB108_7 Depth=2
	global_load_dwordx4 v[4:7], v[44:45], off
	v_add_u32_e32 v8, 0x2100, v67
	s_waitcnt vmcnt(0)
	ds_write2_b64 v8, v[4:5], v[6:7] offset1:1
	s_branch .LBB108_6
.LBB108_55:                             ;   in Loop: Header=BB108_4 Depth=1
	v_mul_lo_u32 v6, s53, v40
	v_mul_lo_u32 v7, s52, v19
	v_mad_u64_u32 v[4:5], s[4:5], s52, v40, 0
	v_cmp_gt_i32_e32 vcc, s50, v40
	v_add3_u32 v5, v5, v7, v6
	v_lshl_add_u64 v[4:5], v[4:5], 4, s[18:19]
	s_and_b64 s[8:9], s[16:17], vcc
	s_and_saveexec_b64 s[4:5], s[8:9]
	s_cbranch_execz .LBB108_57
; %bb.56:                               ;   in Loop: Header=BB108_4 Depth=1
	v_lshl_add_u64 v[10:11], v[16:17], 4, v[4:5]
	global_load_dwordx4 v[6:9], v[10:11], off
	v_mul_f64 v[42:43], s[46:47], v[64:65]
	v_mul_f64 v[44:45], s[44:45], v[64:65]
	v_fma_f64 v[42:43], s[44:45], v[62:63], -v[42:43]
	v_fmac_f64_e32 v[44:45], s[46:47], v[62:63]
	s_waitcnt vmcnt(0)
	v_add_f64 v[6:7], v[6:7], v[42:43]
	v_add_f64 v[8:9], v[44:45], v[8:9]
	global_store_dwordx4 v[10:11], v[6:9], off
.LBB108_57:                             ;   in Loop: Header=BB108_4 Depth=1
	s_or_b64 exec, exec, s[4:5]
	s_and_b64 s[8:9], s[6:7], vcc
	s_and_saveexec_b64 s[4:5], s[8:9]
	s_cbranch_execz .LBB108_59
; %bb.58:                               ;   in Loop: Header=BB108_4 Depth=1
	v_lshl_add_u64 v[8:9], v[22:23], 4, v[4:5]
	global_load_dwordx4 v[4:7], v[8:9], off
	v_mul_f64 v[10:11], s[46:47], v[60:61]
	v_mul_f64 v[42:43], s[44:45], v[60:61]
	v_fma_f64 v[10:11], s[44:45], v[58:59], -v[10:11]
	v_fmac_f64_e32 v[42:43], s[46:47], v[58:59]
	s_waitcnt vmcnt(0)
	v_add_f64 v[4:5], v[4:5], v[10:11]
	v_add_f64 v[6:7], v[42:43], v[6:7]
	global_store_dwordx4 v[8:9], v[4:7], off
.LBB108_59:                             ;   in Loop: Header=BB108_4 Depth=1
	s_or_b64 exec, exec, s[4:5]
	s_nop 0
	v_add_u32_e32 v4, 16, v40
	v_ashrrev_i32_e32 v5, 31, v4
	v_cmp_gt_i32_e32 vcc, s50, v4
	v_mul_lo_u32 v6, s52, v5
	v_mul_lo_u32 v7, s53, v4
	v_mad_u64_u32 v[4:5], s[4:5], s52, v4, 0
	v_add3_u32 v5, v5, v6, v7
	v_lshl_add_u64 v[4:5], v[4:5], 4, s[18:19]
	s_and_b64 s[8:9], s[16:17], vcc
	s_and_saveexec_b64 s[4:5], s[8:9]
	s_cbranch_execz .LBB108_61
; %bb.60:                               ;   in Loop: Header=BB108_4 Depth=1
	v_lshl_add_u64 v[10:11], v[16:17], 4, v[4:5]
	global_load_dwordx4 v[6:9], v[10:11], off
	v_mul_f64 v[42:43], s[46:47], v[56:57]
	v_mul_f64 v[44:45], s[44:45], v[56:57]
	v_fma_f64 v[42:43], s[44:45], v[54:55], -v[42:43]
	v_fmac_f64_e32 v[44:45], s[46:47], v[54:55]
	s_waitcnt vmcnt(0)
	v_add_f64 v[6:7], v[6:7], v[42:43]
	v_add_f64 v[8:9], v[44:45], v[8:9]
	global_store_dwordx4 v[10:11], v[6:9], off
.LBB108_61:                             ;   in Loop: Header=BB108_4 Depth=1
	s_or_b64 exec, exec, s[4:5]
	s_and_b64 s[8:9], s[6:7], vcc
	s_and_saveexec_b64 s[4:5], s[8:9]
	s_cbranch_execz .LBB108_3
; %bb.62:                               ;   in Loop: Header=BB108_4 Depth=1
	v_lshl_add_u64 v[8:9], v[22:23], 4, v[4:5]
	global_load_dwordx4 v[4:7], v[8:9], off
	v_mul_f64 v[10:11], s[46:47], v[50:51]
	v_mul_f64 v[42:43], s[44:45], v[50:51]
	v_fma_f64 v[10:11], s[44:45], v[52:53], -v[10:11]
	v_fmac_f64_e32 v[42:43], s[46:47], v[52:53]
	s_waitcnt vmcnt(0)
	v_add_f64 v[4:5], v[4:5], v[10:11]
	v_add_f64 v[6:7], v[42:43], v[6:7]
	global_store_dwordx4 v[8:9], v[4:7], off
	s_branch .LBB108_3
.LBB108_63:
	s_endpgm
	.section	.rodata,"a",@progbits
	.p2align	6, 0x0
	.amdhsa_kernel _ZL30rocblas_trmm_outofplace_kernelI19rocblas_complex_numIdELi32ELi2ELb1ELb0ELb0ELb0EPKS1_S2_S1_Ev17rocblas_diagonal_iiT6_lPT7_lllS7_lllPT8_llli
		.amdhsa_group_segment_fixed_size 32768
		.amdhsa_private_segment_fixed_size 0
		.amdhsa_kernarg_size 392
		.amdhsa_user_sgpr_count 2
		.amdhsa_user_sgpr_dispatch_ptr 0
		.amdhsa_user_sgpr_queue_ptr 0
		.amdhsa_user_sgpr_kernarg_segment_ptr 1
		.amdhsa_user_sgpr_dispatch_id 0
		.amdhsa_user_sgpr_kernarg_preload_length 0
		.amdhsa_user_sgpr_kernarg_preload_offset 0
		.amdhsa_user_sgpr_private_segment_size 0
		.amdhsa_uses_dynamic_stack 0
		.amdhsa_enable_private_segment 0
		.amdhsa_system_sgpr_workgroup_id_x 1
		.amdhsa_system_sgpr_workgroup_id_y 1
		.amdhsa_system_sgpr_workgroup_id_z 1
		.amdhsa_system_sgpr_workgroup_info 0
		.amdhsa_system_vgpr_workitem_id 1
		.amdhsa_next_free_vgpr 94
		.amdhsa_next_free_sgpr 59
		.amdhsa_accum_offset 96
		.amdhsa_reserve_vcc 1
		.amdhsa_float_round_mode_32 0
		.amdhsa_float_round_mode_16_64 0
		.amdhsa_float_denorm_mode_32 3
		.amdhsa_float_denorm_mode_16_64 3
		.amdhsa_dx10_clamp 1
		.amdhsa_ieee_mode 1
		.amdhsa_fp16_overflow 0
		.amdhsa_tg_split 0
		.amdhsa_exception_fp_ieee_invalid_op 0
		.amdhsa_exception_fp_denorm_src 0
		.amdhsa_exception_fp_ieee_div_zero 0
		.amdhsa_exception_fp_ieee_overflow 0
		.amdhsa_exception_fp_ieee_underflow 0
		.amdhsa_exception_fp_ieee_inexact 0
		.amdhsa_exception_int_div_zero 0
	.end_amdhsa_kernel
	.section	.text._ZL30rocblas_trmm_outofplace_kernelI19rocblas_complex_numIdELi32ELi2ELb1ELb0ELb0ELb0EPKS1_S2_S1_Ev17rocblas_diagonal_iiT6_lPT7_lllS7_lllPT8_llli,"axG",@progbits,_ZL30rocblas_trmm_outofplace_kernelI19rocblas_complex_numIdELi32ELi2ELb1ELb0ELb0ELb0EPKS1_S2_S1_Ev17rocblas_diagonal_iiT6_lPT7_lllS7_lllPT8_llli,comdat
.Lfunc_end108:
	.size	_ZL30rocblas_trmm_outofplace_kernelI19rocblas_complex_numIdELi32ELi2ELb1ELb0ELb0ELb0EPKS1_S2_S1_Ev17rocblas_diagonal_iiT6_lPT7_lllS7_lllPT8_llli, .Lfunc_end108-_ZL30rocblas_trmm_outofplace_kernelI19rocblas_complex_numIdELi32ELi2ELb1ELb0ELb0ELb0EPKS1_S2_S1_Ev17rocblas_diagonal_iiT6_lPT7_lllS7_lllPT8_llli
                                        ; -- End function
	.set _ZL30rocblas_trmm_outofplace_kernelI19rocblas_complex_numIdELi32ELi2ELb1ELb0ELb0ELb0EPKS1_S2_S1_Ev17rocblas_diagonal_iiT6_lPT7_lllS7_lllPT8_llli.num_vgpr, 94
	.set _ZL30rocblas_trmm_outofplace_kernelI19rocblas_complex_numIdELi32ELi2ELb1ELb0ELb0ELb0EPKS1_S2_S1_Ev17rocblas_diagonal_iiT6_lPT7_lllS7_lllPT8_llli.num_agpr, 0
	.set _ZL30rocblas_trmm_outofplace_kernelI19rocblas_complex_numIdELi32ELi2ELb1ELb0ELb0ELb0EPKS1_S2_S1_Ev17rocblas_diagonal_iiT6_lPT7_lllS7_lllPT8_llli.numbered_sgpr, 59
	.set _ZL30rocblas_trmm_outofplace_kernelI19rocblas_complex_numIdELi32ELi2ELb1ELb0ELb0ELb0EPKS1_S2_S1_Ev17rocblas_diagonal_iiT6_lPT7_lllS7_lllPT8_llli.num_named_barrier, 0
	.set _ZL30rocblas_trmm_outofplace_kernelI19rocblas_complex_numIdELi32ELi2ELb1ELb0ELb0ELb0EPKS1_S2_S1_Ev17rocblas_diagonal_iiT6_lPT7_lllS7_lllPT8_llli.private_seg_size, 0
	.set _ZL30rocblas_trmm_outofplace_kernelI19rocblas_complex_numIdELi32ELi2ELb1ELb0ELb0ELb0EPKS1_S2_S1_Ev17rocblas_diagonal_iiT6_lPT7_lllS7_lllPT8_llli.uses_vcc, 1
	.set _ZL30rocblas_trmm_outofplace_kernelI19rocblas_complex_numIdELi32ELi2ELb1ELb0ELb0ELb0EPKS1_S2_S1_Ev17rocblas_diagonal_iiT6_lPT7_lllS7_lllPT8_llli.uses_flat_scratch, 0
	.set _ZL30rocblas_trmm_outofplace_kernelI19rocblas_complex_numIdELi32ELi2ELb1ELb0ELb0ELb0EPKS1_S2_S1_Ev17rocblas_diagonal_iiT6_lPT7_lllS7_lllPT8_llli.has_dyn_sized_stack, 0
	.set _ZL30rocblas_trmm_outofplace_kernelI19rocblas_complex_numIdELi32ELi2ELb1ELb0ELb0ELb0EPKS1_S2_S1_Ev17rocblas_diagonal_iiT6_lPT7_lllS7_lllPT8_llli.has_recursion, 0
	.set _ZL30rocblas_trmm_outofplace_kernelI19rocblas_complex_numIdELi32ELi2ELb1ELb0ELb0ELb0EPKS1_S2_S1_Ev17rocblas_diagonal_iiT6_lPT7_lllS7_lllPT8_llli.has_indirect_call, 0
	.section	.AMDGPU.csdata,"",@progbits
; Kernel info:
; codeLenInByte = 9136
; TotalNumSgprs: 65
; NumVgprs: 94
; NumAgprs: 0
; TotalNumVgprs: 94
; ScratchSize: 0
; MemoryBound: 0
; FloatMode: 240
; IeeeMode: 1
; LDSByteSize: 32768 bytes/workgroup (compile time only)
; SGPRBlocks: 8
; VGPRBlocks: 11
; NumSGPRsForWavesPerEU: 65
; NumVGPRsForWavesPerEU: 94
; AccumOffset: 96
; Occupancy: 5
; WaveLimiterHint : 0
; COMPUTE_PGM_RSRC2:SCRATCH_EN: 0
; COMPUTE_PGM_RSRC2:USER_SGPR: 2
; COMPUTE_PGM_RSRC2:TRAP_HANDLER: 0
; COMPUTE_PGM_RSRC2:TGID_X_EN: 1
; COMPUTE_PGM_RSRC2:TGID_Y_EN: 1
; COMPUTE_PGM_RSRC2:TGID_Z_EN: 1
; COMPUTE_PGM_RSRC2:TIDIG_COMP_CNT: 1
; COMPUTE_PGM_RSRC3_GFX90A:ACCUM_OFFSET: 23
; COMPUTE_PGM_RSRC3_GFX90A:TG_SPLIT: 0
	.section	.text._ZL30rocblas_trmm_outofplace_kernelI19rocblas_complex_numIdELi32ELi2ELb1ELb0ELb0ELb0ES1_KS1_S1_Ev17rocblas_diagonal_iiT6_lPT7_lllS6_lllPT8_llli,"axG",@progbits,_ZL30rocblas_trmm_outofplace_kernelI19rocblas_complex_numIdELi32ELi2ELb1ELb0ELb0ELb0ES1_KS1_S1_Ev17rocblas_diagonal_iiT6_lPT7_lllS6_lllPT8_llli,comdat
	.globl	_ZL30rocblas_trmm_outofplace_kernelI19rocblas_complex_numIdELi32ELi2ELb1ELb0ELb0ELb0ES1_KS1_S1_Ev17rocblas_diagonal_iiT6_lPT7_lllS6_lllPT8_llli ; -- Begin function _ZL30rocblas_trmm_outofplace_kernelI19rocblas_complex_numIdELi32ELi2ELb1ELb0ELb0ELb0ES1_KS1_S1_Ev17rocblas_diagonal_iiT6_lPT7_lllS6_lllPT8_llli
	.p2align	8
	.type	_ZL30rocblas_trmm_outofplace_kernelI19rocblas_complex_numIdELi32ELi2ELb1ELb0ELb0ELb0ES1_KS1_S1_Ev17rocblas_diagonal_iiT6_lPT7_lllS6_lllPT8_llli,@function
_ZL30rocblas_trmm_outofplace_kernelI19rocblas_complex_numIdELi32ELi2ELb1ELb0ELb0ELb0ES1_KS1_S1_Ev17rocblas_diagonal_iiT6_lPT7_lllS6_lllPT8_llli: ; @_ZL30rocblas_trmm_outofplace_kernelI19rocblas_complex_numIdELi32ELi2ELb1ELb0ELb0ELb0ES1_KS1_S1_Ev17rocblas_diagonal_iiT6_lPT7_lllS6_lllPT8_llli
; %bb.0:
	s_load_dwordx4 s[24:27], s[0:1], 0x10
	s_waitcnt lgkmcnt(0)
	v_cmp_eq_f64_e64 s[6:7], s[24:25], 0
	v_cmp_eq_f64_e64 s[8:9], s[26:27], 0
	s_and_b64 s[6:7], s[6:7], s[8:9]
	s_and_b64 vcc, exec, s[6:7]
	s_cbranch_vccnz .LBB109_63
; %bb.1:
	s_load_dwordx4 s[28:31], s[0:1], 0x0
	s_waitcnt lgkmcnt(0)
	s_add_i32 s5, s30, -1
	s_ashr_i32 s6, s5, 31
	s_lshr_b32 s6, s6, 27
	s_add_i32 s5, s5, s6
	s_ashr_i32 s31, s5, 5
	s_cmp_gt_i32 s3, s31
	s_cbranch_scc1 .LBB109_63
; %bb.2:
	s_load_dwordx8 s[16:23], s[0:1], 0x68
	s_load_dwordx16 s[36:51], s[0:1], 0x28
	s_load_dword s58, s[0:1], 0x94
	v_and_b32_e32 v14, 0x3ff, v0
	s_mov_b32 s52, s29
	s_waitcnt lgkmcnt(0)
	s_mul_i32 s5, s23, s4
	s_mul_hi_u32 s7, s22, s4
	s_mul_i32 s6, s22, s4
	s_add_i32 s7, s7, s5
	s_lshl_b64 s[6:7], s[6:7], 4
	s_add_u32 s5, s16, s6
	s_addc_u32 s8, s17, s7
	s_lshl_b64 s[6:7], s[18:19], 4
	s_add_u32 s18, s5, s6
	s_addc_u32 s19, s8, s7
	s_lshl_b32 s33, s2, 5
	s_cmp_gt_i32 s2, -1
	s_cselect_b64 s[22:23], -1, 0
	s_cmpk_eq_i32 s28, 0x84
	s_cselect_b64 s[34:35], -1, 0
	s_ashr_i32 s53, s29, 31
	s_ashr_i32 s2, s30, 31
	s_lshl_b64 s[54:55], s[40:41], 9
	s_add_u32 s56, s29, -16
	s_mul_i32 s5, s51, s4
	s_mul_hi_u32 s8, s50, s4
	s_addc_u32 s57, s53, -1
	s_add_i32 s9, s8, s5
	s_mul_i32 s8, s50, s4
	s_lshl_b64 s[8:9], s[8:9], 4
	s_lshl_b64 s[10:11], s[46:47], 4
	s_add_u32 s5, s8, s10
	s_addc_u32 s9, s9, s11
	v_add_u32_e32 v16, s33, v14
	s_add_u32 s8, s44, s5
	s_mul_i32 s5, s43, s4
	s_mul_hi_u32 s10, s42, s4
	v_add_u32_e32 v22, 16, v16
	s_addc_u32 s9, s45, s9
	s_add_i32 s5, s10, s5
	s_mul_i32 s4, s42, s4
	v_cmp_le_i32_e64 s[0:1], s29, v16
	v_cmp_gt_i32_e64 s[16:17], s29, v16
	v_cmp_gt_i32_e64 s[6:7], s29, v22
	s_lshl_b64 s[28:29], s[48:49], 4
	s_lshl_b32 s46, s58, 5
	s_lshl_b64 s[4:5], s[4:5], 4
	s_lshl_b64 s[10:11], s[38:39], 4
	v_bfe_u32 v12, v0, 10, 10
	v_mov_b32_e32 v13, 0
	s_add_u32 s10, s36, s10
	v_lshlrev_b32_e32 v0, 9, v12
	v_lshlrev_b32_e32 v18, 4, v14
	v_mov_b32_e32 v19, v13
	s_addc_u32 s11, s37, s11
	v_add_u32_e32 v41, v18, v0
	v_add_u32_e32 v66, 0x4000, v0
	v_lshl_add_u64 v[0:1], s[8:9], 0, v[18:19]
	s_mov_b64 s[8:9], 0x100
	s_add_u32 s4, s10, s4
	v_lshl_add_u64 v[30:31], v[0:1], 0, s[8:9]
	v_mov_b32_e32 v0, 0x100
	s_addc_u32 s5, s11, s5
	v_lshl_add_u32 v3, v12, 4, v0
	v_mov_b64_e32 v[0:1], s[4:5]
	v_mad_u64_u32 v[0:1], s[10:11], s40, v3, v[0:1]
	v_mov_b32_e32 v2, v1
	v_mad_u64_u32 v[2:3], s[10:11], s41, v3, v[2:3]
	v_mov_b32_e32 v1, v2
	v_lshl_add_u64 v[36:37], v[0:1], 0, s[8:9]
	v_mad_u64_u32 v[0:1], s[10:11], s40, v12, 0
	v_mov_b32_e32 v2, v1
	v_mad_u64_u32 v[2:3], s[10:11], s41, v12, v[2:3]
	v_ashrrev_i32_e32 v17, 31, v16
	v_sub_co_u32_e32 v24, vcc, v16, v12
	v_mov_b32_e32 v1, v2
	v_lshl_add_u64 v[20:21], v[16:17], 0, 16
	v_subbrev_co_u32_e32 v25, vcc, 0, v17, vcc
	v_lshl_add_u64 v[0:1], v[0:1], 4, s[4:5]
	v_mov_b32_e32 v15, v13
	v_add_u32_e32 v67, v66, v18
	v_cmp_le_i64_e64 s[14:15], s[52:53], v[20:21]
	v_ashrrev_i32_e32 v23, 31, v22
	v_lshl_add_u64 v[26:27], v[24:25], 0, 16
	v_lshl_add_u64 v[28:29], v[24:25], 0, -16
	v_lshl_add_u32 v32, s3, 5, v12
	v_lshlrev_b64 v[34:35], 4, v[16:17]
	v_lshl_add_u64 v[38:39], v[0:1], 0, s[8:9]
	s_mov_b64 s[36:37], 0x200
	v_mov_b32_e32 v68, v13
	v_mov_b32_e32 v69, v13
	;; [unrolled: 1-line block ×8, first 2 shown]
	s_branch .LBB109_4
.LBB109_3:                              ;   in Loop: Header=BB109_4 Depth=1
	s_or_b64 exec, exec, s[4:5]
	s_add_i32 s3, s58, s3
	s_cmp_le_i32 s3, s31
	v_add_u32_e32 v32, s46, v32
	s_cbranch_scc0 .LBB109_63
.LBB109_4:                              ; =>This Loop Header: Depth=1
                                        ;     Child Loop BB109_7 Depth 2
	v_lshl_add_u32 v40, s3, 5, v12
	v_ashrrev_i32_e32 v19, 31, v40
	v_mov_b64_e32 v[62:63], 0
	s_andn2_b64 vcc, exec, s[22:23]
	v_mov_b64_e32 v[64:65], 0
	v_mov_b64_e32 v[58:59], 0
	;; [unrolled: 1-line block ×7, first 2 shown]
	s_cbranch_vccnz .LBB109_55
; %bb.5:                                ;   in Loop: Header=BB109_4 Depth=1
	v_ashrrev_i32_e32 v33, 31, v32
	v_mad_u64_u32 v[42:43], s[4:5], s28, v32, v[30:31]
	v_mul_lo_u32 v4, s29, v32
	v_mul_lo_u32 v5, s28, v33
	v_add3_u32 v43, v4, v43, v5
	v_mov_b64_e32 v[4:5], 0x100
	v_lshl_add_u64 v[4:5], v[32:33], 4, v[4:5]
	v_mul_lo_u32 v5, s48, v5
	v_mul_lo_u32 v6, s49, v4
	v_mad_u64_u32 v[44:45], s[4:5], s48, v4, v[30:31]
	v_add3_u32 v45, v6, v45, v5
	v_mov_b32_e32 v5, s2
	v_sub_co_u32_e32 v4, vcc, s30, v40
	s_mov_b64 s[38:39], 0
	s_nop 0
	v_subb_co_u32_e32 v5, vcc, v5, v19, vcc
	v_cmp_lt_i64_e32 vcc, 0, v[4:5]
	v_cmp_lt_i64_e64 s[8:9], 16, v[4:5]
	v_mov_b64_e32 v[50:51], 0
	v_mov_b64_e32 v[46:47], v[38:39]
	;; [unrolled: 1-line block ×10, first 2 shown]
	s_branch .LBB109_7
.LBB109_6:                              ;   in Loop: Header=BB109_7 Depth=2
	s_or_b64 exec, exec, s[4:5]
	s_waitcnt lgkmcnt(0)
	s_barrier
	ds_read_b128 v[72:75], v18
	ds_read_b128 v[76:79], v66
	ds_read_b128 v[80:83], v66 offset:16
	ds_read_b128 v[8:11], v66 offset:32
	;; [unrolled: 1-line block ×4, first 2 shown]
	s_waitcnt lgkmcnt(4)
	v_mul_f64 v[88:89], v[78:79], v[74:75]
	v_fma_f64 v[88:89], v[76:77], v[72:73], -v[88:89]
	v_mul_f64 v[90:91], v[76:77], v[74:75]
	v_fmac_f64_e32 v[90:91], v[78:79], v[72:73]
	v_add_f64 v[88:89], v[62:63], v[88:89]
	s_waitcnt lgkmcnt(0)
	v_mul_f64 v[62:63], v[78:79], v[86:87]
	v_add_f64 v[90:91], v[90:91], v[64:65]
	v_fma_f64 v[92:93], v[76:77], v[84:85], -v[62:63]
	ds_read_b128 v[62:65], v66 offset:8192
	v_mul_f64 v[76:77], v[76:77], v[86:87]
	v_fmac_f64_e32 v[76:77], v[78:79], v[84:85]
	v_add_f64 v[78:79], v[58:59], v[92:93]
	v_add_f64 v[76:77], v[76:77], v[60:61]
	ds_read_b128 v[58:61], v66 offset:8208
	s_waitcnt lgkmcnt(1)
	v_mul_f64 v[92:93], v[64:65], v[74:75]
	v_fma_f64 v[92:93], v[62:63], v[72:73], -v[92:93]
	v_mul_f64 v[74:75], v[62:63], v[74:75]
	v_fmac_f64_e32 v[74:75], v[64:65], v[72:73]
	v_add_f64 v[72:73], v[54:55], v[92:93]
	v_mul_f64 v[54:55], v[64:65], v[86:87]
	v_add_f64 v[74:75], v[74:75], v[56:57]
	v_fma_f64 v[92:93], v[62:63], v[84:85], -v[54:55]
	v_mul_f64 v[62:63], v[62:63], v[86:87]
	ds_read_b128 v[54:57], v18 offset:512
	v_fmac_f64_e32 v[62:63], v[64:65], v[84:85]
	v_add_f64 v[64:65], v[52:53], v[92:93]
	v_add_f64 v[62:63], v[62:63], v[50:51]
	ds_read_b128 v[50:53], v18 offset:768
	s_waitcnt lgkmcnt(1)
	v_mul_f64 v[84:85], v[82:83], v[56:57]
	v_fma_f64 v[84:85], v[80:81], v[54:55], -v[84:85]
	v_add_f64 v[84:85], v[88:89], v[84:85]
	v_mul_f64 v[86:87], v[80:81], v[56:57]
	s_waitcnt lgkmcnt(0)
	v_mul_f64 v[88:89], v[82:83], v[52:53]
	v_fma_f64 v[88:89], v[80:81], v[50:51], -v[88:89]
	v_mul_f64 v[80:81], v[80:81], v[52:53]
	v_fmac_f64_e32 v[80:81], v[82:83], v[50:51]
	v_add_f64 v[76:77], v[80:81], v[76:77]
	v_mul_f64 v[80:81], v[60:61], v[56:57]
	v_mul_f64 v[56:57], v[58:59], v[56:57]
	v_fmac_f64_e32 v[86:87], v[82:83], v[54:55]
	v_fma_f64 v[80:81], v[58:59], v[54:55], -v[80:81]
	v_fmac_f64_e32 v[56:57], v[60:61], v[54:55]
	v_mul_f64 v[54:55], v[60:61], v[52:53]
	v_add_f64 v[74:75], v[56:57], v[74:75]
	v_fma_f64 v[56:57], v[58:59], v[50:51], -v[54:55]
	v_mul_f64 v[58:59], v[58:59], v[52:53]
	ds_read_b128 v[52:55], v18 offset:1024
	v_fmac_f64_e32 v[58:59], v[60:61], v[50:51]
	v_add_f64 v[72:73], v[72:73], v[80:81]
	v_add_f64 v[64:65], v[64:65], v[56:57]
	v_add_f64 v[80:81], v[58:59], v[62:63]
	ds_read_b128 v[56:59], v18 offset:1280
	s_waitcnt lgkmcnt(1)
	v_mul_f64 v[50:51], v[10:11], v[54:55]
	v_mul_f64 v[60:61], v[8:9], v[54:55]
	v_add_f64 v[86:87], v[86:87], v[90:91]
	v_fma_f64 v[50:51], v[8:9], v[52:53], -v[50:51]
	v_fmac_f64_e32 v[60:61], v[10:11], v[52:53]
	v_add_f64 v[82:83], v[84:85], v[50:51]
	v_add_f64 v[84:85], v[60:61], v[86:87]
	ds_read_b128 v[60:63], v66 offset:8224
	s_waitcnt lgkmcnt(1)
	v_mul_f64 v[50:51], v[10:11], v[58:59]
	v_fma_f64 v[50:51], v[8:9], v[56:57], -v[50:51]
	v_mul_f64 v[8:9], v[8:9], v[58:59]
	v_add_f64 v[78:79], v[78:79], v[88:89]
	v_fmac_f64_e32 v[8:9], v[10:11], v[56:57]
	v_add_f64 v[78:79], v[78:79], v[50:51]
	v_add_f64 v[76:77], v[8:9], v[76:77]
	ds_read_b128 v[8:11], v66 offset:8240
	s_waitcnt lgkmcnt(1)
	v_mul_f64 v[50:51], v[62:63], v[54:55]
	v_fma_f64 v[50:51], v[60:61], v[52:53], -v[50:51]
	v_mul_f64 v[54:55], v[60:61], v[54:55]
	v_fmac_f64_e32 v[54:55], v[62:63], v[52:53]
	v_add_f64 v[72:73], v[72:73], v[50:51]
	v_mul_f64 v[50:51], v[62:63], v[58:59]
	v_add_f64 v[74:75], v[54:55], v[74:75]
	v_fma_f64 v[54:55], v[60:61], v[56:57], -v[50:51]
	v_mul_f64 v[58:59], v[60:61], v[58:59]
	ds_read_b128 v[50:53], v18 offset:1536
	v_fmac_f64_e32 v[58:59], v[62:63], v[56:57]
	v_add_f64 v[60:61], v[64:65], v[54:55]
	ds_read_b128 v[54:57], v18 offset:1792
	v_add_f64 v[58:59], v[58:59], v[80:81]
	s_waitcnt lgkmcnt(1)
	v_mul_f64 v[62:63], v[6:7], v[52:53]
	v_fma_f64 v[62:63], v[4:5], v[50:51], -v[62:63]
	v_mul_f64 v[64:65], v[4:5], v[52:53]
	s_waitcnt lgkmcnt(0)
	v_mul_f64 v[80:81], v[6:7], v[56:57]
	v_fma_f64 v[80:81], v[4:5], v[54:55], -v[80:81]
	v_mul_f64 v[4:5], v[4:5], v[56:57]
	v_fmac_f64_e32 v[4:5], v[6:7], v[54:55]
	v_add_f64 v[76:77], v[4:5], v[76:77]
	v_mul_f64 v[4:5], v[10:11], v[52:53]
	v_fmac_f64_e32 v[64:65], v[6:7], v[50:51]
	v_fma_f64 v[4:5], v[8:9], v[50:51], -v[4:5]
	v_mul_f64 v[6:7], v[8:9], v[52:53]
	v_fmac_f64_e32 v[6:7], v[10:11], v[50:51]
	v_add_f64 v[72:73], v[72:73], v[4:5]
	v_mul_f64 v[4:5], v[10:11], v[56:57]
	v_mul_f64 v[52:53], v[8:9], v[56:57]
	v_add_f64 v[74:75], v[6:7], v[74:75]
	v_fma_f64 v[50:51], v[8:9], v[54:55], -v[4:5]
	v_fmac_f64_e32 v[52:53], v[10:11], v[54:55]
	ds_read_b128 v[4:7], v66 offset:64
	ds_read_b128 v[8:11], v18 offset:2048
	v_add_f64 v[62:63], v[82:83], v[62:63]
	v_add_f64 v[78:79], v[78:79], v[80:81]
	;; [unrolled: 1-line block ×4, first 2 shown]
	ds_read_b128 v[50:53], v18 offset:2304
	ds_read_b128 v[54:57], v66 offset:80
	s_waitcnt lgkmcnt(2)
	v_mul_f64 v[58:59], v[6:7], v[10:11]
	v_fma_f64 v[58:59], v[4:5], v[8:9], -v[58:59]
	v_mul_f64 v[60:61], v[4:5], v[10:11]
	v_add_f64 v[64:65], v[64:65], v[84:85]
	v_fmac_f64_e32 v[60:61], v[6:7], v[8:9]
	v_add_f64 v[62:63], v[62:63], v[58:59]
	s_waitcnt lgkmcnt(1)
	v_mul_f64 v[58:59], v[6:7], v[52:53]
	v_add_f64 v[64:65], v[60:61], v[64:65]
	v_fma_f64 v[84:85], v[4:5], v[50:51], -v[58:59]
	ds_read_b128 v[58:61], v66 offset:8256
	v_mul_f64 v[4:5], v[4:5], v[52:53]
	v_fmac_f64_e32 v[4:5], v[6:7], v[50:51]
	v_add_f64 v[78:79], v[78:79], v[84:85]
	v_add_f64 v[76:77], v[4:5], v[76:77]
	ds_read_b128 v[4:7], v66 offset:8272
	s_waitcnt lgkmcnt(1)
	v_mul_f64 v[84:85], v[60:61], v[10:11]
	v_mul_f64 v[10:11], v[58:59], v[10:11]
	v_fma_f64 v[84:85], v[58:59], v[8:9], -v[84:85]
	v_fmac_f64_e32 v[10:11], v[60:61], v[8:9]
	v_mul_f64 v[8:9], v[60:61], v[52:53]
	v_add_f64 v[72:73], v[72:73], v[84:85]
	v_add_f64 v[74:75], v[10:11], v[74:75]
	v_fma_f64 v[84:85], v[58:59], v[50:51], -v[8:9]
	v_mul_f64 v[52:53], v[58:59], v[52:53]
	ds_read_b128 v[8:11], v18 offset:2560
	v_fmac_f64_e32 v[52:53], v[60:61], v[50:51]
	v_add_f64 v[60:61], v[52:53], v[82:83]
	ds_read_b128 v[50:53], v18 offset:2816
	v_add_f64 v[58:59], v[80:81], v[84:85]
	s_waitcnt lgkmcnt(1)
	v_mul_f64 v[80:81], v[56:57], v[10:11]
	v_fma_f64 v[80:81], v[54:55], v[8:9], -v[80:81]
	v_add_f64 v[62:63], v[62:63], v[80:81]
	s_waitcnt lgkmcnt(0)
	v_mul_f64 v[80:81], v[56:57], v[52:53]
	v_mul_f64 v[82:83], v[54:55], v[10:11]
	v_fma_f64 v[80:81], v[54:55], v[50:51], -v[80:81]
	v_mul_f64 v[54:55], v[54:55], v[52:53]
	v_fmac_f64_e32 v[54:55], v[56:57], v[50:51]
	v_add_f64 v[76:77], v[54:55], v[76:77]
	v_mul_f64 v[54:55], v[6:7], v[10:11]
	v_mul_f64 v[10:11], v[4:5], v[10:11]
	v_fmac_f64_e32 v[82:83], v[56:57], v[8:9]
	v_fma_f64 v[54:55], v[4:5], v[8:9], -v[54:55]
	v_fmac_f64_e32 v[10:11], v[6:7], v[8:9]
	v_mul_f64 v[8:9], v[6:7], v[52:53]
	v_mul_f64 v[52:53], v[4:5], v[52:53]
	v_add_f64 v[72:73], v[72:73], v[54:55]
	v_add_f64 v[74:75], v[10:11], v[74:75]
	v_fma_f64 v[54:55], v[4:5], v[50:51], -v[8:9]
	v_fmac_f64_e32 v[52:53], v[6:7], v[50:51]
	ds_read_b128 v[4:7], v66 offset:96
	ds_read_b128 v[8:11], v18 offset:3072
	v_add_f64 v[64:65], v[82:83], v[64:65]
	v_add_f64 v[78:79], v[78:79], v[80:81]
	v_add_f64 v[80:81], v[58:59], v[54:55]
	v_add_f64 v[82:83], v[52:53], v[60:61]
	ds_read_b128 v[50:53], v18 offset:3328
	ds_read_b128 v[54:57], v66 offset:112
	s_waitcnt lgkmcnt(2)
	v_mul_f64 v[58:59], v[6:7], v[10:11]
	v_fma_f64 v[58:59], v[4:5], v[8:9], -v[58:59]
	v_mul_f64 v[60:61], v[4:5], v[10:11]
	v_fmac_f64_e32 v[60:61], v[6:7], v[8:9]
	v_add_f64 v[62:63], v[62:63], v[58:59]
	s_waitcnt lgkmcnt(1)
	v_mul_f64 v[58:59], v[6:7], v[52:53]
	v_add_f64 v[64:65], v[60:61], v[64:65]
	v_fma_f64 v[84:85], v[4:5], v[50:51], -v[58:59]
	ds_read_b128 v[58:61], v66 offset:8288
	v_mul_f64 v[4:5], v[4:5], v[52:53]
	v_fmac_f64_e32 v[4:5], v[6:7], v[50:51]
	v_add_f64 v[78:79], v[78:79], v[84:85]
	v_add_f64 v[76:77], v[4:5], v[76:77]
	ds_read_b128 v[4:7], v66 offset:8304
	s_waitcnt lgkmcnt(1)
	v_mul_f64 v[84:85], v[60:61], v[10:11]
	v_mul_f64 v[10:11], v[58:59], v[10:11]
	v_fma_f64 v[84:85], v[58:59], v[8:9], -v[84:85]
	v_fmac_f64_e32 v[10:11], v[60:61], v[8:9]
	v_mul_f64 v[8:9], v[60:61], v[52:53]
	v_add_f64 v[72:73], v[72:73], v[84:85]
	v_add_f64 v[74:75], v[10:11], v[74:75]
	v_fma_f64 v[84:85], v[58:59], v[50:51], -v[8:9]
	v_mul_f64 v[52:53], v[58:59], v[52:53]
	ds_read_b128 v[8:11], v18 offset:3584
	v_fmac_f64_e32 v[52:53], v[60:61], v[50:51]
	v_add_f64 v[60:61], v[52:53], v[82:83]
	ds_read_b128 v[50:53], v18 offset:3840
	v_add_f64 v[58:59], v[80:81], v[84:85]
	s_waitcnt lgkmcnt(1)
	v_mul_f64 v[80:81], v[56:57], v[10:11]
	v_fma_f64 v[80:81], v[54:55], v[8:9], -v[80:81]
	v_add_f64 v[62:63], v[62:63], v[80:81]
	s_waitcnt lgkmcnt(0)
	v_mul_f64 v[80:81], v[56:57], v[52:53]
	v_mul_f64 v[82:83], v[54:55], v[10:11]
	v_fma_f64 v[80:81], v[54:55], v[50:51], -v[80:81]
	v_mul_f64 v[54:55], v[54:55], v[52:53]
	v_fmac_f64_e32 v[54:55], v[56:57], v[50:51]
	v_add_f64 v[76:77], v[54:55], v[76:77]
	v_mul_f64 v[54:55], v[6:7], v[10:11]
	v_mul_f64 v[10:11], v[4:5], v[10:11]
	v_fmac_f64_e32 v[82:83], v[56:57], v[8:9]
	v_fma_f64 v[54:55], v[4:5], v[8:9], -v[54:55]
	v_fmac_f64_e32 v[10:11], v[6:7], v[8:9]
	v_mul_f64 v[8:9], v[6:7], v[52:53]
	v_mul_f64 v[52:53], v[4:5], v[52:53]
	v_add_f64 v[72:73], v[72:73], v[54:55]
	v_add_f64 v[74:75], v[10:11], v[74:75]
	v_fma_f64 v[54:55], v[4:5], v[50:51], -v[8:9]
	v_fmac_f64_e32 v[52:53], v[6:7], v[50:51]
	ds_read_b128 v[4:7], v66 offset:128
	ds_read_b128 v[8:11], v18 offset:4096
	v_add_f64 v[64:65], v[82:83], v[64:65]
	v_add_f64 v[78:79], v[78:79], v[80:81]
	v_add_f64 v[80:81], v[58:59], v[54:55]
	v_add_f64 v[82:83], v[52:53], v[60:61]
	ds_read_b128 v[50:53], v18 offset:4352
	ds_read_b128 v[54:57], v66 offset:144
	s_waitcnt lgkmcnt(2)
	v_mul_f64 v[58:59], v[6:7], v[10:11]
	v_fma_f64 v[58:59], v[4:5], v[8:9], -v[58:59]
	v_mul_f64 v[60:61], v[4:5], v[10:11]
	v_fmac_f64_e32 v[60:61], v[6:7], v[8:9]
	v_add_f64 v[62:63], v[62:63], v[58:59]
	s_waitcnt lgkmcnt(1)
	v_mul_f64 v[58:59], v[6:7], v[52:53]
	v_add_f64 v[64:65], v[60:61], v[64:65]
	v_fma_f64 v[84:85], v[4:5], v[50:51], -v[58:59]
	ds_read_b128 v[58:61], v66 offset:8320
	v_mul_f64 v[4:5], v[4:5], v[52:53]
	v_fmac_f64_e32 v[4:5], v[6:7], v[50:51]
	v_add_f64 v[78:79], v[78:79], v[84:85]
	v_add_f64 v[76:77], v[4:5], v[76:77]
	ds_read_b128 v[4:7], v66 offset:8336
	s_waitcnt lgkmcnt(1)
	v_mul_f64 v[84:85], v[60:61], v[10:11]
	v_mul_f64 v[10:11], v[58:59], v[10:11]
	v_fma_f64 v[84:85], v[58:59], v[8:9], -v[84:85]
	v_fmac_f64_e32 v[10:11], v[60:61], v[8:9]
	v_mul_f64 v[8:9], v[60:61], v[52:53]
	v_add_f64 v[72:73], v[72:73], v[84:85]
	v_add_f64 v[74:75], v[10:11], v[74:75]
	v_fma_f64 v[84:85], v[58:59], v[50:51], -v[8:9]
	v_mul_f64 v[52:53], v[58:59], v[52:53]
	ds_read_b128 v[8:11], v18 offset:4608
	v_fmac_f64_e32 v[52:53], v[60:61], v[50:51]
	v_add_f64 v[60:61], v[52:53], v[82:83]
	ds_read_b128 v[50:53], v18 offset:4864
	v_add_f64 v[58:59], v[80:81], v[84:85]
	s_waitcnt lgkmcnt(1)
	v_mul_f64 v[80:81], v[56:57], v[10:11]
	v_fma_f64 v[80:81], v[54:55], v[8:9], -v[80:81]
	v_add_f64 v[62:63], v[62:63], v[80:81]
	s_waitcnt lgkmcnt(0)
	v_mul_f64 v[80:81], v[56:57], v[52:53]
	v_mul_f64 v[82:83], v[54:55], v[10:11]
	v_fma_f64 v[80:81], v[54:55], v[50:51], -v[80:81]
	v_mul_f64 v[54:55], v[54:55], v[52:53]
	v_fmac_f64_e32 v[54:55], v[56:57], v[50:51]
	v_add_f64 v[76:77], v[54:55], v[76:77]
	v_mul_f64 v[54:55], v[6:7], v[10:11]
	v_mul_f64 v[10:11], v[4:5], v[10:11]
	v_fmac_f64_e32 v[82:83], v[56:57], v[8:9]
	v_fma_f64 v[54:55], v[4:5], v[8:9], -v[54:55]
	v_fmac_f64_e32 v[10:11], v[6:7], v[8:9]
	v_mul_f64 v[8:9], v[6:7], v[52:53]
	v_mul_f64 v[52:53], v[4:5], v[52:53]
	v_add_f64 v[72:73], v[72:73], v[54:55]
	v_add_f64 v[74:75], v[10:11], v[74:75]
	v_fma_f64 v[54:55], v[4:5], v[50:51], -v[8:9]
	v_fmac_f64_e32 v[52:53], v[6:7], v[50:51]
	ds_read_b128 v[4:7], v66 offset:160
	ds_read_b128 v[8:11], v18 offset:5120
	v_add_f64 v[64:65], v[82:83], v[64:65]
	v_add_f64 v[78:79], v[78:79], v[80:81]
	v_add_f64 v[80:81], v[58:59], v[54:55]
	v_add_f64 v[82:83], v[52:53], v[60:61]
	ds_read_b128 v[50:53], v18 offset:5376
	ds_read_b128 v[54:57], v66 offset:176
	s_waitcnt lgkmcnt(2)
	v_mul_f64 v[58:59], v[6:7], v[10:11]
	v_fma_f64 v[58:59], v[4:5], v[8:9], -v[58:59]
	v_mul_f64 v[60:61], v[4:5], v[10:11]
	v_fmac_f64_e32 v[60:61], v[6:7], v[8:9]
	v_add_f64 v[62:63], v[62:63], v[58:59]
	s_waitcnt lgkmcnt(1)
	v_mul_f64 v[58:59], v[6:7], v[52:53]
	v_add_f64 v[64:65], v[60:61], v[64:65]
	v_fma_f64 v[84:85], v[4:5], v[50:51], -v[58:59]
	ds_read_b128 v[58:61], v66 offset:8352
	v_mul_f64 v[4:5], v[4:5], v[52:53]
	v_fmac_f64_e32 v[4:5], v[6:7], v[50:51]
	v_add_f64 v[78:79], v[78:79], v[84:85]
	v_add_f64 v[76:77], v[4:5], v[76:77]
	ds_read_b128 v[4:7], v66 offset:8368
	s_waitcnt lgkmcnt(1)
	v_mul_f64 v[84:85], v[60:61], v[10:11]
	v_mul_f64 v[10:11], v[58:59], v[10:11]
	v_fma_f64 v[84:85], v[58:59], v[8:9], -v[84:85]
	v_fmac_f64_e32 v[10:11], v[60:61], v[8:9]
	v_mul_f64 v[8:9], v[60:61], v[52:53]
	v_add_f64 v[72:73], v[72:73], v[84:85]
	v_add_f64 v[74:75], v[10:11], v[74:75]
	v_fma_f64 v[84:85], v[58:59], v[50:51], -v[8:9]
	v_mul_f64 v[52:53], v[58:59], v[52:53]
	ds_read_b128 v[8:11], v18 offset:5632
	v_fmac_f64_e32 v[52:53], v[60:61], v[50:51]
	v_add_f64 v[60:61], v[52:53], v[82:83]
	ds_read_b128 v[50:53], v18 offset:5888
	v_add_f64 v[58:59], v[80:81], v[84:85]
	s_waitcnt lgkmcnt(1)
	v_mul_f64 v[80:81], v[56:57], v[10:11]
	v_fma_f64 v[80:81], v[54:55], v[8:9], -v[80:81]
	v_add_f64 v[62:63], v[62:63], v[80:81]
	s_waitcnt lgkmcnt(0)
	v_mul_f64 v[80:81], v[56:57], v[52:53]
	v_mul_f64 v[82:83], v[54:55], v[10:11]
	v_fma_f64 v[80:81], v[54:55], v[50:51], -v[80:81]
	v_mul_f64 v[54:55], v[54:55], v[52:53]
	v_fmac_f64_e32 v[54:55], v[56:57], v[50:51]
	v_add_f64 v[76:77], v[54:55], v[76:77]
	v_mul_f64 v[54:55], v[6:7], v[10:11]
	v_mul_f64 v[10:11], v[4:5], v[10:11]
	v_fmac_f64_e32 v[82:83], v[56:57], v[8:9]
	v_fma_f64 v[54:55], v[4:5], v[8:9], -v[54:55]
	v_fmac_f64_e32 v[10:11], v[6:7], v[8:9]
	v_mul_f64 v[8:9], v[6:7], v[52:53]
	v_mul_f64 v[52:53], v[4:5], v[52:53]
	v_add_f64 v[72:73], v[72:73], v[54:55]
	v_add_f64 v[74:75], v[10:11], v[74:75]
	v_fma_f64 v[54:55], v[4:5], v[50:51], -v[8:9]
	v_fmac_f64_e32 v[52:53], v[6:7], v[50:51]
	ds_read_b128 v[4:7], v66 offset:192
	ds_read_b128 v[8:11], v18 offset:6144
	v_add_f64 v[64:65], v[82:83], v[64:65]
	v_add_f64 v[78:79], v[78:79], v[80:81]
	v_add_f64 v[80:81], v[58:59], v[54:55]
	v_add_f64 v[82:83], v[52:53], v[60:61]
	ds_read_b128 v[50:53], v18 offset:6400
	ds_read_b128 v[54:57], v66 offset:208
	s_waitcnt lgkmcnt(2)
	v_mul_f64 v[58:59], v[6:7], v[10:11]
	v_fma_f64 v[58:59], v[4:5], v[8:9], -v[58:59]
	v_mul_f64 v[60:61], v[4:5], v[10:11]
	v_fmac_f64_e32 v[60:61], v[6:7], v[8:9]
	v_add_f64 v[62:63], v[62:63], v[58:59]
	s_waitcnt lgkmcnt(1)
	v_mul_f64 v[58:59], v[6:7], v[52:53]
	v_add_f64 v[64:65], v[60:61], v[64:65]
	v_fma_f64 v[84:85], v[4:5], v[50:51], -v[58:59]
	ds_read_b128 v[58:61], v66 offset:8384
	v_mul_f64 v[4:5], v[4:5], v[52:53]
	v_fmac_f64_e32 v[4:5], v[6:7], v[50:51]
	v_add_f64 v[78:79], v[78:79], v[84:85]
	v_add_f64 v[76:77], v[4:5], v[76:77]
	ds_read_b128 v[4:7], v66 offset:8400
	s_waitcnt lgkmcnt(1)
	v_mul_f64 v[84:85], v[60:61], v[10:11]
	v_mul_f64 v[10:11], v[58:59], v[10:11]
	v_fma_f64 v[84:85], v[58:59], v[8:9], -v[84:85]
	v_fmac_f64_e32 v[10:11], v[60:61], v[8:9]
	v_mul_f64 v[8:9], v[60:61], v[52:53]
	v_add_f64 v[72:73], v[72:73], v[84:85]
	v_add_f64 v[74:75], v[10:11], v[74:75]
	v_fma_f64 v[84:85], v[58:59], v[50:51], -v[8:9]
	v_mul_f64 v[52:53], v[58:59], v[52:53]
	ds_read_b128 v[8:11], v18 offset:6656
	v_fmac_f64_e32 v[52:53], v[60:61], v[50:51]
	v_add_f64 v[60:61], v[52:53], v[82:83]
	ds_read_b128 v[50:53], v18 offset:6912
	v_add_f64 v[58:59], v[80:81], v[84:85]
	s_waitcnt lgkmcnt(1)
	v_mul_f64 v[80:81], v[56:57], v[10:11]
	v_fma_f64 v[80:81], v[54:55], v[8:9], -v[80:81]
	v_add_f64 v[62:63], v[62:63], v[80:81]
	s_waitcnt lgkmcnt(0)
	v_mul_f64 v[80:81], v[56:57], v[52:53]
	v_mul_f64 v[82:83], v[54:55], v[10:11]
	v_fma_f64 v[80:81], v[54:55], v[50:51], -v[80:81]
	v_mul_f64 v[54:55], v[54:55], v[52:53]
	v_fmac_f64_e32 v[54:55], v[56:57], v[50:51]
	v_add_f64 v[76:77], v[54:55], v[76:77]
	v_mul_f64 v[54:55], v[6:7], v[10:11]
	v_mul_f64 v[10:11], v[4:5], v[10:11]
	v_fmac_f64_e32 v[82:83], v[56:57], v[8:9]
	v_fma_f64 v[54:55], v[4:5], v[8:9], -v[54:55]
	v_fmac_f64_e32 v[10:11], v[6:7], v[8:9]
	v_mul_f64 v[8:9], v[6:7], v[52:53]
	v_mul_f64 v[52:53], v[4:5], v[52:53]
	v_add_f64 v[72:73], v[72:73], v[54:55]
	v_add_f64 v[74:75], v[10:11], v[74:75]
	v_fma_f64 v[54:55], v[4:5], v[50:51], -v[8:9]
	v_fmac_f64_e32 v[52:53], v[6:7], v[50:51]
	ds_read_b128 v[4:7], v66 offset:224
	ds_read_b128 v[8:11], v18 offset:7168
	v_add_f64 v[64:65], v[82:83], v[64:65]
	v_add_f64 v[78:79], v[78:79], v[80:81]
	v_add_f64 v[80:81], v[58:59], v[54:55]
	v_add_f64 v[82:83], v[52:53], v[60:61]
	ds_read_b128 v[50:53], v18 offset:7424
	ds_read_b128 v[54:57], v66 offset:240
	s_waitcnt lgkmcnt(2)
	v_mul_f64 v[58:59], v[6:7], v[10:11]
	v_fma_f64 v[58:59], v[4:5], v[8:9], -v[58:59]
	v_mul_f64 v[60:61], v[4:5], v[10:11]
	v_fmac_f64_e32 v[60:61], v[6:7], v[8:9]
	v_add_f64 v[62:63], v[62:63], v[58:59]
	s_waitcnt lgkmcnt(1)
	v_mul_f64 v[58:59], v[6:7], v[52:53]
	v_add_f64 v[64:65], v[60:61], v[64:65]
	v_fma_f64 v[84:85], v[4:5], v[50:51], -v[58:59]
	ds_read_b128 v[58:61], v66 offset:8416
	v_mul_f64 v[4:5], v[4:5], v[52:53]
	v_fmac_f64_e32 v[4:5], v[6:7], v[50:51]
	v_add_f64 v[78:79], v[78:79], v[84:85]
	v_add_f64 v[76:77], v[4:5], v[76:77]
	ds_read_b128 v[4:7], v66 offset:8432
	s_waitcnt lgkmcnt(1)
	v_mul_f64 v[84:85], v[60:61], v[10:11]
	v_mul_f64 v[10:11], v[58:59], v[10:11]
	v_fma_f64 v[84:85], v[58:59], v[8:9], -v[84:85]
	v_fmac_f64_e32 v[10:11], v[60:61], v[8:9]
	v_mul_f64 v[8:9], v[60:61], v[52:53]
	v_add_f64 v[72:73], v[72:73], v[84:85]
	v_add_f64 v[74:75], v[10:11], v[74:75]
	v_fma_f64 v[84:85], v[58:59], v[50:51], -v[8:9]
	v_mul_f64 v[52:53], v[58:59], v[52:53]
	ds_read_b128 v[8:11], v18 offset:7680
	v_fmac_f64_e32 v[52:53], v[60:61], v[50:51]
	v_add_f64 v[60:61], v[52:53], v[82:83]
	ds_read_b128 v[50:53], v18 offset:7936
	v_add_f64 v[58:59], v[80:81], v[84:85]
	s_waitcnt lgkmcnt(1)
	v_mul_f64 v[80:81], v[56:57], v[10:11]
	v_fma_f64 v[80:81], v[54:55], v[8:9], -v[80:81]
	v_add_f64 v[62:63], v[62:63], v[80:81]
	s_waitcnt lgkmcnt(0)
	v_mul_f64 v[80:81], v[56:57], v[52:53]
	v_mul_f64 v[82:83], v[54:55], v[10:11]
	v_fma_f64 v[80:81], v[54:55], v[50:51], -v[80:81]
	v_mul_f64 v[54:55], v[54:55], v[52:53]
	v_fmac_f64_e32 v[54:55], v[56:57], v[50:51]
	v_add_f64 v[76:77], v[54:55], v[76:77]
	v_mul_f64 v[54:55], v[6:7], v[10:11]
	v_mul_f64 v[10:11], v[4:5], v[10:11]
	v_fmac_f64_e32 v[82:83], v[56:57], v[8:9]
	v_fma_f64 v[54:55], v[4:5], v[8:9], -v[54:55]
	v_fmac_f64_e32 v[10:11], v[6:7], v[8:9]
	v_mul_f64 v[8:9], v[6:7], v[52:53]
	v_mul_f64 v[52:53], v[4:5], v[52:53]
	v_add_f64 v[72:73], v[72:73], v[54:55]
	v_add_f64 v[74:75], v[10:11], v[74:75]
	v_fma_f64 v[54:55], v[4:5], v[50:51], -v[8:9]
	v_fmac_f64_e32 v[52:53], v[6:7], v[50:51]
	ds_read_b128 v[4:7], v66 offset:256
	ds_read_b128 v[8:11], v18 offset:8192
	v_add_f64 v[64:65], v[82:83], v[64:65]
	v_add_f64 v[78:79], v[78:79], v[80:81]
	v_add_f64 v[80:81], v[58:59], v[54:55]
	v_add_f64 v[82:83], v[52:53], v[60:61]
	ds_read_b128 v[50:53], v18 offset:8448
	ds_read_b128 v[54:57], v66 offset:272
	s_waitcnt lgkmcnt(2)
	v_mul_f64 v[58:59], v[6:7], v[10:11]
	v_fma_f64 v[58:59], v[4:5], v[8:9], -v[58:59]
	v_mul_f64 v[60:61], v[4:5], v[10:11]
	v_fmac_f64_e32 v[60:61], v[6:7], v[8:9]
	v_add_f64 v[62:63], v[62:63], v[58:59]
	s_waitcnt lgkmcnt(1)
	v_mul_f64 v[58:59], v[6:7], v[52:53]
	v_add_f64 v[64:65], v[60:61], v[64:65]
	v_fma_f64 v[84:85], v[4:5], v[50:51], -v[58:59]
	ds_read_b128 v[58:61], v66 offset:8448
	v_mul_f64 v[4:5], v[4:5], v[52:53]
	v_fmac_f64_e32 v[4:5], v[6:7], v[50:51]
	v_add_f64 v[78:79], v[78:79], v[84:85]
	v_add_f64 v[76:77], v[4:5], v[76:77]
	ds_read_b128 v[4:7], v66 offset:8464
	s_waitcnt lgkmcnt(1)
	v_mul_f64 v[84:85], v[60:61], v[10:11]
	v_mul_f64 v[10:11], v[58:59], v[10:11]
	v_fma_f64 v[84:85], v[58:59], v[8:9], -v[84:85]
	v_fmac_f64_e32 v[10:11], v[60:61], v[8:9]
	v_mul_f64 v[8:9], v[60:61], v[52:53]
	v_add_f64 v[72:73], v[72:73], v[84:85]
	v_add_f64 v[74:75], v[10:11], v[74:75]
	v_fma_f64 v[84:85], v[58:59], v[50:51], -v[8:9]
	v_mul_f64 v[52:53], v[58:59], v[52:53]
	ds_read_b128 v[8:11], v18 offset:8704
	v_fmac_f64_e32 v[52:53], v[60:61], v[50:51]
	v_add_f64 v[60:61], v[52:53], v[82:83]
	ds_read_b128 v[50:53], v18 offset:8960
	v_add_f64 v[58:59], v[80:81], v[84:85]
	s_waitcnt lgkmcnt(1)
	v_mul_f64 v[80:81], v[56:57], v[10:11]
	v_fma_f64 v[80:81], v[54:55], v[8:9], -v[80:81]
	v_add_f64 v[62:63], v[62:63], v[80:81]
	s_waitcnt lgkmcnt(0)
	v_mul_f64 v[80:81], v[56:57], v[52:53]
	v_mul_f64 v[82:83], v[54:55], v[10:11]
	v_fma_f64 v[80:81], v[54:55], v[50:51], -v[80:81]
	v_mul_f64 v[54:55], v[54:55], v[52:53]
	v_fmac_f64_e32 v[54:55], v[56:57], v[50:51]
	v_add_f64 v[76:77], v[54:55], v[76:77]
	v_mul_f64 v[54:55], v[6:7], v[10:11]
	v_mul_f64 v[10:11], v[4:5], v[10:11]
	v_fmac_f64_e32 v[82:83], v[56:57], v[8:9]
	v_fma_f64 v[54:55], v[4:5], v[8:9], -v[54:55]
	v_fmac_f64_e32 v[10:11], v[6:7], v[8:9]
	v_mul_f64 v[8:9], v[6:7], v[52:53]
	v_mul_f64 v[52:53], v[4:5], v[52:53]
	v_add_f64 v[72:73], v[72:73], v[54:55]
	v_add_f64 v[74:75], v[10:11], v[74:75]
	v_fma_f64 v[54:55], v[4:5], v[50:51], -v[8:9]
	v_fmac_f64_e32 v[52:53], v[6:7], v[50:51]
	ds_read_b128 v[4:7], v66 offset:288
	ds_read_b128 v[8:11], v18 offset:9216
	v_add_f64 v[64:65], v[82:83], v[64:65]
	v_add_f64 v[78:79], v[78:79], v[80:81]
	v_add_f64 v[80:81], v[58:59], v[54:55]
	v_add_f64 v[82:83], v[52:53], v[60:61]
	ds_read_b128 v[50:53], v18 offset:9472
	ds_read_b128 v[54:57], v66 offset:304
	s_waitcnt lgkmcnt(2)
	v_mul_f64 v[58:59], v[6:7], v[10:11]
	v_fma_f64 v[58:59], v[4:5], v[8:9], -v[58:59]
	v_mul_f64 v[60:61], v[4:5], v[10:11]
	v_fmac_f64_e32 v[60:61], v[6:7], v[8:9]
	v_add_f64 v[62:63], v[62:63], v[58:59]
	s_waitcnt lgkmcnt(1)
	v_mul_f64 v[58:59], v[6:7], v[52:53]
	v_add_f64 v[64:65], v[60:61], v[64:65]
	v_fma_f64 v[84:85], v[4:5], v[50:51], -v[58:59]
	ds_read_b128 v[58:61], v66 offset:8480
	v_mul_f64 v[4:5], v[4:5], v[52:53]
	v_fmac_f64_e32 v[4:5], v[6:7], v[50:51]
	v_add_f64 v[78:79], v[78:79], v[84:85]
	v_add_f64 v[76:77], v[4:5], v[76:77]
	ds_read_b128 v[4:7], v66 offset:8496
	s_waitcnt lgkmcnt(1)
	v_mul_f64 v[84:85], v[60:61], v[10:11]
	v_mul_f64 v[10:11], v[58:59], v[10:11]
	v_fma_f64 v[84:85], v[58:59], v[8:9], -v[84:85]
	v_fmac_f64_e32 v[10:11], v[60:61], v[8:9]
	v_mul_f64 v[8:9], v[60:61], v[52:53]
	v_add_f64 v[72:73], v[72:73], v[84:85]
	v_add_f64 v[74:75], v[10:11], v[74:75]
	v_fma_f64 v[84:85], v[58:59], v[50:51], -v[8:9]
	v_mul_f64 v[52:53], v[58:59], v[52:53]
	ds_read_b128 v[8:11], v18 offset:9728
	v_fmac_f64_e32 v[52:53], v[60:61], v[50:51]
	v_add_f64 v[60:61], v[52:53], v[82:83]
	ds_read_b128 v[50:53], v18 offset:9984
	v_add_f64 v[58:59], v[80:81], v[84:85]
	s_waitcnt lgkmcnt(1)
	v_mul_f64 v[80:81], v[56:57], v[10:11]
	v_fma_f64 v[80:81], v[54:55], v[8:9], -v[80:81]
	v_add_f64 v[62:63], v[62:63], v[80:81]
	s_waitcnt lgkmcnt(0)
	v_mul_f64 v[80:81], v[56:57], v[52:53]
	v_mul_f64 v[82:83], v[54:55], v[10:11]
	v_fma_f64 v[80:81], v[54:55], v[50:51], -v[80:81]
	v_mul_f64 v[54:55], v[54:55], v[52:53]
	v_fmac_f64_e32 v[54:55], v[56:57], v[50:51]
	v_add_f64 v[76:77], v[54:55], v[76:77]
	v_mul_f64 v[54:55], v[6:7], v[10:11]
	v_mul_f64 v[10:11], v[4:5], v[10:11]
	v_fmac_f64_e32 v[82:83], v[56:57], v[8:9]
	v_fma_f64 v[54:55], v[4:5], v[8:9], -v[54:55]
	v_fmac_f64_e32 v[10:11], v[6:7], v[8:9]
	v_mul_f64 v[8:9], v[6:7], v[52:53]
	v_mul_f64 v[52:53], v[4:5], v[52:53]
	v_add_f64 v[72:73], v[72:73], v[54:55]
	v_add_f64 v[74:75], v[10:11], v[74:75]
	v_fma_f64 v[54:55], v[4:5], v[50:51], -v[8:9]
	v_fmac_f64_e32 v[52:53], v[6:7], v[50:51]
	ds_read_b128 v[4:7], v66 offset:320
	ds_read_b128 v[8:11], v18 offset:10240
	v_add_f64 v[64:65], v[82:83], v[64:65]
	v_add_f64 v[78:79], v[78:79], v[80:81]
	v_add_f64 v[80:81], v[58:59], v[54:55]
	v_add_f64 v[82:83], v[52:53], v[60:61]
	ds_read_b128 v[50:53], v18 offset:10496
	ds_read_b128 v[54:57], v66 offset:336
	s_waitcnt lgkmcnt(2)
	v_mul_f64 v[58:59], v[6:7], v[10:11]
	v_fma_f64 v[58:59], v[4:5], v[8:9], -v[58:59]
	v_mul_f64 v[60:61], v[4:5], v[10:11]
	v_fmac_f64_e32 v[60:61], v[6:7], v[8:9]
	v_add_f64 v[62:63], v[62:63], v[58:59]
	s_waitcnt lgkmcnt(1)
	v_mul_f64 v[58:59], v[6:7], v[52:53]
	v_add_f64 v[64:65], v[60:61], v[64:65]
	v_fma_f64 v[84:85], v[4:5], v[50:51], -v[58:59]
	ds_read_b128 v[58:61], v66 offset:8512
	v_mul_f64 v[4:5], v[4:5], v[52:53]
	v_fmac_f64_e32 v[4:5], v[6:7], v[50:51]
	v_add_f64 v[78:79], v[78:79], v[84:85]
	v_add_f64 v[76:77], v[4:5], v[76:77]
	ds_read_b128 v[4:7], v66 offset:8528
	s_waitcnt lgkmcnt(1)
	v_mul_f64 v[84:85], v[60:61], v[10:11]
	v_mul_f64 v[10:11], v[58:59], v[10:11]
	v_fma_f64 v[84:85], v[58:59], v[8:9], -v[84:85]
	v_fmac_f64_e32 v[10:11], v[60:61], v[8:9]
	v_mul_f64 v[8:9], v[60:61], v[52:53]
	v_add_f64 v[72:73], v[72:73], v[84:85]
	v_add_f64 v[74:75], v[10:11], v[74:75]
	v_fma_f64 v[84:85], v[58:59], v[50:51], -v[8:9]
	v_mul_f64 v[52:53], v[58:59], v[52:53]
	ds_read_b128 v[8:11], v18 offset:10752
	v_fmac_f64_e32 v[52:53], v[60:61], v[50:51]
	v_add_f64 v[60:61], v[52:53], v[82:83]
	ds_read_b128 v[50:53], v18 offset:11008
	v_add_f64 v[58:59], v[80:81], v[84:85]
	s_waitcnt lgkmcnt(1)
	v_mul_f64 v[80:81], v[56:57], v[10:11]
	v_fma_f64 v[80:81], v[54:55], v[8:9], -v[80:81]
	v_add_f64 v[62:63], v[62:63], v[80:81]
	s_waitcnt lgkmcnt(0)
	v_mul_f64 v[80:81], v[56:57], v[52:53]
	v_mul_f64 v[82:83], v[54:55], v[10:11]
	v_fma_f64 v[80:81], v[54:55], v[50:51], -v[80:81]
	v_mul_f64 v[54:55], v[54:55], v[52:53]
	v_fmac_f64_e32 v[54:55], v[56:57], v[50:51]
	v_add_f64 v[76:77], v[54:55], v[76:77]
	v_mul_f64 v[54:55], v[6:7], v[10:11]
	v_mul_f64 v[10:11], v[4:5], v[10:11]
	v_fmac_f64_e32 v[82:83], v[56:57], v[8:9]
	v_fma_f64 v[54:55], v[4:5], v[8:9], -v[54:55]
	v_fmac_f64_e32 v[10:11], v[6:7], v[8:9]
	v_mul_f64 v[8:9], v[6:7], v[52:53]
	v_mul_f64 v[52:53], v[4:5], v[52:53]
	v_add_f64 v[72:73], v[72:73], v[54:55]
	v_add_f64 v[74:75], v[10:11], v[74:75]
	v_fma_f64 v[54:55], v[4:5], v[50:51], -v[8:9]
	v_fmac_f64_e32 v[52:53], v[6:7], v[50:51]
	ds_read_b128 v[4:7], v66 offset:352
	ds_read_b128 v[8:11], v18 offset:11264
	v_add_f64 v[64:65], v[82:83], v[64:65]
	v_add_f64 v[78:79], v[78:79], v[80:81]
	v_add_f64 v[80:81], v[58:59], v[54:55]
	v_add_f64 v[82:83], v[52:53], v[60:61]
	ds_read_b128 v[50:53], v18 offset:11520
	ds_read_b128 v[54:57], v66 offset:368
	s_waitcnt lgkmcnt(2)
	v_mul_f64 v[58:59], v[6:7], v[10:11]
	v_fma_f64 v[58:59], v[4:5], v[8:9], -v[58:59]
	v_mul_f64 v[60:61], v[4:5], v[10:11]
	v_fmac_f64_e32 v[60:61], v[6:7], v[8:9]
	v_add_f64 v[62:63], v[62:63], v[58:59]
	s_waitcnt lgkmcnt(1)
	v_mul_f64 v[58:59], v[6:7], v[52:53]
	v_add_f64 v[64:65], v[60:61], v[64:65]
	v_fma_f64 v[84:85], v[4:5], v[50:51], -v[58:59]
	ds_read_b128 v[58:61], v66 offset:8544
	v_mul_f64 v[4:5], v[4:5], v[52:53]
	v_fmac_f64_e32 v[4:5], v[6:7], v[50:51]
	v_add_f64 v[78:79], v[78:79], v[84:85]
	v_add_f64 v[76:77], v[4:5], v[76:77]
	ds_read_b128 v[4:7], v66 offset:8560
	s_waitcnt lgkmcnt(1)
	v_mul_f64 v[84:85], v[60:61], v[10:11]
	v_mul_f64 v[10:11], v[58:59], v[10:11]
	v_fma_f64 v[84:85], v[58:59], v[8:9], -v[84:85]
	v_fmac_f64_e32 v[10:11], v[60:61], v[8:9]
	v_mul_f64 v[8:9], v[60:61], v[52:53]
	v_add_f64 v[72:73], v[72:73], v[84:85]
	v_add_f64 v[74:75], v[10:11], v[74:75]
	v_fma_f64 v[84:85], v[58:59], v[50:51], -v[8:9]
	v_mul_f64 v[52:53], v[58:59], v[52:53]
	ds_read_b128 v[8:11], v18 offset:11776
	v_fmac_f64_e32 v[52:53], v[60:61], v[50:51]
	v_add_f64 v[60:61], v[52:53], v[82:83]
	ds_read_b128 v[50:53], v18 offset:12032
	v_add_f64 v[58:59], v[80:81], v[84:85]
	s_waitcnt lgkmcnt(1)
	v_mul_f64 v[80:81], v[56:57], v[10:11]
	v_fma_f64 v[80:81], v[54:55], v[8:9], -v[80:81]
	v_add_f64 v[62:63], v[62:63], v[80:81]
	s_waitcnt lgkmcnt(0)
	v_mul_f64 v[80:81], v[56:57], v[52:53]
	v_mul_f64 v[82:83], v[54:55], v[10:11]
	v_fma_f64 v[80:81], v[54:55], v[50:51], -v[80:81]
	v_mul_f64 v[54:55], v[54:55], v[52:53]
	v_fmac_f64_e32 v[54:55], v[56:57], v[50:51]
	v_add_f64 v[76:77], v[54:55], v[76:77]
	v_mul_f64 v[54:55], v[6:7], v[10:11]
	v_mul_f64 v[10:11], v[4:5], v[10:11]
	v_fmac_f64_e32 v[82:83], v[56:57], v[8:9]
	v_fma_f64 v[54:55], v[4:5], v[8:9], -v[54:55]
	v_fmac_f64_e32 v[10:11], v[6:7], v[8:9]
	v_mul_f64 v[8:9], v[6:7], v[52:53]
	v_mul_f64 v[52:53], v[4:5], v[52:53]
	v_add_f64 v[72:73], v[72:73], v[54:55]
	v_add_f64 v[74:75], v[10:11], v[74:75]
	v_fma_f64 v[54:55], v[4:5], v[50:51], -v[8:9]
	v_fmac_f64_e32 v[52:53], v[6:7], v[50:51]
	ds_read_b128 v[4:7], v66 offset:384
	ds_read_b128 v[8:11], v18 offset:12288
	v_add_f64 v[64:65], v[82:83], v[64:65]
	v_add_f64 v[78:79], v[78:79], v[80:81]
	v_add_f64 v[80:81], v[58:59], v[54:55]
	v_add_f64 v[82:83], v[52:53], v[60:61]
	ds_read_b128 v[50:53], v18 offset:12544
	ds_read_b128 v[54:57], v66 offset:400
	s_waitcnt lgkmcnt(2)
	v_mul_f64 v[58:59], v[6:7], v[10:11]
	v_fma_f64 v[58:59], v[4:5], v[8:9], -v[58:59]
	v_mul_f64 v[60:61], v[4:5], v[10:11]
	v_fmac_f64_e32 v[60:61], v[6:7], v[8:9]
	v_add_f64 v[62:63], v[62:63], v[58:59]
	s_waitcnt lgkmcnt(1)
	v_mul_f64 v[58:59], v[6:7], v[52:53]
	v_add_f64 v[64:65], v[60:61], v[64:65]
	v_fma_f64 v[84:85], v[4:5], v[50:51], -v[58:59]
	ds_read_b128 v[58:61], v66 offset:8576
	v_mul_f64 v[4:5], v[4:5], v[52:53]
	v_fmac_f64_e32 v[4:5], v[6:7], v[50:51]
	v_add_f64 v[78:79], v[78:79], v[84:85]
	v_add_f64 v[76:77], v[4:5], v[76:77]
	ds_read_b128 v[4:7], v66 offset:8592
	s_waitcnt lgkmcnt(1)
	v_mul_f64 v[84:85], v[60:61], v[10:11]
	v_mul_f64 v[10:11], v[58:59], v[10:11]
	v_fma_f64 v[84:85], v[58:59], v[8:9], -v[84:85]
	v_fmac_f64_e32 v[10:11], v[60:61], v[8:9]
	v_mul_f64 v[8:9], v[60:61], v[52:53]
	v_add_f64 v[72:73], v[72:73], v[84:85]
	v_add_f64 v[74:75], v[10:11], v[74:75]
	v_fma_f64 v[84:85], v[58:59], v[50:51], -v[8:9]
	v_mul_f64 v[52:53], v[58:59], v[52:53]
	ds_read_b128 v[8:11], v18 offset:12800
	v_fmac_f64_e32 v[52:53], v[60:61], v[50:51]
	v_add_f64 v[60:61], v[52:53], v[82:83]
	ds_read_b128 v[50:53], v18 offset:13056
	v_add_f64 v[58:59], v[80:81], v[84:85]
	s_waitcnt lgkmcnt(1)
	v_mul_f64 v[80:81], v[56:57], v[10:11]
	v_fma_f64 v[80:81], v[54:55], v[8:9], -v[80:81]
	v_add_f64 v[62:63], v[62:63], v[80:81]
	s_waitcnt lgkmcnt(0)
	v_mul_f64 v[80:81], v[56:57], v[52:53]
	v_mul_f64 v[82:83], v[54:55], v[10:11]
	v_fma_f64 v[80:81], v[54:55], v[50:51], -v[80:81]
	v_mul_f64 v[54:55], v[54:55], v[52:53]
	v_fmac_f64_e32 v[54:55], v[56:57], v[50:51]
	v_add_f64 v[76:77], v[54:55], v[76:77]
	v_mul_f64 v[54:55], v[6:7], v[10:11]
	v_mul_f64 v[10:11], v[4:5], v[10:11]
	v_fmac_f64_e32 v[82:83], v[56:57], v[8:9]
	v_fma_f64 v[54:55], v[4:5], v[8:9], -v[54:55]
	v_fmac_f64_e32 v[10:11], v[6:7], v[8:9]
	v_mul_f64 v[8:9], v[6:7], v[52:53]
	v_mul_f64 v[52:53], v[4:5], v[52:53]
	v_add_f64 v[72:73], v[72:73], v[54:55]
	v_add_f64 v[74:75], v[10:11], v[74:75]
	v_fma_f64 v[54:55], v[4:5], v[50:51], -v[8:9]
	v_fmac_f64_e32 v[52:53], v[6:7], v[50:51]
	ds_read_b128 v[4:7], v66 offset:416
	ds_read_b128 v[8:11], v18 offset:13312
	v_add_f64 v[64:65], v[82:83], v[64:65]
	v_add_f64 v[78:79], v[78:79], v[80:81]
	v_add_f64 v[80:81], v[58:59], v[54:55]
	v_add_f64 v[82:83], v[52:53], v[60:61]
	ds_read_b128 v[50:53], v18 offset:13568
	ds_read_b128 v[54:57], v66 offset:432
	s_waitcnt lgkmcnt(2)
	v_mul_f64 v[58:59], v[6:7], v[10:11]
	v_fma_f64 v[58:59], v[4:5], v[8:9], -v[58:59]
	v_mul_f64 v[60:61], v[4:5], v[10:11]
	v_fmac_f64_e32 v[60:61], v[6:7], v[8:9]
	v_add_f64 v[62:63], v[62:63], v[58:59]
	s_waitcnt lgkmcnt(1)
	v_mul_f64 v[58:59], v[6:7], v[52:53]
	v_add_f64 v[64:65], v[60:61], v[64:65]
	v_fma_f64 v[84:85], v[4:5], v[50:51], -v[58:59]
	ds_read_b128 v[58:61], v66 offset:8608
	v_mul_f64 v[4:5], v[4:5], v[52:53]
	v_fmac_f64_e32 v[4:5], v[6:7], v[50:51]
	v_add_f64 v[78:79], v[78:79], v[84:85]
	v_add_f64 v[76:77], v[4:5], v[76:77]
	ds_read_b128 v[4:7], v66 offset:8624
	s_waitcnt lgkmcnt(1)
	v_mul_f64 v[84:85], v[60:61], v[10:11]
	v_mul_f64 v[10:11], v[58:59], v[10:11]
	v_fma_f64 v[84:85], v[58:59], v[8:9], -v[84:85]
	v_fmac_f64_e32 v[10:11], v[60:61], v[8:9]
	v_mul_f64 v[8:9], v[60:61], v[52:53]
	v_add_f64 v[72:73], v[72:73], v[84:85]
	v_add_f64 v[74:75], v[10:11], v[74:75]
	v_fma_f64 v[84:85], v[58:59], v[50:51], -v[8:9]
	v_mul_f64 v[52:53], v[58:59], v[52:53]
	ds_read_b128 v[8:11], v18 offset:13824
	v_fmac_f64_e32 v[52:53], v[60:61], v[50:51]
	v_add_f64 v[60:61], v[52:53], v[82:83]
	ds_read_b128 v[50:53], v18 offset:14080
	v_add_f64 v[58:59], v[80:81], v[84:85]
	s_waitcnt lgkmcnt(1)
	v_mul_f64 v[80:81], v[56:57], v[10:11]
	v_fma_f64 v[80:81], v[54:55], v[8:9], -v[80:81]
	v_add_f64 v[62:63], v[62:63], v[80:81]
	s_waitcnt lgkmcnt(0)
	v_mul_f64 v[80:81], v[56:57], v[52:53]
	v_mul_f64 v[82:83], v[54:55], v[10:11]
	v_fma_f64 v[80:81], v[54:55], v[50:51], -v[80:81]
	v_mul_f64 v[54:55], v[54:55], v[52:53]
	v_fmac_f64_e32 v[54:55], v[56:57], v[50:51]
	v_add_f64 v[76:77], v[54:55], v[76:77]
	v_mul_f64 v[54:55], v[6:7], v[10:11]
	v_mul_f64 v[10:11], v[4:5], v[10:11]
	v_fmac_f64_e32 v[82:83], v[56:57], v[8:9]
	v_fma_f64 v[54:55], v[4:5], v[8:9], -v[54:55]
	v_fmac_f64_e32 v[10:11], v[6:7], v[8:9]
	v_mul_f64 v[8:9], v[6:7], v[52:53]
	v_mul_f64 v[52:53], v[4:5], v[52:53]
	v_add_f64 v[72:73], v[72:73], v[54:55]
	v_add_f64 v[74:75], v[10:11], v[74:75]
	v_fma_f64 v[54:55], v[4:5], v[50:51], -v[8:9]
	v_fmac_f64_e32 v[52:53], v[6:7], v[50:51]
	ds_read_b128 v[4:7], v66 offset:448
	ds_read_b128 v[8:11], v18 offset:14336
	v_add_f64 v[64:65], v[82:83], v[64:65]
	v_add_f64 v[78:79], v[78:79], v[80:81]
	v_add_f64 v[80:81], v[58:59], v[54:55]
	v_add_f64 v[82:83], v[52:53], v[60:61]
	ds_read_b128 v[50:53], v18 offset:14592
	ds_read_b128 v[54:57], v66 offset:464
	s_waitcnt lgkmcnt(2)
	v_mul_f64 v[58:59], v[6:7], v[10:11]
	v_fma_f64 v[58:59], v[4:5], v[8:9], -v[58:59]
	v_mul_f64 v[60:61], v[4:5], v[10:11]
	v_fmac_f64_e32 v[60:61], v[6:7], v[8:9]
	v_add_f64 v[62:63], v[62:63], v[58:59]
	s_waitcnt lgkmcnt(1)
	v_mul_f64 v[58:59], v[6:7], v[52:53]
	v_add_f64 v[64:65], v[60:61], v[64:65]
	v_fma_f64 v[84:85], v[4:5], v[50:51], -v[58:59]
	ds_read_b128 v[58:61], v66 offset:8640
	v_mul_f64 v[4:5], v[4:5], v[52:53]
	v_fmac_f64_e32 v[4:5], v[6:7], v[50:51]
	v_add_f64 v[78:79], v[78:79], v[84:85]
	v_add_f64 v[76:77], v[4:5], v[76:77]
	ds_read_b128 v[4:7], v66 offset:8656
	s_waitcnt lgkmcnt(1)
	v_mul_f64 v[84:85], v[60:61], v[10:11]
	v_mul_f64 v[10:11], v[58:59], v[10:11]
	v_fma_f64 v[84:85], v[58:59], v[8:9], -v[84:85]
	v_fmac_f64_e32 v[10:11], v[60:61], v[8:9]
	v_mul_f64 v[8:9], v[60:61], v[52:53]
	v_add_f64 v[72:73], v[72:73], v[84:85]
	v_add_f64 v[74:75], v[10:11], v[74:75]
	v_fma_f64 v[84:85], v[58:59], v[50:51], -v[8:9]
	v_mul_f64 v[52:53], v[58:59], v[52:53]
	ds_read_b128 v[8:11], v18 offset:14848
	v_fmac_f64_e32 v[52:53], v[60:61], v[50:51]
	v_add_f64 v[60:61], v[52:53], v[82:83]
	ds_read_b128 v[50:53], v18 offset:15104
	v_add_f64 v[58:59], v[80:81], v[84:85]
	s_waitcnt lgkmcnt(1)
	v_mul_f64 v[80:81], v[56:57], v[10:11]
	v_fma_f64 v[80:81], v[54:55], v[8:9], -v[80:81]
	v_add_f64 v[62:63], v[62:63], v[80:81]
	s_waitcnt lgkmcnt(0)
	v_mul_f64 v[80:81], v[56:57], v[52:53]
	v_mul_f64 v[82:83], v[54:55], v[10:11]
	v_fma_f64 v[80:81], v[54:55], v[50:51], -v[80:81]
	v_mul_f64 v[54:55], v[54:55], v[52:53]
	v_fmac_f64_e32 v[54:55], v[56:57], v[50:51]
	v_add_f64 v[76:77], v[54:55], v[76:77]
	v_mul_f64 v[54:55], v[6:7], v[10:11]
	v_mul_f64 v[10:11], v[4:5], v[10:11]
	v_fmac_f64_e32 v[82:83], v[56:57], v[8:9]
	v_fma_f64 v[54:55], v[4:5], v[8:9], -v[54:55]
	v_fmac_f64_e32 v[10:11], v[6:7], v[8:9]
	v_mul_f64 v[8:9], v[6:7], v[52:53]
	v_mul_f64 v[52:53], v[4:5], v[52:53]
	v_add_f64 v[72:73], v[72:73], v[54:55]
	v_add_f64 v[74:75], v[10:11], v[74:75]
	v_fma_f64 v[54:55], v[4:5], v[50:51], -v[8:9]
	v_fmac_f64_e32 v[52:53], v[6:7], v[50:51]
	ds_read_b128 v[4:7], v66 offset:480
	ds_read_b128 v[8:11], v18 offset:15360
	v_add_f64 v[64:65], v[82:83], v[64:65]
	v_add_f64 v[78:79], v[78:79], v[80:81]
	v_add_f64 v[80:81], v[58:59], v[54:55]
	v_add_f64 v[82:83], v[52:53], v[60:61]
	ds_read_b128 v[50:53], v18 offset:15616
	ds_read_b128 v[54:57], v66 offset:496
	s_waitcnt lgkmcnt(2)
	v_mul_f64 v[58:59], v[6:7], v[10:11]
	v_fma_f64 v[58:59], v[4:5], v[8:9], -v[58:59]
	v_mul_f64 v[60:61], v[4:5], v[10:11]
	v_fmac_f64_e32 v[60:61], v[6:7], v[8:9]
	v_add_f64 v[62:63], v[62:63], v[58:59]
	s_waitcnt lgkmcnt(1)
	v_mul_f64 v[58:59], v[6:7], v[52:53]
	v_add_f64 v[64:65], v[60:61], v[64:65]
	v_fma_f64 v[84:85], v[4:5], v[50:51], -v[58:59]
	ds_read_b128 v[58:61], v66 offset:8672
	v_mul_f64 v[4:5], v[4:5], v[52:53]
	v_fmac_f64_e32 v[4:5], v[6:7], v[50:51]
	v_add_f64 v[78:79], v[78:79], v[84:85]
	v_add_f64 v[76:77], v[4:5], v[76:77]
	ds_read_b128 v[4:7], v66 offset:8688
	s_waitcnt lgkmcnt(1)
	v_mul_f64 v[84:85], v[60:61], v[10:11]
	v_mul_f64 v[10:11], v[58:59], v[10:11]
	v_fma_f64 v[84:85], v[58:59], v[8:9], -v[84:85]
	v_fmac_f64_e32 v[10:11], v[60:61], v[8:9]
	v_mul_f64 v[8:9], v[60:61], v[52:53]
	v_add_f64 v[72:73], v[72:73], v[84:85]
	v_add_f64 v[74:75], v[10:11], v[74:75]
	v_fma_f64 v[84:85], v[58:59], v[50:51], -v[8:9]
	v_mul_f64 v[52:53], v[58:59], v[52:53]
	ds_read_b128 v[8:11], v18 offset:15872
	v_fmac_f64_e32 v[52:53], v[60:61], v[50:51]
	v_add_f64 v[82:83], v[52:53], v[82:83]
	ds_read_b128 v[50:53], v18 offset:16128
	s_add_u32 s38, s38, 32
	s_waitcnt lgkmcnt(1)
	v_mul_f64 v[58:59], v[56:57], v[10:11]
	v_fma_f64 v[58:59], v[54:55], v[8:9], -v[58:59]
	v_add_f64 v[62:63], v[62:63], v[58:59]
	s_waitcnt lgkmcnt(0)
	v_mul_f64 v[58:59], v[56:57], v[52:53]
	v_mul_f64 v[60:61], v[54:55], v[10:11]
	v_fma_f64 v[58:59], v[54:55], v[50:51], -v[58:59]
	v_mul_f64 v[54:55], v[54:55], v[52:53]
	v_fmac_f64_e32 v[60:61], v[56:57], v[8:9]
	v_fmac_f64_e32 v[54:55], v[56:57], v[50:51]
	v_add_f64 v[64:65], v[60:61], v[64:65]
	v_add_f64 v[60:61], v[54:55], v[76:77]
	v_mul_f64 v[54:55], v[6:7], v[10:11]
	v_mul_f64 v[10:11], v[4:5], v[10:11]
	v_fma_f64 v[54:55], v[4:5], v[8:9], -v[54:55]
	v_fmac_f64_e32 v[10:11], v[6:7], v[8:9]
	v_mul_f64 v[8:9], v[6:7], v[52:53]
	v_fma_f64 v[8:9], v[4:5], v[50:51], -v[8:9]
	v_mul_f64 v[4:5], v[4:5], v[52:53]
	v_add_f64 v[80:81], v[80:81], v[84:85]
	v_fmac_f64_e32 v[4:5], v[6:7], v[50:51]
	s_addc_u32 s39, s39, 0
	s_sub_i32 s4, s38, 32
	v_add_f64 v[58:59], v[78:79], v[58:59]
	v_add_f64 v[54:55], v[72:73], v[54:55]
	;; [unrolled: 1-line block ×5, first 2 shown]
	v_lshl_add_u64 v[42:43], v[42:43], 0, s[36:37]
	v_lshl_add_u64 v[48:49], v[48:49], 0, s[54:55]
	;; [unrolled: 1-line block ×3, first 2 shown]
	s_cmp_ge_i32 s4, s33
	v_lshl_add_u64 v[44:45], v[44:45], 0, s[36:37]
	s_barrier
	s_cbranch_scc1 .LBB109_55
.LBB109_7:                              ;   Parent Loop BB109_4 Depth=1
                                        ; =>  This Inner Loop Header: Depth=2
	v_lshl_add_u64 v[4:5], v[12:13], 0, s[38:39]
	v_cmp_le_i64_e64 s[12:13], s[52:53], v[4:5]
	v_cmp_eq_u64_e64 s[4:5], s[38:39], v[24:25]
	v_cmp_gt_i64_e64 s[10:11], v[4:5], v[16:17]
	s_and_b64 s[42:43], s[34:35], s[4:5]
	s_or_b64 s[4:5], s[12:13], s[10:11]
	s_or_b64 s[4:5], s[4:5], s[42:43]
	v_lshl_add_u64 v[6:7], v[46:47], 0, v[34:35]
	s_nor_b64 s[4:5], s[0:1], s[4:5]
	s_and_saveexec_b64 s[40:41], s[4:5]
	s_xor_b64 s[4:5], exec, s[40:41]
	s_cbranch_execz .LBB109_9
; %bb.8:                                ;   in Loop: Header=BB109_7 Depth=2
	global_load_dwordx4 v[8:11], v[6:7], off offset:-256
	s_waitcnt vmcnt(0)
	ds_write2_b64 v41, v[8:9], v[10:11] offset1:1
.LBB109_9:                              ;   in Loop: Header=BB109_7 Depth=2
	s_or_saveexec_b64 s[4:5], s[4:5]
	s_xor_b64 s[40:41], s[42:43], -1
	s_xor_b64 exec, exec, s[4:5]
	s_cbranch_execz .LBB109_15
; %bb.10:                               ;   in Loop: Header=BB109_7 Depth=2
	s_and_saveexec_b64 s[44:45], s[40:41]
	s_xor_b64 s[44:45], exec, s[44:45]
; %bb.11:                               ;   in Loop: Header=BB109_7 Depth=2
	ds_write_b128 v41, v[68:71]
; %bb.12:                               ;   in Loop: Header=BB109_7 Depth=2
	s_andn2_saveexec_b64 s[44:45], s[44:45]
; %bb.13:                               ;   in Loop: Header=BB109_7 Depth=2
	ds_write_b128 v41, v[0:3]
; %bb.14:                               ;   in Loop: Header=BB109_7 Depth=2
	s_or_b64 exec, exec, s[44:45]
.LBB109_15:                             ;   in Loop: Header=BB109_7 Depth=2
	s_or_b64 exec, exec, s[4:5]
	v_cmp_eq_u64_e64 s[4:5], s[38:39], v[26:27]
	s_and_b64 s[44:45], s[34:35], s[4:5]
	v_cmp_lt_i64_e64 s[4:5], v[20:21], v[4:5]
	s_or_b64 s[4:5], s[12:13], s[4:5]
	s_or_b64 s[4:5], s[4:5], s[44:45]
	s_nor_b64 s[4:5], s[14:15], s[4:5]
	s_and_saveexec_b64 s[12:13], s[4:5]
	s_xor_b64 s[4:5], exec, s[12:13]
	s_cbranch_execz .LBB109_17
; %bb.16:                               ;   in Loop: Header=BB109_7 Depth=2
	global_load_dwordx4 v[6:9], v[6:7], off
	v_add_u32_e32 v10, 0x100, v41
	s_waitcnt vmcnt(0)
	ds_write2_b64 v10, v[6:7], v[8:9] offset1:1
.LBB109_17:                             ;   in Loop: Header=BB109_7 Depth=2
	s_andn2_saveexec_b64 s[4:5], s[4:5]
	s_cbranch_execz .LBB109_23
; %bb.18:                               ;   in Loop: Header=BB109_7 Depth=2
	s_xor_b64 s[12:13], s[44:45], -1
	s_and_saveexec_b64 s[44:45], s[12:13]
	s_xor_b64 s[12:13], exec, s[44:45]
; %bb.19:                               ;   in Loop: Header=BB109_7 Depth=2
	ds_write_b128 v41, v[68:71] offset:256
; %bb.20:                               ;   in Loop: Header=BB109_7 Depth=2
	s_andn2_saveexec_b64 s[12:13], s[12:13]
; %bb.21:                               ;   in Loop: Header=BB109_7 Depth=2
	ds_write_b128 v41, v[0:3] offset:256
; %bb.22:                               ;   in Loop: Header=BB109_7 Depth=2
	s_or_b64 exec, exec, s[12:13]
.LBB109_23:                             ;   in Loop: Header=BB109_7 Depth=2
	s_or_b64 exec, exec, s[4:5]
	v_lshl_add_u64 v[6:7], v[4:5], 0, 16
	v_cmp_eq_u64_e64 s[4:5], s[38:39], v[28:29]
	v_cmp_le_i64_e64 s[12:13], s[52:53], v[6:7]
	s_and_b64 s[44:45], s[34:35], s[4:5]
	v_cmp_gt_i64_e64 s[4:5], v[6:7], v[16:17]
	s_or_b64 s[4:5], s[12:13], s[4:5]
	s_or_b64 s[4:5], s[4:5], s[44:45]
	v_lshl_add_u64 v[4:5], v[48:49], 0, v[34:35]
	s_nor_b64 s[4:5], s[0:1], s[4:5]
	s_and_saveexec_b64 s[50:51], s[4:5]
	s_xor_b64 s[4:5], exec, s[50:51]
	s_cbranch_execz .LBB109_25
; %bb.24:                               ;   in Loop: Header=BB109_7 Depth=2
	global_load_dwordx4 v[6:9], v[4:5], off offset:-256
	v_add_u32_e32 v10, 0x2000, v41
	s_waitcnt vmcnt(0)
	ds_write2_b64 v10, v[6:7], v[8:9] offset1:1
.LBB109_25:                             ;   in Loop: Header=BB109_7 Depth=2
	s_andn2_saveexec_b64 s[4:5], s[4:5]
	s_cbranch_execz .LBB109_31
; %bb.26:                               ;   in Loop: Header=BB109_7 Depth=2
	s_xor_b64 s[44:45], s[44:45], -1
	s_and_saveexec_b64 s[50:51], s[44:45]
	s_xor_b64 s[44:45], exec, s[50:51]
; %bb.27:                               ;   in Loop: Header=BB109_7 Depth=2
	ds_write_b128 v41, v[68:71] offset:8192
; %bb.28:                               ;   in Loop: Header=BB109_7 Depth=2
	s_andn2_saveexec_b64 s[44:45], s[44:45]
; %bb.29:                               ;   in Loop: Header=BB109_7 Depth=2
	ds_write_b128 v41, v[0:3] offset:8192
; %bb.30:                               ;   in Loop: Header=BB109_7 Depth=2
	s_or_b64 exec, exec, s[44:45]
.LBB109_31:                             ;   in Loop: Header=BB109_7 Depth=2
	s_or_b64 exec, exec, s[4:5]
	s_or_b64 s[4:5], s[12:13], s[10:11]
	s_or_b64 s[4:5], s[4:5], s[42:43]
	s_nor_b64 s[4:5], s[14:15], s[4:5]
	s_and_saveexec_b64 s[10:11], s[4:5]
	s_xor_b64 s[4:5], exec, s[10:11]
	s_cbranch_execz .LBB109_33
; %bb.32:                               ;   in Loop: Header=BB109_7 Depth=2
	global_load_dwordx4 v[4:7], v[4:5], off
	v_add_u32_e32 v8, 0x2100, v41
	s_waitcnt vmcnt(0)
	ds_write2_b64 v8, v[4:5], v[6:7] offset1:1
.LBB109_33:                             ;   in Loop: Header=BB109_7 Depth=2
	s_andn2_saveexec_b64 s[4:5], s[4:5]
	s_cbranch_execz .LBB109_39
; %bb.34:                               ;   in Loop: Header=BB109_7 Depth=2
	s_and_saveexec_b64 s[10:11], s[40:41]
	s_xor_b64 s[10:11], exec, s[10:11]
; %bb.35:                               ;   in Loop: Header=BB109_7 Depth=2
	ds_write_b128 v41, v[68:71] offset:8448
; %bb.36:                               ;   in Loop: Header=BB109_7 Depth=2
	s_andn2_saveexec_b64 s[10:11], s[10:11]
; %bb.37:                               ;   in Loop: Header=BB109_7 Depth=2
	ds_write_b128 v41, v[0:3] offset:8448
; %bb.38:                               ;   in Loop: Header=BB109_7 Depth=2
	s_or_b64 exec, exec, s[10:11]
.LBB109_39:                             ;   in Loop: Header=BB109_7 Depth=2
	s_or_b64 exec, exec, s[4:5]
	v_lshl_add_u64 v[4:5], v[14:15], 0, s[38:39]
	v_cmp_gt_i64_e64 s[10:11], s[52:53], v[4:5]
	s_and_b64 s[4:5], vcc, s[10:11]
	s_xor_b64 s[4:5], s[4:5], -1
	s_and_saveexec_b64 s[12:13], s[4:5]
	s_xor_b64 s[4:5], exec, s[12:13]
; %bb.40:                               ;   in Loop: Header=BB109_7 Depth=2
	ds_write_b128 v67, v[68:71]
; %bb.41:                               ;   in Loop: Header=BB109_7 Depth=2
	s_andn2_saveexec_b64 s[4:5], s[4:5]
	s_cbranch_execz .LBB109_43
; %bb.42:                               ;   in Loop: Header=BB109_7 Depth=2
	global_load_dwordx4 v[6:9], v[42:43], off offset:-256
	s_waitcnt vmcnt(0)
	ds_write2_b64 v67, v[6:7], v[8:9] offset1:1
.LBB109_43:                             ;   in Loop: Header=BB109_7 Depth=2
	s_or_b64 exec, exec, s[4:5]
	v_cmp_gt_i64_e64 s[12:13], s[56:57], v[4:5]
	s_and_b64 s[4:5], vcc, s[12:13]
	s_xor_b64 s[4:5], s[4:5], -1
	s_and_saveexec_b64 s[40:41], s[4:5]
	s_xor_b64 s[4:5], exec, s[40:41]
; %bb.44:                               ;   in Loop: Header=BB109_7 Depth=2
	ds_write_b128 v67, v[68:71] offset:256
; %bb.45:                               ;   in Loop: Header=BB109_7 Depth=2
	s_andn2_saveexec_b64 s[4:5], s[4:5]
	s_cbranch_execz .LBB109_47
; %bb.46:                               ;   in Loop: Header=BB109_7 Depth=2
	global_load_dwordx4 v[4:7], v[42:43], off
	v_add_u32_e32 v8, 0x100, v67
	s_waitcnt vmcnt(0)
	ds_write2_b64 v8, v[4:5], v[6:7] offset1:1
.LBB109_47:                             ;   in Loop: Header=BB109_7 Depth=2
	s_or_b64 exec, exec, s[4:5]
	s_and_b64 s[4:5], s[8:9], s[10:11]
	s_xor_b64 s[4:5], s[4:5], -1
	s_and_saveexec_b64 s[10:11], s[4:5]
	s_xor_b64 s[4:5], exec, s[10:11]
; %bb.48:                               ;   in Loop: Header=BB109_7 Depth=2
	ds_write_b128 v67, v[68:71] offset:8192
; %bb.49:                               ;   in Loop: Header=BB109_7 Depth=2
	s_andn2_saveexec_b64 s[4:5], s[4:5]
	s_cbranch_execz .LBB109_51
; %bb.50:                               ;   in Loop: Header=BB109_7 Depth=2
	global_load_dwordx4 v[4:7], v[44:45], off offset:-256
	v_add_u32_e32 v8, 0x2000, v67
	s_waitcnt vmcnt(0)
	ds_write2_b64 v8, v[4:5], v[6:7] offset1:1
.LBB109_51:                             ;   in Loop: Header=BB109_7 Depth=2
	s_or_b64 exec, exec, s[4:5]
	s_and_b64 s[4:5], s[8:9], s[12:13]
	s_xor_b64 s[4:5], s[4:5], -1
	s_and_saveexec_b64 s[10:11], s[4:5]
	s_xor_b64 s[4:5], exec, s[10:11]
; %bb.52:                               ;   in Loop: Header=BB109_7 Depth=2
	ds_write_b128 v67, v[68:71] offset:8448
; %bb.53:                               ;   in Loop: Header=BB109_7 Depth=2
	s_andn2_saveexec_b64 s[4:5], s[4:5]
	s_cbranch_execz .LBB109_6
; %bb.54:                               ;   in Loop: Header=BB109_7 Depth=2
	global_load_dwordx4 v[4:7], v[44:45], off
	v_add_u32_e32 v8, 0x2100, v67
	s_waitcnt vmcnt(0)
	ds_write2_b64 v8, v[4:5], v[6:7] offset1:1
	s_branch .LBB109_6
.LBB109_55:                             ;   in Loop: Header=BB109_4 Depth=1
	v_mul_lo_u32 v6, s21, v40
	v_mul_lo_u32 v7, s20, v19
	v_mad_u64_u32 v[4:5], s[4:5], s20, v40, 0
	v_cmp_gt_i32_e32 vcc, s30, v40
	v_add3_u32 v5, v5, v7, v6
	v_lshl_add_u64 v[4:5], v[4:5], 4, s[18:19]
	s_and_b64 s[8:9], s[16:17], vcc
	s_and_saveexec_b64 s[4:5], s[8:9]
	s_cbranch_execz .LBB109_57
; %bb.56:                               ;   in Loop: Header=BB109_4 Depth=1
	v_lshl_add_u64 v[10:11], v[16:17], 4, v[4:5]
	global_load_dwordx4 v[6:9], v[10:11], off
	v_mul_f64 v[42:43], s[26:27], v[64:65]
	v_mul_f64 v[44:45], s[24:25], v[64:65]
	v_fma_f64 v[42:43], s[24:25], v[62:63], -v[42:43]
	v_fmac_f64_e32 v[44:45], s[26:27], v[62:63]
	s_waitcnt vmcnt(0)
	v_add_f64 v[6:7], v[6:7], v[42:43]
	v_add_f64 v[8:9], v[44:45], v[8:9]
	global_store_dwordx4 v[10:11], v[6:9], off
.LBB109_57:                             ;   in Loop: Header=BB109_4 Depth=1
	s_or_b64 exec, exec, s[4:5]
	s_and_b64 s[8:9], s[6:7], vcc
	s_and_saveexec_b64 s[4:5], s[8:9]
	s_cbranch_execz .LBB109_59
; %bb.58:                               ;   in Loop: Header=BB109_4 Depth=1
	v_lshl_add_u64 v[8:9], v[22:23], 4, v[4:5]
	global_load_dwordx4 v[4:7], v[8:9], off
	v_mul_f64 v[10:11], s[26:27], v[60:61]
	v_mul_f64 v[42:43], s[24:25], v[60:61]
	v_fma_f64 v[10:11], s[24:25], v[58:59], -v[10:11]
	v_fmac_f64_e32 v[42:43], s[26:27], v[58:59]
	s_waitcnt vmcnt(0)
	v_add_f64 v[4:5], v[4:5], v[10:11]
	v_add_f64 v[6:7], v[42:43], v[6:7]
	global_store_dwordx4 v[8:9], v[4:7], off
.LBB109_59:                             ;   in Loop: Header=BB109_4 Depth=1
	s_or_b64 exec, exec, s[4:5]
	s_nop 0
	v_add_u32_e32 v4, 16, v40
	v_ashrrev_i32_e32 v5, 31, v4
	v_cmp_gt_i32_e32 vcc, s30, v4
	v_mul_lo_u32 v6, s20, v5
	v_mul_lo_u32 v7, s21, v4
	v_mad_u64_u32 v[4:5], s[4:5], s20, v4, 0
	v_add3_u32 v5, v5, v6, v7
	v_lshl_add_u64 v[4:5], v[4:5], 4, s[18:19]
	s_and_b64 s[8:9], s[16:17], vcc
	s_and_saveexec_b64 s[4:5], s[8:9]
	s_cbranch_execz .LBB109_61
; %bb.60:                               ;   in Loop: Header=BB109_4 Depth=1
	v_lshl_add_u64 v[10:11], v[16:17], 4, v[4:5]
	global_load_dwordx4 v[6:9], v[10:11], off
	v_mul_f64 v[42:43], s[26:27], v[56:57]
	v_mul_f64 v[44:45], s[24:25], v[56:57]
	v_fma_f64 v[42:43], s[24:25], v[54:55], -v[42:43]
	v_fmac_f64_e32 v[44:45], s[26:27], v[54:55]
	s_waitcnt vmcnt(0)
	v_add_f64 v[6:7], v[6:7], v[42:43]
	v_add_f64 v[8:9], v[44:45], v[8:9]
	global_store_dwordx4 v[10:11], v[6:9], off
.LBB109_61:                             ;   in Loop: Header=BB109_4 Depth=1
	s_or_b64 exec, exec, s[4:5]
	s_and_b64 s[8:9], s[6:7], vcc
	s_and_saveexec_b64 s[4:5], s[8:9]
	s_cbranch_execz .LBB109_3
; %bb.62:                               ;   in Loop: Header=BB109_4 Depth=1
	v_lshl_add_u64 v[8:9], v[22:23], 4, v[4:5]
	global_load_dwordx4 v[4:7], v[8:9], off
	v_mul_f64 v[10:11], s[26:27], v[50:51]
	v_mul_f64 v[42:43], s[24:25], v[50:51]
	v_fma_f64 v[10:11], s[24:25], v[52:53], -v[10:11]
	v_fmac_f64_e32 v[42:43], s[26:27], v[52:53]
	s_waitcnt vmcnt(0)
	v_add_f64 v[4:5], v[4:5], v[10:11]
	v_add_f64 v[6:7], v[42:43], v[6:7]
	global_store_dwordx4 v[8:9], v[4:7], off
	s_branch .LBB109_3
.LBB109_63:
	s_endpgm
	.section	.rodata,"a",@progbits
	.p2align	6, 0x0
	.amdhsa_kernel _ZL30rocblas_trmm_outofplace_kernelI19rocblas_complex_numIdELi32ELi2ELb1ELb0ELb0ELb0ES1_KS1_S1_Ev17rocblas_diagonal_iiT6_lPT7_lllS6_lllPT8_llli
		.amdhsa_group_segment_fixed_size 32768
		.amdhsa_private_segment_fixed_size 0
		.amdhsa_kernarg_size 400
		.amdhsa_user_sgpr_count 2
		.amdhsa_user_sgpr_dispatch_ptr 0
		.amdhsa_user_sgpr_queue_ptr 0
		.amdhsa_user_sgpr_kernarg_segment_ptr 1
		.amdhsa_user_sgpr_dispatch_id 0
		.amdhsa_user_sgpr_kernarg_preload_length 0
		.amdhsa_user_sgpr_kernarg_preload_offset 0
		.amdhsa_user_sgpr_private_segment_size 0
		.amdhsa_uses_dynamic_stack 0
		.amdhsa_enable_private_segment 0
		.amdhsa_system_sgpr_workgroup_id_x 1
		.amdhsa_system_sgpr_workgroup_id_y 1
		.amdhsa_system_sgpr_workgroup_id_z 1
		.amdhsa_system_sgpr_workgroup_info 0
		.amdhsa_system_vgpr_workitem_id 1
		.amdhsa_next_free_vgpr 94
		.amdhsa_next_free_sgpr 59
		.amdhsa_accum_offset 96
		.amdhsa_reserve_vcc 1
		.amdhsa_float_round_mode_32 0
		.amdhsa_float_round_mode_16_64 0
		.amdhsa_float_denorm_mode_32 3
		.amdhsa_float_denorm_mode_16_64 3
		.amdhsa_dx10_clamp 1
		.amdhsa_ieee_mode 1
		.amdhsa_fp16_overflow 0
		.amdhsa_tg_split 0
		.amdhsa_exception_fp_ieee_invalid_op 0
		.amdhsa_exception_fp_denorm_src 0
		.amdhsa_exception_fp_ieee_div_zero 0
		.amdhsa_exception_fp_ieee_overflow 0
		.amdhsa_exception_fp_ieee_underflow 0
		.amdhsa_exception_fp_ieee_inexact 0
		.amdhsa_exception_int_div_zero 0
	.end_amdhsa_kernel
	.section	.text._ZL30rocblas_trmm_outofplace_kernelI19rocblas_complex_numIdELi32ELi2ELb1ELb0ELb0ELb0ES1_KS1_S1_Ev17rocblas_diagonal_iiT6_lPT7_lllS6_lllPT8_llli,"axG",@progbits,_ZL30rocblas_trmm_outofplace_kernelI19rocblas_complex_numIdELi32ELi2ELb1ELb0ELb0ELb0ES1_KS1_S1_Ev17rocblas_diagonal_iiT6_lPT7_lllS6_lllPT8_llli,comdat
.Lfunc_end109:
	.size	_ZL30rocblas_trmm_outofplace_kernelI19rocblas_complex_numIdELi32ELi2ELb1ELb0ELb0ELb0ES1_KS1_S1_Ev17rocblas_diagonal_iiT6_lPT7_lllS6_lllPT8_llli, .Lfunc_end109-_ZL30rocblas_trmm_outofplace_kernelI19rocblas_complex_numIdELi32ELi2ELb1ELb0ELb0ELb0ES1_KS1_S1_Ev17rocblas_diagonal_iiT6_lPT7_lllS6_lllPT8_llli
                                        ; -- End function
	.set _ZL30rocblas_trmm_outofplace_kernelI19rocblas_complex_numIdELi32ELi2ELb1ELb0ELb0ELb0ES1_KS1_S1_Ev17rocblas_diagonal_iiT6_lPT7_lllS6_lllPT8_llli.num_vgpr, 94
	.set _ZL30rocblas_trmm_outofplace_kernelI19rocblas_complex_numIdELi32ELi2ELb1ELb0ELb0ELb0ES1_KS1_S1_Ev17rocblas_diagonal_iiT6_lPT7_lllS6_lllPT8_llli.num_agpr, 0
	.set _ZL30rocblas_trmm_outofplace_kernelI19rocblas_complex_numIdELi32ELi2ELb1ELb0ELb0ELb0ES1_KS1_S1_Ev17rocblas_diagonal_iiT6_lPT7_lllS6_lllPT8_llli.numbered_sgpr, 59
	.set _ZL30rocblas_trmm_outofplace_kernelI19rocblas_complex_numIdELi32ELi2ELb1ELb0ELb0ELb0ES1_KS1_S1_Ev17rocblas_diagonal_iiT6_lPT7_lllS6_lllPT8_llli.num_named_barrier, 0
	.set _ZL30rocblas_trmm_outofplace_kernelI19rocblas_complex_numIdELi32ELi2ELb1ELb0ELb0ELb0ES1_KS1_S1_Ev17rocblas_diagonal_iiT6_lPT7_lllS6_lllPT8_llli.private_seg_size, 0
	.set _ZL30rocblas_trmm_outofplace_kernelI19rocblas_complex_numIdELi32ELi2ELb1ELb0ELb0ELb0ES1_KS1_S1_Ev17rocblas_diagonal_iiT6_lPT7_lllS6_lllPT8_llli.uses_vcc, 1
	.set _ZL30rocblas_trmm_outofplace_kernelI19rocblas_complex_numIdELi32ELi2ELb1ELb0ELb0ELb0ES1_KS1_S1_Ev17rocblas_diagonal_iiT6_lPT7_lllS6_lllPT8_llli.uses_flat_scratch, 0
	.set _ZL30rocblas_trmm_outofplace_kernelI19rocblas_complex_numIdELi32ELi2ELb1ELb0ELb0ELb0ES1_KS1_S1_Ev17rocblas_diagonal_iiT6_lPT7_lllS6_lllPT8_llli.has_dyn_sized_stack, 0
	.set _ZL30rocblas_trmm_outofplace_kernelI19rocblas_complex_numIdELi32ELi2ELb1ELb0ELb0ELb0ES1_KS1_S1_Ev17rocblas_diagonal_iiT6_lPT7_lllS6_lllPT8_llli.has_recursion, 0
	.set _ZL30rocblas_trmm_outofplace_kernelI19rocblas_complex_numIdELi32ELi2ELb1ELb0ELb0ELb0ES1_KS1_S1_Ev17rocblas_diagonal_iiT6_lPT7_lllS6_lllPT8_llli.has_indirect_call, 0
	.section	.AMDGPU.csdata,"",@progbits
; Kernel info:
; codeLenInByte = 9096
; TotalNumSgprs: 65
; NumVgprs: 94
; NumAgprs: 0
; TotalNumVgprs: 94
; ScratchSize: 0
; MemoryBound: 0
; FloatMode: 240
; IeeeMode: 1
; LDSByteSize: 32768 bytes/workgroup (compile time only)
; SGPRBlocks: 8
; VGPRBlocks: 11
; NumSGPRsForWavesPerEU: 65
; NumVGPRsForWavesPerEU: 94
; AccumOffset: 96
; Occupancy: 5
; WaveLimiterHint : 0
; COMPUTE_PGM_RSRC2:SCRATCH_EN: 0
; COMPUTE_PGM_RSRC2:USER_SGPR: 2
; COMPUTE_PGM_RSRC2:TRAP_HANDLER: 0
; COMPUTE_PGM_RSRC2:TGID_X_EN: 1
; COMPUTE_PGM_RSRC2:TGID_Y_EN: 1
; COMPUTE_PGM_RSRC2:TGID_Z_EN: 1
; COMPUTE_PGM_RSRC2:TIDIG_COMP_CNT: 1
; COMPUTE_PGM_RSRC3_GFX90A:ACCUM_OFFSET: 23
; COMPUTE_PGM_RSRC3_GFX90A:TG_SPLIT: 0
	.section	.text._ZL30rocblas_trmm_outofplace_kernelI19rocblas_complex_numIdELi32ELi2ELb1ELb1ELb0ELb0EPKS1_S2_S1_Ev17rocblas_diagonal_iiT6_lPT7_lllS7_lllPT8_llli,"axG",@progbits,_ZL30rocblas_trmm_outofplace_kernelI19rocblas_complex_numIdELi32ELi2ELb1ELb1ELb0ELb0EPKS1_S2_S1_Ev17rocblas_diagonal_iiT6_lPT7_lllS7_lllPT8_llli,comdat
	.globl	_ZL30rocblas_trmm_outofplace_kernelI19rocblas_complex_numIdELi32ELi2ELb1ELb1ELb0ELb0EPKS1_S2_S1_Ev17rocblas_diagonal_iiT6_lPT7_lllS7_lllPT8_llli ; -- Begin function _ZL30rocblas_trmm_outofplace_kernelI19rocblas_complex_numIdELi32ELi2ELb1ELb1ELb0ELb0EPKS1_S2_S1_Ev17rocblas_diagonal_iiT6_lPT7_lllS7_lllPT8_llli
	.p2align	8
	.type	_ZL30rocblas_trmm_outofplace_kernelI19rocblas_complex_numIdELi32ELi2ELb1ELb1ELb0ELb0EPKS1_S2_S1_Ev17rocblas_diagonal_iiT6_lPT7_lllS7_lllPT8_llli,@function
_ZL30rocblas_trmm_outofplace_kernelI19rocblas_complex_numIdELi32ELi2ELb1ELb1ELb0ELb0EPKS1_S2_S1_Ev17rocblas_diagonal_iiT6_lPT7_lllS7_lllPT8_llli: ; @_ZL30rocblas_trmm_outofplace_kernelI19rocblas_complex_numIdELi32ELi2ELb1ELb1ELb0ELb0EPKS1_S2_S1_Ev17rocblas_diagonal_iiT6_lPT7_lllS7_lllPT8_llli
; %bb.0:
	s_load_dwordx16 s[16:31], s[0:1], 0x10
	s_waitcnt lgkmcnt(0)
	s_mul_i32 s5, s19, s4
	s_mul_hi_u32 s6, s18, s4
	s_add_i32 s7, s6, s5
	s_mul_i32 s6, s18, s4
	s_lshl_b64 s[6:7], s[6:7], 4
	s_add_u32 s6, s16, s6
	s_addc_u32 s7, s17, s7
	s_load_dwordx4 s[44:47], s[6:7], 0x0
	s_waitcnt lgkmcnt(0)
	v_cmp_eq_f64_e64 s[6:7], s[44:45], 0
	v_cmp_eq_f64_e64 s[8:9], s[46:47], 0
	s_and_b64 s[6:7], s[6:7], s[8:9]
	s_and_b64 vcc, exec, s[6:7]
	s_cbranch_vccnz .LBB110_64
; %bb.1:
	s_load_dwordx4 s[48:51], s[0:1], 0x0
	s_waitcnt lgkmcnt(0)
	s_add_i32 s5, s50, -1
	s_ashr_i32 s6, s5, 31
	s_lshr_b32 s6, s6, 27
	s_add_i32 s5, s5, s6
	s_ashr_i32 s33, s5, 5
	s_cmp_gt_i32 s3, s33
	s_cbranch_scc1 .LBB110_64
; %bb.2:
	s_load_dwordx4 s[52:55], s[0:1], 0x70
	s_load_dwordx8 s[36:43], s[0:1], 0x50
	s_load_dword s51, s[0:1], 0x8c
	v_bfe_u32 v66, v0, 10, 10
	v_and_b32_e32 v0, 0x3ff, v0
	v_lshlrev_b32_e32 v1, 9, v66
	s_waitcnt lgkmcnt(0)
	s_mul_i32 s0, s55, s4
	s_mul_hi_u32 s1, s54, s4
	s_add_i32 s1, s1, s0
	s_mul_i32 s0, s54, s4
	s_lshl_b64 s[0:1], s[0:1], 4
	s_add_u32 s5, s40, s0
	s_addc_u32 s6, s41, s1
	s_lshl_b64 s[0:1], s[42:43], 4
	s_add_u32 s18, s5, s0
	s_addc_u32 s19, s6, s1
	s_lshl_b32 s0, s2, 5
	s_sub_i32 s2, s49, s0
	s_cmp_gt_i32 s2, 0
	s_cselect_b64 s[34:35], -1, 0
	s_cmpk_eq_i32 s48, 0x84
	s_cselect_b64 s[40:41], -1, 0
	s_ashr_i32 s43, s49, 31
	s_ashr_i32 s58, s50, 31
	s_lshl_b64 s[54:55], s[24:25], 9
	s_add_u32 s56, s49, -16
	s_mul_i32 s5, s39, s4
	s_mul_hi_u32 s8, s38, s4
	s_addc_u32 s57, s43, -1
	s_add_i32 s9, s8, s5
	s_mul_i32 s8, s38, s4
	s_lshl_b64 s[8:9], s[8:9], 4
	s_lshl_b64 s[10:11], s[30:31], 4
	s_add_u32 s5, s8, s10
	s_addc_u32 s8, s9, s11
	s_add_u32 s28, s28, s5
	s_addc_u32 s29, s29, s8
	s_add_u32 s30, s28, 0x100
	s_mul_i32 s5, s27, s4
	s_mul_hi_u32 s10, s26, s4
	s_addc_u32 s31, s29, 0
	s_add_i32 s5, s10, s5
	s_mul_i32 s4, s26, s4
	s_lshl_b64 s[38:39], s[36:37], 4
	s_lshl_b32 s59, s51, 5
	s_lshl_b64 s[4:5], s[4:5], 4
	s_lshl_b64 s[10:11], s[22:23], 4
	s_add_u32 s10, s20, s10
	s_addc_u32 s11, s21, s11
	v_add_u32_e32 v16, s0, v66
	s_add_u32 s4, s10, s4
	v_ashrrev_i32_e32 v17, 31, v16
	v_lshlrev_b32_e32 v67, 4, v0
	v_mov_b64_e32 v[34:35], 0x100
	s_addc_u32 s5, s11, s5
	v_add_u32_e32 v18, s0, v0
	v_add_u32_e32 v68, v67, v1
	;; [unrolled: 1-line block ×3, first 2 shown]
	v_lshl_add_u64 v[0:1], v[16:17], 4, v[34:35]
	v_mov_b64_e32 v[2:3], s[4:5]
	v_mad_u64_u32 v[2:3], s[10:11], s24, v0, v[2:3]
	v_mul_lo_u32 v1, s24, v1
	v_mul_lo_u32 v0, s25, v0
	s_mov_b64 s[8:9], 0x100
	v_add3_u32 v3, v0, v3, v1
	v_lshl_add_u64 v[36:37], v[2:3], 0, s[8:9]
	v_mul_lo_u32 v2, s24, v17
	v_mul_lo_u32 v3, s25, v16
	v_mad_u64_u32 v[0:1], s[10:11], s24, v16, 0
	v_add3_u32 v1, v1, v2, v3
	v_ashrrev_i32_e32 v19, 31, v18
	v_sub_co_u32_e32 v24, vcc, v18, v16
	v_lshl_add_u64 v[0:1], v[0:1], 4, s[4:5]
	s_mov_b32 s42, s49
	v_add_u32_e32 v70, v69, v67
	v_lshl_add_u64 v[20:21], v[18:19], 0, 16
	v_add_u32_e32 v22, 16, v18
	v_subb_co_u32_e32 v25, vcc, v19, v17, vcc
	v_lshl_add_u64 v[38:39], v[0:1], 0, s[8:9]
	v_mov_b32_e32 v0, 0
	v_cmp_le_i32_e64 s[0:1], s49, v18
	v_cmp_le_i64_e64 s[14:15], s[42:43], v[20:21]
	v_add_u32_e32 v71, 0x2100, v70
	v_cmp_gt_i32_e64 s[16:17], s49, v18
	v_cmp_gt_i32_e64 s[6:7], s49, v22
	v_ashrrev_i32_e32 v23, 31, v22
	v_lshl_add_u64 v[26:27], v[24:25], 0, 16
	v_lshl_add_u64 v[28:29], v[24:25], 0, -16
	v_lshlrev_b64 v[30:31], 4, v[18:19]
	v_lshl_add_u32 v32, s3, 5, v66
	s_mov_b64 s[20:21], 0x200
	v_mov_b32_e32 v1, v0
	v_mov_b32_e32 v2, v0
	;; [unrolled: 1-line block ×7, first 2 shown]
	s_branch .LBB110_4
.LBB110_3:                              ;   in Loop: Header=BB110_4 Depth=1
	s_or_b64 exec, exec, s[4:5]
	s_add_i32 s3, s51, s3
	s_cmp_le_i32 s3, s33
	v_add_u32_e32 v32, s59, v32
	s_cbranch_scc0 .LBB110_64
.LBB110_4:                              ; =>This Loop Header: Depth=1
                                        ;     Child Loop BB110_7 Depth 2
	v_lshl_add_u32 v40, s3, 5, v66
	s_andn2_b64 vcc, exec, s[34:35]
	v_ashrrev_i32_e32 v41, 31, v40
	s_cbranch_vccnz .LBB110_55
; %bb.5:                                ;   in Loop: Header=BB110_4 Depth=1
	v_ashrrev_i32_e32 v33, 31, v32
	v_mov_b64_e32 v[8:9], s[30:31]
	v_mad_u64_u32 v[42:43], s[4:5], s38, v32, v[8:9]
	v_mul_lo_u32 v8, s39, v32
	v_mul_lo_u32 v9, s38, v33
	v_add3_u32 v43, v8, v43, v9
	v_lshl_add_u64 v[8:9], v[32:33], 4, v[34:35]
	v_mov_b64_e32 v[10:11], s[28:29]
	v_mul_lo_u32 v9, s36, v9
	v_mul_lo_u32 v12, s37, v8
	v_mad_u64_u32 v[44:45], s[4:5], s36, v8, v[10:11]
	v_add3_u32 v45, v12, v45, v9
	v_mov_b32_e32 v9, s58
	v_sub_co_u32_e32 v8, vcc, s50, v40
	s_mov_b64 s[22:23], 0
	s_nop 0
	v_subb_co_u32_e32 v9, vcc, v9, v41, vcc
	v_cmp_lt_i64_e32 vcc, 0, v[8:9]
	v_cmp_lt_i64_e64 s[8:9], 16, v[8:9]
	v_mov_b64_e32 v[50:51], 0
	v_mov_b64_e32 v[46:47], v[38:39]
	;; [unrolled: 1-line block ×10, first 2 shown]
	s_branch .LBB110_7
.LBB110_6:                              ;   in Loop: Header=BB110_7 Depth=2
	s_or_b64 exec, exec, s[4:5]
	s_waitcnt lgkmcnt(0)
	s_barrier
	ds_read_b128 v[72:75], v67
	ds_read_b128 v[76:79], v69
	ds_read_b128 v[80:83], v69 offset:16
	ds_read_b128 v[12:15], v69 offset:32
	;; [unrolled: 1-line block ×4, first 2 shown]
	s_waitcnt lgkmcnt(4)
	v_mul_f64 v[88:89], v[78:79], v[74:75]
	v_fma_f64 v[88:89], v[76:77], v[72:73], -v[88:89]
	v_mul_f64 v[90:91], v[76:77], v[74:75]
	v_fmac_f64_e32 v[90:91], v[78:79], v[72:73]
	v_add_f64 v[88:89], v[62:63], v[88:89]
	s_waitcnt lgkmcnt(0)
	v_mul_f64 v[62:63], v[78:79], v[86:87]
	v_add_f64 v[90:91], v[90:91], v[64:65]
	v_fma_f64 v[92:93], v[76:77], v[84:85], -v[62:63]
	ds_read_b128 v[62:65], v69 offset:8192
	v_mul_f64 v[76:77], v[76:77], v[86:87]
	v_fmac_f64_e32 v[76:77], v[78:79], v[84:85]
	v_add_f64 v[78:79], v[58:59], v[92:93]
	v_add_f64 v[76:77], v[76:77], v[60:61]
	ds_read_b128 v[58:61], v69 offset:8208
	s_waitcnt lgkmcnt(1)
	v_mul_f64 v[92:93], v[64:65], v[74:75]
	v_fma_f64 v[92:93], v[62:63], v[72:73], -v[92:93]
	v_mul_f64 v[74:75], v[62:63], v[74:75]
	v_fmac_f64_e32 v[74:75], v[64:65], v[72:73]
	v_add_f64 v[72:73], v[54:55], v[92:93]
	v_mul_f64 v[54:55], v[64:65], v[86:87]
	v_add_f64 v[74:75], v[74:75], v[56:57]
	v_fma_f64 v[92:93], v[62:63], v[84:85], -v[54:55]
	v_mul_f64 v[62:63], v[62:63], v[86:87]
	ds_read_b128 v[54:57], v67 offset:512
	v_fmac_f64_e32 v[62:63], v[64:65], v[84:85]
	v_add_f64 v[64:65], v[52:53], v[92:93]
	v_add_f64 v[62:63], v[62:63], v[50:51]
	ds_read_b128 v[50:53], v67 offset:768
	s_waitcnt lgkmcnt(1)
	v_mul_f64 v[84:85], v[82:83], v[56:57]
	v_fma_f64 v[84:85], v[80:81], v[54:55], -v[84:85]
	v_add_f64 v[84:85], v[88:89], v[84:85]
	v_mul_f64 v[86:87], v[80:81], v[56:57]
	s_waitcnt lgkmcnt(0)
	v_mul_f64 v[88:89], v[82:83], v[52:53]
	v_fma_f64 v[88:89], v[80:81], v[50:51], -v[88:89]
	v_mul_f64 v[80:81], v[80:81], v[52:53]
	v_fmac_f64_e32 v[80:81], v[82:83], v[50:51]
	v_add_f64 v[76:77], v[80:81], v[76:77]
	v_mul_f64 v[80:81], v[60:61], v[56:57]
	v_mul_f64 v[56:57], v[58:59], v[56:57]
	v_fmac_f64_e32 v[86:87], v[82:83], v[54:55]
	v_fma_f64 v[80:81], v[58:59], v[54:55], -v[80:81]
	v_fmac_f64_e32 v[56:57], v[60:61], v[54:55]
	v_mul_f64 v[54:55], v[60:61], v[52:53]
	v_add_f64 v[74:75], v[56:57], v[74:75]
	v_fma_f64 v[56:57], v[58:59], v[50:51], -v[54:55]
	v_mul_f64 v[58:59], v[58:59], v[52:53]
	ds_read_b128 v[52:55], v67 offset:1024
	v_fmac_f64_e32 v[58:59], v[60:61], v[50:51]
	v_add_f64 v[72:73], v[72:73], v[80:81]
	v_add_f64 v[64:65], v[64:65], v[56:57]
	;; [unrolled: 1-line block ×3, first 2 shown]
	ds_read_b128 v[56:59], v67 offset:1280
	s_waitcnt lgkmcnt(1)
	v_mul_f64 v[50:51], v[14:15], v[54:55]
	v_mul_f64 v[60:61], v[12:13], v[54:55]
	v_add_f64 v[86:87], v[86:87], v[90:91]
	v_fma_f64 v[50:51], v[12:13], v[52:53], -v[50:51]
	v_fmac_f64_e32 v[60:61], v[14:15], v[52:53]
	v_add_f64 v[82:83], v[84:85], v[50:51]
	v_add_f64 v[84:85], v[60:61], v[86:87]
	ds_read_b128 v[60:63], v69 offset:8224
	s_waitcnt lgkmcnt(1)
	v_mul_f64 v[50:51], v[14:15], v[58:59]
	v_fma_f64 v[50:51], v[12:13], v[56:57], -v[50:51]
	v_mul_f64 v[12:13], v[12:13], v[58:59]
	v_add_f64 v[78:79], v[78:79], v[88:89]
	v_fmac_f64_e32 v[12:13], v[14:15], v[56:57]
	v_add_f64 v[78:79], v[78:79], v[50:51]
	v_add_f64 v[76:77], v[12:13], v[76:77]
	ds_read_b128 v[12:15], v69 offset:8240
	s_waitcnt lgkmcnt(1)
	v_mul_f64 v[50:51], v[62:63], v[54:55]
	v_fma_f64 v[50:51], v[60:61], v[52:53], -v[50:51]
	v_mul_f64 v[54:55], v[60:61], v[54:55]
	v_fmac_f64_e32 v[54:55], v[62:63], v[52:53]
	v_add_f64 v[72:73], v[72:73], v[50:51]
	v_mul_f64 v[50:51], v[62:63], v[58:59]
	v_add_f64 v[74:75], v[54:55], v[74:75]
	v_fma_f64 v[54:55], v[60:61], v[56:57], -v[50:51]
	v_mul_f64 v[58:59], v[60:61], v[58:59]
	ds_read_b128 v[50:53], v67 offset:1536
	v_fmac_f64_e32 v[58:59], v[62:63], v[56:57]
	v_add_f64 v[60:61], v[64:65], v[54:55]
	ds_read_b128 v[54:57], v67 offset:1792
	v_add_f64 v[58:59], v[58:59], v[80:81]
	s_waitcnt lgkmcnt(1)
	v_mul_f64 v[62:63], v[10:11], v[52:53]
	v_fma_f64 v[62:63], v[8:9], v[50:51], -v[62:63]
	v_mul_f64 v[64:65], v[8:9], v[52:53]
	s_waitcnt lgkmcnt(0)
	v_mul_f64 v[80:81], v[10:11], v[56:57]
	v_fma_f64 v[80:81], v[8:9], v[54:55], -v[80:81]
	v_mul_f64 v[8:9], v[8:9], v[56:57]
	v_fmac_f64_e32 v[8:9], v[10:11], v[54:55]
	v_add_f64 v[76:77], v[8:9], v[76:77]
	v_mul_f64 v[8:9], v[14:15], v[52:53]
	v_fmac_f64_e32 v[64:65], v[10:11], v[50:51]
	v_fma_f64 v[8:9], v[12:13], v[50:51], -v[8:9]
	v_mul_f64 v[10:11], v[12:13], v[52:53]
	v_fmac_f64_e32 v[10:11], v[14:15], v[50:51]
	v_add_f64 v[72:73], v[72:73], v[8:9]
	v_mul_f64 v[8:9], v[14:15], v[56:57]
	v_mul_f64 v[52:53], v[12:13], v[56:57]
	v_add_f64 v[74:75], v[10:11], v[74:75]
	v_fma_f64 v[50:51], v[12:13], v[54:55], -v[8:9]
	v_fmac_f64_e32 v[52:53], v[14:15], v[54:55]
	ds_read_b128 v[8:11], v69 offset:64
	ds_read_b128 v[12:15], v67 offset:2048
	v_add_f64 v[62:63], v[82:83], v[62:63]
	v_add_f64 v[78:79], v[78:79], v[80:81]
	;; [unrolled: 1-line block ×4, first 2 shown]
	ds_read_b128 v[50:53], v67 offset:2304
	ds_read_b128 v[54:57], v69 offset:80
	s_waitcnt lgkmcnt(2)
	v_mul_f64 v[58:59], v[10:11], v[14:15]
	v_fma_f64 v[58:59], v[8:9], v[12:13], -v[58:59]
	v_mul_f64 v[60:61], v[8:9], v[14:15]
	v_add_f64 v[64:65], v[64:65], v[84:85]
	v_fmac_f64_e32 v[60:61], v[10:11], v[12:13]
	v_add_f64 v[62:63], v[62:63], v[58:59]
	s_waitcnt lgkmcnt(1)
	v_mul_f64 v[58:59], v[10:11], v[52:53]
	v_add_f64 v[64:65], v[60:61], v[64:65]
	v_fma_f64 v[84:85], v[8:9], v[50:51], -v[58:59]
	ds_read_b128 v[58:61], v69 offset:8256
	v_mul_f64 v[8:9], v[8:9], v[52:53]
	v_fmac_f64_e32 v[8:9], v[10:11], v[50:51]
	v_add_f64 v[78:79], v[78:79], v[84:85]
	v_add_f64 v[76:77], v[8:9], v[76:77]
	ds_read_b128 v[8:11], v69 offset:8272
	s_waitcnt lgkmcnt(1)
	v_mul_f64 v[84:85], v[60:61], v[14:15]
	v_mul_f64 v[14:15], v[58:59], v[14:15]
	v_fma_f64 v[84:85], v[58:59], v[12:13], -v[84:85]
	v_fmac_f64_e32 v[14:15], v[60:61], v[12:13]
	v_mul_f64 v[12:13], v[60:61], v[52:53]
	v_add_f64 v[72:73], v[72:73], v[84:85]
	v_add_f64 v[74:75], v[14:15], v[74:75]
	v_fma_f64 v[84:85], v[58:59], v[50:51], -v[12:13]
	v_mul_f64 v[52:53], v[58:59], v[52:53]
	ds_read_b128 v[12:15], v67 offset:2560
	v_fmac_f64_e32 v[52:53], v[60:61], v[50:51]
	v_add_f64 v[60:61], v[52:53], v[82:83]
	ds_read_b128 v[50:53], v67 offset:2816
	v_add_f64 v[58:59], v[80:81], v[84:85]
	s_waitcnt lgkmcnt(1)
	v_mul_f64 v[80:81], v[56:57], v[14:15]
	v_fma_f64 v[80:81], v[54:55], v[12:13], -v[80:81]
	v_add_f64 v[62:63], v[62:63], v[80:81]
	s_waitcnt lgkmcnt(0)
	v_mul_f64 v[80:81], v[56:57], v[52:53]
	v_mul_f64 v[82:83], v[54:55], v[14:15]
	v_fma_f64 v[80:81], v[54:55], v[50:51], -v[80:81]
	v_mul_f64 v[54:55], v[54:55], v[52:53]
	v_fmac_f64_e32 v[54:55], v[56:57], v[50:51]
	v_add_f64 v[76:77], v[54:55], v[76:77]
	v_mul_f64 v[54:55], v[10:11], v[14:15]
	v_mul_f64 v[14:15], v[8:9], v[14:15]
	v_fmac_f64_e32 v[82:83], v[56:57], v[12:13]
	v_fma_f64 v[54:55], v[8:9], v[12:13], -v[54:55]
	v_fmac_f64_e32 v[14:15], v[10:11], v[12:13]
	v_mul_f64 v[12:13], v[10:11], v[52:53]
	v_mul_f64 v[52:53], v[8:9], v[52:53]
	v_add_f64 v[72:73], v[72:73], v[54:55]
	v_add_f64 v[74:75], v[14:15], v[74:75]
	v_fma_f64 v[54:55], v[8:9], v[50:51], -v[12:13]
	v_fmac_f64_e32 v[52:53], v[10:11], v[50:51]
	ds_read_b128 v[8:11], v69 offset:96
	ds_read_b128 v[12:15], v67 offset:3072
	v_add_f64 v[64:65], v[82:83], v[64:65]
	v_add_f64 v[78:79], v[78:79], v[80:81]
	v_add_f64 v[80:81], v[58:59], v[54:55]
	v_add_f64 v[82:83], v[52:53], v[60:61]
	ds_read_b128 v[50:53], v67 offset:3328
	ds_read_b128 v[54:57], v69 offset:112
	s_waitcnt lgkmcnt(2)
	v_mul_f64 v[58:59], v[10:11], v[14:15]
	v_fma_f64 v[58:59], v[8:9], v[12:13], -v[58:59]
	v_mul_f64 v[60:61], v[8:9], v[14:15]
	v_fmac_f64_e32 v[60:61], v[10:11], v[12:13]
	v_add_f64 v[62:63], v[62:63], v[58:59]
	s_waitcnt lgkmcnt(1)
	v_mul_f64 v[58:59], v[10:11], v[52:53]
	v_add_f64 v[64:65], v[60:61], v[64:65]
	v_fma_f64 v[84:85], v[8:9], v[50:51], -v[58:59]
	ds_read_b128 v[58:61], v69 offset:8288
	v_mul_f64 v[8:9], v[8:9], v[52:53]
	v_fmac_f64_e32 v[8:9], v[10:11], v[50:51]
	v_add_f64 v[78:79], v[78:79], v[84:85]
	v_add_f64 v[76:77], v[8:9], v[76:77]
	ds_read_b128 v[8:11], v69 offset:8304
	s_waitcnt lgkmcnt(1)
	v_mul_f64 v[84:85], v[60:61], v[14:15]
	v_mul_f64 v[14:15], v[58:59], v[14:15]
	v_fma_f64 v[84:85], v[58:59], v[12:13], -v[84:85]
	v_fmac_f64_e32 v[14:15], v[60:61], v[12:13]
	v_mul_f64 v[12:13], v[60:61], v[52:53]
	v_add_f64 v[72:73], v[72:73], v[84:85]
	v_add_f64 v[74:75], v[14:15], v[74:75]
	v_fma_f64 v[84:85], v[58:59], v[50:51], -v[12:13]
	v_mul_f64 v[52:53], v[58:59], v[52:53]
	ds_read_b128 v[12:15], v67 offset:3584
	v_fmac_f64_e32 v[52:53], v[60:61], v[50:51]
	v_add_f64 v[60:61], v[52:53], v[82:83]
	ds_read_b128 v[50:53], v67 offset:3840
	v_add_f64 v[58:59], v[80:81], v[84:85]
	s_waitcnt lgkmcnt(1)
	v_mul_f64 v[80:81], v[56:57], v[14:15]
	v_fma_f64 v[80:81], v[54:55], v[12:13], -v[80:81]
	v_add_f64 v[62:63], v[62:63], v[80:81]
	s_waitcnt lgkmcnt(0)
	v_mul_f64 v[80:81], v[56:57], v[52:53]
	v_mul_f64 v[82:83], v[54:55], v[14:15]
	v_fma_f64 v[80:81], v[54:55], v[50:51], -v[80:81]
	v_mul_f64 v[54:55], v[54:55], v[52:53]
	v_fmac_f64_e32 v[54:55], v[56:57], v[50:51]
	v_add_f64 v[76:77], v[54:55], v[76:77]
	v_mul_f64 v[54:55], v[10:11], v[14:15]
	v_mul_f64 v[14:15], v[8:9], v[14:15]
	v_fmac_f64_e32 v[82:83], v[56:57], v[12:13]
	v_fma_f64 v[54:55], v[8:9], v[12:13], -v[54:55]
	v_fmac_f64_e32 v[14:15], v[10:11], v[12:13]
	v_mul_f64 v[12:13], v[10:11], v[52:53]
	v_mul_f64 v[52:53], v[8:9], v[52:53]
	v_add_f64 v[72:73], v[72:73], v[54:55]
	v_add_f64 v[74:75], v[14:15], v[74:75]
	v_fma_f64 v[54:55], v[8:9], v[50:51], -v[12:13]
	v_fmac_f64_e32 v[52:53], v[10:11], v[50:51]
	ds_read_b128 v[8:11], v69 offset:128
	ds_read_b128 v[12:15], v67 offset:4096
	v_add_f64 v[64:65], v[82:83], v[64:65]
	v_add_f64 v[78:79], v[78:79], v[80:81]
	v_add_f64 v[80:81], v[58:59], v[54:55]
	v_add_f64 v[82:83], v[52:53], v[60:61]
	ds_read_b128 v[50:53], v67 offset:4352
	ds_read_b128 v[54:57], v69 offset:144
	s_waitcnt lgkmcnt(2)
	v_mul_f64 v[58:59], v[10:11], v[14:15]
	v_fma_f64 v[58:59], v[8:9], v[12:13], -v[58:59]
	v_mul_f64 v[60:61], v[8:9], v[14:15]
	;; [unrolled: 61-line block ×13, first 2 shown]
	v_fmac_f64_e32 v[60:61], v[10:11], v[12:13]
	v_add_f64 v[62:63], v[62:63], v[58:59]
	s_waitcnt lgkmcnt(1)
	v_mul_f64 v[58:59], v[10:11], v[52:53]
	v_add_f64 v[64:65], v[60:61], v[64:65]
	v_fma_f64 v[84:85], v[8:9], v[50:51], -v[58:59]
	ds_read_b128 v[58:61], v69 offset:8672
	v_mul_f64 v[8:9], v[8:9], v[52:53]
	v_fmac_f64_e32 v[8:9], v[10:11], v[50:51]
	v_add_f64 v[78:79], v[78:79], v[84:85]
	v_add_f64 v[76:77], v[8:9], v[76:77]
	ds_read_b128 v[8:11], v69 offset:8688
	s_waitcnt lgkmcnt(1)
	v_mul_f64 v[84:85], v[60:61], v[14:15]
	v_mul_f64 v[14:15], v[58:59], v[14:15]
	v_fma_f64 v[84:85], v[58:59], v[12:13], -v[84:85]
	v_fmac_f64_e32 v[14:15], v[60:61], v[12:13]
	v_mul_f64 v[12:13], v[60:61], v[52:53]
	v_add_f64 v[72:73], v[72:73], v[84:85]
	v_add_f64 v[74:75], v[14:15], v[74:75]
	v_fma_f64 v[84:85], v[58:59], v[50:51], -v[12:13]
	v_mul_f64 v[52:53], v[58:59], v[52:53]
	ds_read_b128 v[12:15], v67 offset:15872
	v_fmac_f64_e32 v[52:53], v[60:61], v[50:51]
	v_add_f64 v[82:83], v[52:53], v[82:83]
	ds_read_b128 v[50:53], v67 offset:16128
	s_add_u32 s22, s22, 32
	s_waitcnt lgkmcnt(1)
	v_mul_f64 v[58:59], v[56:57], v[14:15]
	v_fma_f64 v[58:59], v[54:55], v[12:13], -v[58:59]
	v_add_f64 v[62:63], v[62:63], v[58:59]
	s_waitcnt lgkmcnt(0)
	v_mul_f64 v[58:59], v[56:57], v[52:53]
	v_mul_f64 v[60:61], v[54:55], v[14:15]
	v_fma_f64 v[58:59], v[54:55], v[50:51], -v[58:59]
	v_mul_f64 v[54:55], v[54:55], v[52:53]
	v_fmac_f64_e32 v[60:61], v[56:57], v[12:13]
	v_fmac_f64_e32 v[54:55], v[56:57], v[50:51]
	v_add_f64 v[64:65], v[60:61], v[64:65]
	v_add_f64 v[60:61], v[54:55], v[76:77]
	v_mul_f64 v[54:55], v[10:11], v[14:15]
	v_mul_f64 v[14:15], v[8:9], v[14:15]
	v_fma_f64 v[54:55], v[8:9], v[12:13], -v[54:55]
	v_fmac_f64_e32 v[14:15], v[10:11], v[12:13]
	v_mul_f64 v[12:13], v[10:11], v[52:53]
	v_fma_f64 v[12:13], v[8:9], v[50:51], -v[12:13]
	v_mul_f64 v[8:9], v[8:9], v[52:53]
	v_add_f64 v[80:81], v[80:81], v[84:85]
	v_fmac_f64_e32 v[8:9], v[10:11], v[50:51]
	s_addc_u32 s23, s23, 0
	v_add_f64 v[58:59], v[78:79], v[58:59]
	v_add_f64 v[54:55], v[72:73], v[54:55]
	;; [unrolled: 1-line block ×5, first 2 shown]
	v_lshl_add_u64 v[42:43], v[42:43], 0, s[20:21]
	v_lshl_add_u64 v[48:49], v[48:49], 0, s[54:55]
	;; [unrolled: 1-line block ×3, first 2 shown]
	s_cmp_ge_i32 s22, s2
	v_lshl_add_u64 v[44:45], v[44:45], 0, s[20:21]
	s_barrier
	s_cbranch_scc1 .LBB110_56
.LBB110_7:                              ;   Parent Loop BB110_4 Depth=1
                                        ; =>  This Inner Loop Header: Depth=2
	v_lshl_add_u64 v[8:9], v[16:17], 0, s[22:23]
	v_cmp_le_i64_e64 s[12:13], s[42:43], v[8:9]
	v_cmp_eq_u64_e64 s[4:5], s[22:23], v[24:25]
	v_cmp_lt_i64_e64 s[10:11], v[8:9], v[18:19]
	s_and_b64 s[26:27], s[40:41], s[4:5]
	s_or_b64 s[4:5], s[12:13], s[10:11]
	s_or_b64 s[4:5], s[4:5], s[26:27]
	v_lshl_add_u64 v[10:11], v[46:47], 0, v[30:31]
	s_nor_b64 s[4:5], s[0:1], s[4:5]
	s_and_saveexec_b64 s[24:25], s[4:5]
	s_xor_b64 s[4:5], exec, s[24:25]
	s_cbranch_execz .LBB110_9
; %bb.8:                                ;   in Loop: Header=BB110_7 Depth=2
	global_load_dwordx4 v[12:15], v[10:11], off offset:-256
	s_waitcnt vmcnt(0)
	ds_write2_b64 v68, v[12:13], v[14:15] offset1:1
.LBB110_9:                              ;   in Loop: Header=BB110_7 Depth=2
	s_or_saveexec_b64 s[4:5], s[4:5]
	s_xor_b64 s[24:25], s[26:27], -1
	s_xor_b64 exec, exec, s[4:5]
	s_cbranch_execz .LBB110_15
; %bb.10:                               ;   in Loop: Header=BB110_7 Depth=2
	s_and_saveexec_b64 s[48:49], s[24:25]
	s_xor_b64 s[48:49], exec, s[48:49]
; %bb.11:                               ;   in Loop: Header=BB110_7 Depth=2
	ds_write_b128 v68, v[0:3]
; %bb.12:                               ;   in Loop: Header=BB110_7 Depth=2
	s_andn2_saveexec_b64 s[48:49], s[48:49]
; %bb.13:                               ;   in Loop: Header=BB110_7 Depth=2
	ds_write_b128 v68, v[4:7]
; %bb.14:                               ;   in Loop: Header=BB110_7 Depth=2
	s_or_b64 exec, exec, s[48:49]
.LBB110_15:                             ;   in Loop: Header=BB110_7 Depth=2
	s_or_b64 exec, exec, s[4:5]
	v_cmp_eq_u64_e64 s[4:5], s[22:23], v[26:27]
	s_and_b64 s[48:49], s[40:41], s[4:5]
	v_cmp_gt_i64_e64 s[4:5], v[20:21], v[8:9]
	s_or_b64 s[4:5], s[12:13], s[4:5]
	s_or_b64 s[4:5], s[4:5], s[48:49]
	s_nor_b64 s[4:5], s[14:15], s[4:5]
	s_and_saveexec_b64 s[12:13], s[4:5]
	s_xor_b64 s[4:5], exec, s[12:13]
	s_cbranch_execz .LBB110_17
; %bb.16:                               ;   in Loop: Header=BB110_7 Depth=2
	global_load_dwordx4 v[10:13], v[10:11], off
	v_add_u32_e32 v14, 0x100, v68
	s_waitcnt vmcnt(0)
	ds_write2_b64 v14, v[10:11], v[12:13] offset1:1
.LBB110_17:                             ;   in Loop: Header=BB110_7 Depth=2
	s_andn2_saveexec_b64 s[4:5], s[4:5]
	s_cbranch_execz .LBB110_23
; %bb.18:                               ;   in Loop: Header=BB110_7 Depth=2
	s_xor_b64 s[12:13], s[48:49], -1
	s_and_saveexec_b64 s[48:49], s[12:13]
	s_xor_b64 s[12:13], exec, s[48:49]
; %bb.19:                               ;   in Loop: Header=BB110_7 Depth=2
	ds_write_b128 v68, v[0:3] offset:256
; %bb.20:                               ;   in Loop: Header=BB110_7 Depth=2
	s_andn2_saveexec_b64 s[12:13], s[12:13]
; %bb.21:                               ;   in Loop: Header=BB110_7 Depth=2
	ds_write_b128 v68, v[4:7] offset:256
; %bb.22:                               ;   in Loop: Header=BB110_7 Depth=2
	s_or_b64 exec, exec, s[12:13]
.LBB110_23:                             ;   in Loop: Header=BB110_7 Depth=2
	s_or_b64 exec, exec, s[4:5]
	v_lshl_add_u64 v[10:11], v[8:9], 0, 16
	v_cmp_eq_u64_e64 s[4:5], s[22:23], v[28:29]
	v_cmp_le_i64_e64 s[12:13], s[42:43], v[10:11]
	s_and_b64 s[48:49], s[40:41], s[4:5]
	v_cmp_lt_i64_e64 s[4:5], v[10:11], v[18:19]
	s_or_b64 s[4:5], s[12:13], s[4:5]
	s_or_b64 s[4:5], s[4:5], s[48:49]
	v_lshl_add_u64 v[8:9], v[48:49], 0, v[30:31]
	s_nor_b64 s[4:5], s[0:1], s[4:5]
	s_and_saveexec_b64 s[60:61], s[4:5]
	s_xor_b64 s[4:5], exec, s[60:61]
	s_cbranch_execz .LBB110_25
; %bb.24:                               ;   in Loop: Header=BB110_7 Depth=2
	global_load_dwordx4 v[10:13], v[8:9], off offset:-256
	v_add_u32_e32 v14, 0x2000, v68
	s_waitcnt vmcnt(0)
	ds_write2_b64 v14, v[10:11], v[12:13] offset1:1
.LBB110_25:                             ;   in Loop: Header=BB110_7 Depth=2
	s_andn2_saveexec_b64 s[4:5], s[4:5]
	s_cbranch_execz .LBB110_31
; %bb.26:                               ;   in Loop: Header=BB110_7 Depth=2
	s_xor_b64 s[48:49], s[48:49], -1
	s_and_saveexec_b64 s[60:61], s[48:49]
	s_xor_b64 s[48:49], exec, s[60:61]
; %bb.27:                               ;   in Loop: Header=BB110_7 Depth=2
	ds_write_b128 v68, v[0:3] offset:8192
; %bb.28:                               ;   in Loop: Header=BB110_7 Depth=2
	s_andn2_saveexec_b64 s[48:49], s[48:49]
; %bb.29:                               ;   in Loop: Header=BB110_7 Depth=2
	ds_write_b128 v68, v[4:7] offset:8192
; %bb.30:                               ;   in Loop: Header=BB110_7 Depth=2
	s_or_b64 exec, exec, s[48:49]
.LBB110_31:                             ;   in Loop: Header=BB110_7 Depth=2
	s_or_b64 exec, exec, s[4:5]
	s_or_b64 s[4:5], s[12:13], s[10:11]
	s_or_b64 s[4:5], s[4:5], s[26:27]
	s_nor_b64 s[4:5], s[14:15], s[4:5]
	s_and_saveexec_b64 s[10:11], s[4:5]
	s_xor_b64 s[4:5], exec, s[10:11]
	s_cbranch_execz .LBB110_33
; %bb.32:                               ;   in Loop: Header=BB110_7 Depth=2
	global_load_dwordx4 v[8:11], v[8:9], off
	v_add_u32_e32 v12, 0x2100, v68
	s_waitcnt vmcnt(0)
	ds_write2_b64 v12, v[8:9], v[10:11] offset1:1
.LBB110_33:                             ;   in Loop: Header=BB110_7 Depth=2
	s_andn2_saveexec_b64 s[4:5], s[4:5]
	s_cbranch_execz .LBB110_39
; %bb.34:                               ;   in Loop: Header=BB110_7 Depth=2
	s_and_saveexec_b64 s[10:11], s[24:25]
	s_xor_b64 s[10:11], exec, s[10:11]
; %bb.35:                               ;   in Loop: Header=BB110_7 Depth=2
	ds_write_b128 v68, v[0:3] offset:8448
; %bb.36:                               ;   in Loop: Header=BB110_7 Depth=2
	s_andn2_saveexec_b64 s[10:11], s[10:11]
; %bb.37:                               ;   in Loop: Header=BB110_7 Depth=2
	ds_write_b128 v68, v[4:7] offset:8448
; %bb.38:                               ;   in Loop: Header=BB110_7 Depth=2
	s_or_b64 exec, exec, s[10:11]
.LBB110_39:                             ;   in Loop: Header=BB110_7 Depth=2
	s_or_b64 exec, exec, s[4:5]
	v_lshl_add_u64 v[10:11], v[18:19], 0, s[22:23]
	v_cmp_gt_i64_e64 s[10:11], s[42:43], v[10:11]
	s_and_b64 s[4:5], vcc, s[10:11]
	s_xor_b64 s[4:5], s[4:5], -1
	s_and_saveexec_b64 s[12:13], s[4:5]
	s_xor_b64 s[4:5], exec, s[12:13]
; %bb.40:                               ;   in Loop: Header=BB110_7 Depth=2
	ds_write_b128 v70, v[0:3]
; %bb.41:                               ;   in Loop: Header=BB110_7 Depth=2
	s_or_saveexec_b64 s[4:5], s[4:5]
	v_lshl_add_u64 v[8:9], v[42:43], 0, v[30:31]
	s_xor_b64 exec, exec, s[4:5]
	s_cbranch_execz .LBB110_43
; %bb.42:                               ;   in Loop: Header=BB110_7 Depth=2
	global_load_dwordx4 v[12:15], v[8:9], off offset:-256
	s_waitcnt vmcnt(0)
	ds_write2_b64 v70, v[12:13], v[14:15] offset1:1
.LBB110_43:                             ;   in Loop: Header=BB110_7 Depth=2
	s_or_b64 exec, exec, s[4:5]
	v_cmp_gt_i64_e64 s[12:13], s[56:57], v[10:11]
	s_and_b64 s[4:5], vcc, s[12:13]
	s_xor_b64 s[4:5], s[4:5], -1
	s_and_saveexec_b64 s[24:25], s[4:5]
	s_xor_b64 s[4:5], exec, s[24:25]
; %bb.44:                               ;   in Loop: Header=BB110_7 Depth=2
	ds_write_b128 v70, v[0:3] offset:256
                                        ; implicit-def: $vgpr8_vgpr9
; %bb.45:                               ;   in Loop: Header=BB110_7 Depth=2
	s_andn2_saveexec_b64 s[4:5], s[4:5]
	s_cbranch_execz .LBB110_47
; %bb.46:                               ;   in Loop: Header=BB110_7 Depth=2
	global_load_dwordx4 v[8:11], v[8:9], off
	v_add_u32_e32 v12, 0x100, v70
	s_waitcnt vmcnt(0)
	ds_write2_b64 v12, v[8:9], v[10:11] offset1:1
.LBB110_47:                             ;   in Loop: Header=BB110_7 Depth=2
	s_or_b64 exec, exec, s[4:5]
	s_and_b64 s[4:5], s[8:9], s[10:11]
	s_xor_b64 s[4:5], s[4:5], -1
	s_and_saveexec_b64 s[10:11], s[4:5]
	s_xor_b64 s[4:5], exec, s[10:11]
; %bb.48:                               ;   in Loop: Header=BB110_7 Depth=2
	ds_write_b128 v70, v[0:3] offset:8192
; %bb.49:                               ;   in Loop: Header=BB110_7 Depth=2
	s_or_saveexec_b64 s[4:5], s[4:5]
	v_lshl_add_u64 v[8:9], v[44:45], 0, v[30:31]
	s_xor_b64 exec, exec, s[4:5]
	s_cbranch_execz .LBB110_51
; %bb.50:                               ;   in Loop: Header=BB110_7 Depth=2
	global_load_dwordx4 v[10:13], v[8:9], off
	v_add_u32_e32 v14, 0x2000, v70
	s_waitcnt vmcnt(0)
	ds_write2_b64 v14, v[10:11], v[12:13] offset1:1
.LBB110_51:                             ;   in Loop: Header=BB110_7 Depth=2
	s_or_b64 exec, exec, s[4:5]
	s_and_b64 s[4:5], s[8:9], s[12:13]
	s_xor_b64 s[4:5], s[4:5], -1
	s_and_saveexec_b64 s[10:11], s[4:5]
	s_xor_b64 s[4:5], exec, s[10:11]
; %bb.52:                               ;   in Loop: Header=BB110_7 Depth=2
	ds_write_b128 v70, v[0:3] offset:8448
                                        ; implicit-def: $vgpr8_vgpr9
; %bb.53:                               ;   in Loop: Header=BB110_7 Depth=2
	s_andn2_saveexec_b64 s[4:5], s[4:5]
	s_cbranch_execz .LBB110_6
; %bb.54:                               ;   in Loop: Header=BB110_7 Depth=2
	global_load_dwordx4 v[8:11], v[8:9], off offset:256
	s_waitcnt vmcnt(0)
	ds_write2_b64 v71, v[8:9], v[10:11] offset1:1
	s_branch .LBB110_6
.LBB110_55:                             ;   in Loop: Header=BB110_4 Depth=1
	v_mov_b64_e32 v[62:63], 0
	v_mov_b64_e32 v[64:65], 0
	;; [unrolled: 1-line block ×8, first 2 shown]
.LBB110_56:                             ;   in Loop: Header=BB110_4 Depth=1
	v_mul_lo_u32 v10, s53, v40
	v_mul_lo_u32 v11, s52, v41
	v_mad_u64_u32 v[8:9], s[4:5], s52, v40, 0
	v_cmp_gt_i32_e32 vcc, s50, v40
	v_add3_u32 v9, v9, v11, v10
	v_lshl_add_u64 v[8:9], v[8:9], 4, s[18:19]
	s_and_b64 s[8:9], s[16:17], vcc
	s_and_saveexec_b64 s[4:5], s[8:9]
	s_cbranch_execz .LBB110_58
; %bb.57:                               ;   in Loop: Header=BB110_4 Depth=1
	v_lshl_add_u64 v[14:15], v[18:19], 4, v[8:9]
	global_load_dwordx4 v[10:13], v[14:15], off
	v_mul_f64 v[42:43], s[46:47], v[64:65]
	v_mul_f64 v[44:45], s[44:45], v[64:65]
	v_fma_f64 v[42:43], s[44:45], v[62:63], -v[42:43]
	v_fmac_f64_e32 v[44:45], s[46:47], v[62:63]
	s_waitcnt vmcnt(0)
	v_add_f64 v[10:11], v[10:11], v[42:43]
	v_add_f64 v[12:13], v[44:45], v[12:13]
	global_store_dwordx4 v[14:15], v[10:13], off
.LBB110_58:                             ;   in Loop: Header=BB110_4 Depth=1
	s_or_b64 exec, exec, s[4:5]
	s_and_b64 s[8:9], s[6:7], vcc
	s_and_saveexec_b64 s[4:5], s[8:9]
	s_cbranch_execz .LBB110_60
; %bb.59:                               ;   in Loop: Header=BB110_4 Depth=1
	v_lshl_add_u64 v[12:13], v[22:23], 4, v[8:9]
	global_load_dwordx4 v[8:11], v[12:13], off
	v_mul_f64 v[14:15], s[46:47], v[60:61]
	v_mul_f64 v[42:43], s[44:45], v[60:61]
	v_fma_f64 v[14:15], s[44:45], v[58:59], -v[14:15]
	v_fmac_f64_e32 v[42:43], s[46:47], v[58:59]
	s_waitcnt vmcnt(0)
	v_add_f64 v[8:9], v[8:9], v[14:15]
	v_add_f64 v[10:11], v[42:43], v[10:11]
	global_store_dwordx4 v[12:13], v[8:11], off
.LBB110_60:                             ;   in Loop: Header=BB110_4 Depth=1
	s_or_b64 exec, exec, s[4:5]
	s_nop 0
	v_add_u32_e32 v8, 16, v40
	v_ashrrev_i32_e32 v9, 31, v8
	v_cmp_gt_i32_e32 vcc, s50, v8
	v_mul_lo_u32 v10, s52, v9
	v_mul_lo_u32 v11, s53, v8
	v_mad_u64_u32 v[8:9], s[4:5], s52, v8, 0
	v_add3_u32 v9, v9, v10, v11
	v_lshl_add_u64 v[8:9], v[8:9], 4, s[18:19]
	s_and_b64 s[8:9], s[16:17], vcc
	s_and_saveexec_b64 s[4:5], s[8:9]
	s_cbranch_execz .LBB110_62
; %bb.61:                               ;   in Loop: Header=BB110_4 Depth=1
	v_lshl_add_u64 v[14:15], v[18:19], 4, v[8:9]
	global_load_dwordx4 v[10:13], v[14:15], off
	v_mul_f64 v[40:41], s[46:47], v[56:57]
	v_mul_f64 v[42:43], s[44:45], v[56:57]
	v_fma_f64 v[40:41], s[44:45], v[54:55], -v[40:41]
	v_fmac_f64_e32 v[42:43], s[46:47], v[54:55]
	s_waitcnt vmcnt(0)
	v_add_f64 v[10:11], v[10:11], v[40:41]
	v_add_f64 v[12:13], v[42:43], v[12:13]
	global_store_dwordx4 v[14:15], v[10:13], off
.LBB110_62:                             ;   in Loop: Header=BB110_4 Depth=1
	s_or_b64 exec, exec, s[4:5]
	s_and_b64 s[8:9], s[6:7], vcc
	s_and_saveexec_b64 s[4:5], s[8:9]
	s_cbranch_execz .LBB110_3
; %bb.63:                               ;   in Loop: Header=BB110_4 Depth=1
	v_lshl_add_u64 v[12:13], v[22:23], 4, v[8:9]
	global_load_dwordx4 v[8:11], v[12:13], off
	v_mul_f64 v[14:15], s[46:47], v[50:51]
	v_mul_f64 v[40:41], s[44:45], v[50:51]
	v_fma_f64 v[14:15], s[44:45], v[52:53], -v[14:15]
	v_fmac_f64_e32 v[40:41], s[46:47], v[52:53]
	s_waitcnt vmcnt(0)
	v_add_f64 v[8:9], v[8:9], v[14:15]
	v_add_f64 v[10:11], v[40:41], v[10:11]
	global_store_dwordx4 v[12:13], v[8:11], off
	s_branch .LBB110_3
.LBB110_64:
	s_endpgm
	.section	.rodata,"a",@progbits
	.p2align	6, 0x0
	.amdhsa_kernel _ZL30rocblas_trmm_outofplace_kernelI19rocblas_complex_numIdELi32ELi2ELb1ELb1ELb0ELb0EPKS1_S2_S1_Ev17rocblas_diagonal_iiT6_lPT7_lllS7_lllPT8_llli
		.amdhsa_group_segment_fixed_size 32768
		.amdhsa_private_segment_fixed_size 0
		.amdhsa_kernarg_size 392
		.amdhsa_user_sgpr_count 2
		.amdhsa_user_sgpr_dispatch_ptr 0
		.amdhsa_user_sgpr_queue_ptr 0
		.amdhsa_user_sgpr_kernarg_segment_ptr 1
		.amdhsa_user_sgpr_dispatch_id 0
		.amdhsa_user_sgpr_kernarg_preload_length 0
		.amdhsa_user_sgpr_kernarg_preload_offset 0
		.amdhsa_user_sgpr_private_segment_size 0
		.amdhsa_uses_dynamic_stack 0
		.amdhsa_enable_private_segment 0
		.amdhsa_system_sgpr_workgroup_id_x 1
		.amdhsa_system_sgpr_workgroup_id_y 1
		.amdhsa_system_sgpr_workgroup_id_z 1
		.amdhsa_system_sgpr_workgroup_info 0
		.amdhsa_system_vgpr_workitem_id 1
		.amdhsa_next_free_vgpr 94
		.amdhsa_next_free_sgpr 62
		.amdhsa_accum_offset 96
		.amdhsa_reserve_vcc 1
		.amdhsa_float_round_mode_32 0
		.amdhsa_float_round_mode_16_64 0
		.amdhsa_float_denorm_mode_32 3
		.amdhsa_float_denorm_mode_16_64 3
		.amdhsa_dx10_clamp 1
		.amdhsa_ieee_mode 1
		.amdhsa_fp16_overflow 0
		.amdhsa_tg_split 0
		.amdhsa_exception_fp_ieee_invalid_op 0
		.amdhsa_exception_fp_denorm_src 0
		.amdhsa_exception_fp_ieee_div_zero 0
		.amdhsa_exception_fp_ieee_overflow 0
		.amdhsa_exception_fp_ieee_underflow 0
		.amdhsa_exception_fp_ieee_inexact 0
		.amdhsa_exception_int_div_zero 0
	.end_amdhsa_kernel
	.section	.text._ZL30rocblas_trmm_outofplace_kernelI19rocblas_complex_numIdELi32ELi2ELb1ELb1ELb0ELb0EPKS1_S2_S1_Ev17rocblas_diagonal_iiT6_lPT7_lllS7_lllPT8_llli,"axG",@progbits,_ZL30rocblas_trmm_outofplace_kernelI19rocblas_complex_numIdELi32ELi2ELb1ELb1ELb0ELb0EPKS1_S2_S1_Ev17rocblas_diagonal_iiT6_lPT7_lllS7_lllPT8_llli,comdat
.Lfunc_end110:
	.size	_ZL30rocblas_trmm_outofplace_kernelI19rocblas_complex_numIdELi32ELi2ELb1ELb1ELb0ELb0EPKS1_S2_S1_Ev17rocblas_diagonal_iiT6_lPT7_lllS7_lllPT8_llli, .Lfunc_end110-_ZL30rocblas_trmm_outofplace_kernelI19rocblas_complex_numIdELi32ELi2ELb1ELb1ELb0ELb0EPKS1_S2_S1_Ev17rocblas_diagonal_iiT6_lPT7_lllS7_lllPT8_llli
                                        ; -- End function
	.set _ZL30rocblas_trmm_outofplace_kernelI19rocblas_complex_numIdELi32ELi2ELb1ELb1ELb0ELb0EPKS1_S2_S1_Ev17rocblas_diagonal_iiT6_lPT7_lllS7_lllPT8_llli.num_vgpr, 94
	.set _ZL30rocblas_trmm_outofplace_kernelI19rocblas_complex_numIdELi32ELi2ELb1ELb1ELb0ELb0EPKS1_S2_S1_Ev17rocblas_diagonal_iiT6_lPT7_lllS7_lllPT8_llli.num_agpr, 0
	.set _ZL30rocblas_trmm_outofplace_kernelI19rocblas_complex_numIdELi32ELi2ELb1ELb1ELb0ELb0EPKS1_S2_S1_Ev17rocblas_diagonal_iiT6_lPT7_lllS7_lllPT8_llli.numbered_sgpr, 62
	.set _ZL30rocblas_trmm_outofplace_kernelI19rocblas_complex_numIdELi32ELi2ELb1ELb1ELb0ELb0EPKS1_S2_S1_Ev17rocblas_diagonal_iiT6_lPT7_lllS7_lllPT8_llli.num_named_barrier, 0
	.set _ZL30rocblas_trmm_outofplace_kernelI19rocblas_complex_numIdELi32ELi2ELb1ELb1ELb0ELb0EPKS1_S2_S1_Ev17rocblas_diagonal_iiT6_lPT7_lllS7_lllPT8_llli.private_seg_size, 0
	.set _ZL30rocblas_trmm_outofplace_kernelI19rocblas_complex_numIdELi32ELi2ELb1ELb1ELb0ELb0EPKS1_S2_S1_Ev17rocblas_diagonal_iiT6_lPT7_lllS7_lllPT8_llli.uses_vcc, 1
	.set _ZL30rocblas_trmm_outofplace_kernelI19rocblas_complex_numIdELi32ELi2ELb1ELb1ELb0ELb0EPKS1_S2_S1_Ev17rocblas_diagonal_iiT6_lPT7_lllS7_lllPT8_llli.uses_flat_scratch, 0
	.set _ZL30rocblas_trmm_outofplace_kernelI19rocblas_complex_numIdELi32ELi2ELb1ELb1ELb0ELb0EPKS1_S2_S1_Ev17rocblas_diagonal_iiT6_lPT7_lllS7_lllPT8_llli.has_dyn_sized_stack, 0
	.set _ZL30rocblas_trmm_outofplace_kernelI19rocblas_complex_numIdELi32ELi2ELb1ELb1ELb0ELb0EPKS1_S2_S1_Ev17rocblas_diagonal_iiT6_lPT7_lllS7_lllPT8_llli.has_recursion, 0
	.set _ZL30rocblas_trmm_outofplace_kernelI19rocblas_complex_numIdELi32ELi2ELb1ELb1ELb0ELb0EPKS1_S2_S1_Ev17rocblas_diagonal_iiT6_lPT7_lllS7_lllPT8_llli.has_indirect_call, 0
	.section	.AMDGPU.csdata,"",@progbits
; Kernel info:
; codeLenInByte = 9168
; TotalNumSgprs: 68
; NumVgprs: 94
; NumAgprs: 0
; TotalNumVgprs: 94
; ScratchSize: 0
; MemoryBound: 0
; FloatMode: 240
; IeeeMode: 1
; LDSByteSize: 32768 bytes/workgroup (compile time only)
; SGPRBlocks: 8
; VGPRBlocks: 11
; NumSGPRsForWavesPerEU: 68
; NumVGPRsForWavesPerEU: 94
; AccumOffset: 96
; Occupancy: 5
; WaveLimiterHint : 0
; COMPUTE_PGM_RSRC2:SCRATCH_EN: 0
; COMPUTE_PGM_RSRC2:USER_SGPR: 2
; COMPUTE_PGM_RSRC2:TRAP_HANDLER: 0
; COMPUTE_PGM_RSRC2:TGID_X_EN: 1
; COMPUTE_PGM_RSRC2:TGID_Y_EN: 1
; COMPUTE_PGM_RSRC2:TGID_Z_EN: 1
; COMPUTE_PGM_RSRC2:TIDIG_COMP_CNT: 1
; COMPUTE_PGM_RSRC3_GFX90A:ACCUM_OFFSET: 23
; COMPUTE_PGM_RSRC3_GFX90A:TG_SPLIT: 0
	.section	.text._ZL30rocblas_trmm_outofplace_kernelI19rocblas_complex_numIdELi32ELi2ELb1ELb1ELb0ELb0ES1_KS1_S1_Ev17rocblas_diagonal_iiT6_lPT7_lllS6_lllPT8_llli,"axG",@progbits,_ZL30rocblas_trmm_outofplace_kernelI19rocblas_complex_numIdELi32ELi2ELb1ELb1ELb0ELb0ES1_KS1_S1_Ev17rocblas_diagonal_iiT6_lPT7_lllS6_lllPT8_llli,comdat
	.globl	_ZL30rocblas_trmm_outofplace_kernelI19rocblas_complex_numIdELi32ELi2ELb1ELb1ELb0ELb0ES1_KS1_S1_Ev17rocblas_diagonal_iiT6_lPT7_lllS6_lllPT8_llli ; -- Begin function _ZL30rocblas_trmm_outofplace_kernelI19rocblas_complex_numIdELi32ELi2ELb1ELb1ELb0ELb0ES1_KS1_S1_Ev17rocblas_diagonal_iiT6_lPT7_lllS6_lllPT8_llli
	.p2align	8
	.type	_ZL30rocblas_trmm_outofplace_kernelI19rocblas_complex_numIdELi32ELi2ELb1ELb1ELb0ELb0ES1_KS1_S1_Ev17rocblas_diagonal_iiT6_lPT7_lllS6_lllPT8_llli,@function
_ZL30rocblas_trmm_outofplace_kernelI19rocblas_complex_numIdELi32ELi2ELb1ELb1ELb0ELb0ES1_KS1_S1_Ev17rocblas_diagonal_iiT6_lPT7_lllS6_lllPT8_llli: ; @_ZL30rocblas_trmm_outofplace_kernelI19rocblas_complex_numIdELi32ELi2ELb1ELb1ELb0ELb0ES1_KS1_S1_Ev17rocblas_diagonal_iiT6_lPT7_lllS6_lllPT8_llli
; %bb.0:
	s_load_dwordx4 s[24:27], s[0:1], 0x10
	s_waitcnt lgkmcnt(0)
	v_cmp_eq_f64_e64 s[6:7], s[24:25], 0
	v_cmp_eq_f64_e64 s[8:9], s[26:27], 0
	s_and_b64 s[6:7], s[6:7], s[8:9]
	s_and_b64 vcc, exec, s[6:7]
	s_cbranch_vccnz .LBB111_64
; %bb.1:
	s_load_dwordx4 s[28:31], s[0:1], 0x0
	s_waitcnt lgkmcnt(0)
	s_add_i32 s5, s30, -1
	s_ashr_i32 s6, s5, 31
	s_lshr_b32 s6, s6, 27
	s_add_i32 s5, s5, s6
	s_ashr_i32 s31, s5, 5
	s_cmp_gt_i32 s3, s31
	s_cbranch_scc1 .LBB111_64
; %bb.2:
	s_load_dwordx8 s[16:23], s[0:1], 0x68
	s_load_dwordx16 s[36:51], s[0:1], 0x28
	v_bfe_u32 v66, v0, 10, 10
	v_and_b32_e32 v0, 0x3ff, v0
	s_load_dword s58, s[0:1], 0x94
	s_waitcnt lgkmcnt(0)
	s_mul_i32 s5, s23, s4
	s_mul_hi_u32 s7, s22, s4
	s_mul_i32 s6, s22, s4
	s_add_i32 s7, s7, s5
	s_lshl_b64 s[6:7], s[6:7], 4
	s_add_u32 s5, s16, s6
	s_addc_u32 s8, s17, s7
	s_lshl_b64 s[6:7], s[18:19], 4
	s_add_u32 s18, s5, s6
	s_addc_u32 s19, s8, s7
	s_lshl_b32 s2, s2, 5
	v_add_u32_e32 v16, s2, v66
	v_add_u32_e32 v18, s2, v0
	s_sub_i32 s2, s29, s2
	s_cmp_gt_i32 s2, 0
	s_cselect_b64 s[22:23], -1, 0
	s_cmpk_eq_i32 s28, 0x84
	s_cselect_b64 s[34:35], -1, 0
	s_ashr_i32 s53, s29, 31
	s_ashr_i32 s33, s30, 31
	s_lshl_b64 s[54:55], s[40:41], 9
	s_add_u32 s56, s29, -16
	s_mul_i32 s5, s51, s4
	s_mul_hi_u32 s8, s50, s4
	s_addc_u32 s57, s53, -1
	s_add_i32 s9, s8, s5
	s_mul_i32 s8, s50, s4
	s_lshl_b64 s[8:9], s[8:9], 4
	s_lshl_b64 s[10:11], s[46:47], 4
	s_add_u32 s5, s8, s10
	s_addc_u32 s8, s9, s11
	v_add_u32_e32 v22, 16, v18
	s_add_u32 s28, s44, s5
	s_mov_b32 s52, s29
	v_cmp_le_i32_e64 s[0:1], s29, v18
	v_cmp_gt_i32_e64 s[16:17], s29, v18
	v_cmp_gt_i32_e64 s[6:7], s29, v22
	s_addc_u32 s29, s45, s8
	s_add_u32 s44, s28, 0x100
	s_mul_i32 s5, s43, s4
	s_mul_hi_u32 s10, s42, s4
	s_addc_u32 s45, s29, 0
	s_add_i32 s5, s10, s5
	s_mul_i32 s4, s42, s4
	s_lshl_b64 s[46:47], s[48:49], 4
	s_lshl_b32 s59, s58, 5
	s_lshl_b64 s[4:5], s[4:5], 4
	s_lshl_b64 s[10:11], s[38:39], 4
	s_add_u32 s10, s36, s10
	s_addc_u32 s11, s37, s11
	s_add_u32 s4, s10, s4
	v_ashrrev_i32_e32 v17, 31, v16
	v_lshlrev_b32_e32 v1, 9, v66
	v_lshlrev_b32_e32 v67, 4, v0
	v_mov_b64_e32 v[34:35], 0x100
	s_addc_u32 s5, s11, s5
	v_add_u32_e32 v68, v67, v1
	v_add_u32_e32 v69, 0x4000, v1
	v_lshl_add_u64 v[0:1], v[16:17], 4, v[34:35]
	v_mov_b64_e32 v[2:3], s[4:5]
	v_mad_u64_u32 v[2:3], s[10:11], s40, v0, v[2:3]
	v_mul_lo_u32 v1, s40, v1
	v_mul_lo_u32 v0, s41, v0
	s_mov_b64 s[8:9], 0x100
	v_add3_u32 v3, v0, v3, v1
	v_lshl_add_u64 v[36:37], v[2:3], 0, s[8:9]
	v_mul_lo_u32 v2, s40, v17
	v_mul_lo_u32 v3, s41, v16
	v_mad_u64_u32 v[0:1], s[10:11], s40, v16, 0
	v_add3_u32 v1, v1, v2, v3
	v_ashrrev_i32_e32 v19, 31, v18
	v_sub_co_u32_e32 v24, vcc, v18, v16
	v_lshl_add_u64 v[0:1], v[0:1], 4, s[4:5]
	v_add_u32_e32 v70, v69, v67
	v_lshl_add_u64 v[20:21], v[18:19], 0, 16
	v_subb_co_u32_e32 v25, vcc, v19, v17, vcc
	v_lshl_add_u64 v[38:39], v[0:1], 0, s[8:9]
	v_mov_b32_e32 v0, 0
	v_cmp_le_i64_e64 s[14:15], s[52:53], v[20:21]
	v_add_u32_e32 v71, 0x2100, v70
	v_ashrrev_i32_e32 v23, 31, v22
	v_lshl_add_u64 v[26:27], v[24:25], 0, 16
	v_lshl_add_u64 v[28:29], v[24:25], 0, -16
	v_lshlrev_b64 v[30:31], 4, v[18:19]
	v_lshl_add_u32 v32, s3, 5, v66
	s_mov_b64 s[36:37], 0x200
	v_mov_b32_e32 v1, v0
	v_mov_b32_e32 v2, v0
	;; [unrolled: 1-line block ×7, first 2 shown]
	s_branch .LBB111_4
.LBB111_3:                              ;   in Loop: Header=BB111_4 Depth=1
	s_or_b64 exec, exec, s[4:5]
	s_add_i32 s3, s58, s3
	s_cmp_le_i32 s3, s31
	v_add_u32_e32 v32, s59, v32
	s_cbranch_scc0 .LBB111_64
.LBB111_4:                              ; =>This Loop Header: Depth=1
                                        ;     Child Loop BB111_7 Depth 2
	v_lshl_add_u32 v40, s3, 5, v66
	s_andn2_b64 vcc, exec, s[22:23]
	v_ashrrev_i32_e32 v41, 31, v40
	s_cbranch_vccnz .LBB111_55
; %bb.5:                                ;   in Loop: Header=BB111_4 Depth=1
	v_ashrrev_i32_e32 v33, 31, v32
	v_mov_b64_e32 v[8:9], s[44:45]
	v_mad_u64_u32 v[42:43], s[4:5], s46, v32, v[8:9]
	v_mul_lo_u32 v8, s47, v32
	v_mul_lo_u32 v9, s46, v33
	v_add3_u32 v43, v8, v43, v9
	v_lshl_add_u64 v[8:9], v[32:33], 4, v[34:35]
	v_mov_b64_e32 v[10:11], s[28:29]
	v_mul_lo_u32 v9, s48, v9
	v_mul_lo_u32 v12, s49, v8
	v_mad_u64_u32 v[44:45], s[4:5], s48, v8, v[10:11]
	v_add3_u32 v45, v12, v45, v9
	v_mov_b32_e32 v9, s33
	v_sub_co_u32_e32 v8, vcc, s30, v40
	s_mov_b64 s[38:39], 0
	s_nop 0
	v_subb_co_u32_e32 v9, vcc, v9, v41, vcc
	v_cmp_lt_i64_e32 vcc, 0, v[8:9]
	v_cmp_lt_i64_e64 s[8:9], 16, v[8:9]
	v_mov_b64_e32 v[50:51], 0
	v_mov_b64_e32 v[46:47], v[38:39]
	;; [unrolled: 1-line block ×10, first 2 shown]
	s_branch .LBB111_7
.LBB111_6:                              ;   in Loop: Header=BB111_7 Depth=2
	s_or_b64 exec, exec, s[4:5]
	s_waitcnt lgkmcnt(0)
	s_barrier
	ds_read_b128 v[72:75], v67
	ds_read_b128 v[76:79], v69
	ds_read_b128 v[80:83], v69 offset:16
	ds_read_b128 v[12:15], v69 offset:32
	;; [unrolled: 1-line block ×4, first 2 shown]
	s_waitcnt lgkmcnt(4)
	v_mul_f64 v[88:89], v[78:79], v[74:75]
	v_fma_f64 v[88:89], v[76:77], v[72:73], -v[88:89]
	v_mul_f64 v[90:91], v[76:77], v[74:75]
	v_fmac_f64_e32 v[90:91], v[78:79], v[72:73]
	v_add_f64 v[88:89], v[62:63], v[88:89]
	s_waitcnt lgkmcnt(0)
	v_mul_f64 v[62:63], v[78:79], v[86:87]
	v_add_f64 v[90:91], v[90:91], v[64:65]
	v_fma_f64 v[92:93], v[76:77], v[84:85], -v[62:63]
	ds_read_b128 v[62:65], v69 offset:8192
	v_mul_f64 v[76:77], v[76:77], v[86:87]
	v_fmac_f64_e32 v[76:77], v[78:79], v[84:85]
	v_add_f64 v[78:79], v[58:59], v[92:93]
	v_add_f64 v[76:77], v[76:77], v[60:61]
	ds_read_b128 v[58:61], v69 offset:8208
	s_waitcnt lgkmcnt(1)
	v_mul_f64 v[92:93], v[64:65], v[74:75]
	v_fma_f64 v[92:93], v[62:63], v[72:73], -v[92:93]
	v_mul_f64 v[74:75], v[62:63], v[74:75]
	v_fmac_f64_e32 v[74:75], v[64:65], v[72:73]
	v_add_f64 v[72:73], v[54:55], v[92:93]
	v_mul_f64 v[54:55], v[64:65], v[86:87]
	v_add_f64 v[74:75], v[74:75], v[56:57]
	v_fma_f64 v[92:93], v[62:63], v[84:85], -v[54:55]
	v_mul_f64 v[62:63], v[62:63], v[86:87]
	ds_read_b128 v[54:57], v67 offset:512
	v_fmac_f64_e32 v[62:63], v[64:65], v[84:85]
	v_add_f64 v[64:65], v[52:53], v[92:93]
	v_add_f64 v[62:63], v[62:63], v[50:51]
	ds_read_b128 v[50:53], v67 offset:768
	s_waitcnt lgkmcnt(1)
	v_mul_f64 v[84:85], v[82:83], v[56:57]
	v_fma_f64 v[84:85], v[80:81], v[54:55], -v[84:85]
	v_add_f64 v[84:85], v[88:89], v[84:85]
	v_mul_f64 v[86:87], v[80:81], v[56:57]
	s_waitcnt lgkmcnt(0)
	v_mul_f64 v[88:89], v[82:83], v[52:53]
	v_fma_f64 v[88:89], v[80:81], v[50:51], -v[88:89]
	v_mul_f64 v[80:81], v[80:81], v[52:53]
	v_fmac_f64_e32 v[80:81], v[82:83], v[50:51]
	v_add_f64 v[76:77], v[80:81], v[76:77]
	v_mul_f64 v[80:81], v[60:61], v[56:57]
	v_mul_f64 v[56:57], v[58:59], v[56:57]
	v_fmac_f64_e32 v[86:87], v[82:83], v[54:55]
	v_fma_f64 v[80:81], v[58:59], v[54:55], -v[80:81]
	v_fmac_f64_e32 v[56:57], v[60:61], v[54:55]
	v_mul_f64 v[54:55], v[60:61], v[52:53]
	v_add_f64 v[74:75], v[56:57], v[74:75]
	v_fma_f64 v[56:57], v[58:59], v[50:51], -v[54:55]
	v_mul_f64 v[58:59], v[58:59], v[52:53]
	ds_read_b128 v[52:55], v67 offset:1024
	v_fmac_f64_e32 v[58:59], v[60:61], v[50:51]
	v_add_f64 v[72:73], v[72:73], v[80:81]
	v_add_f64 v[64:65], v[64:65], v[56:57]
	v_add_f64 v[80:81], v[58:59], v[62:63]
	ds_read_b128 v[56:59], v67 offset:1280
	s_waitcnt lgkmcnt(1)
	v_mul_f64 v[50:51], v[14:15], v[54:55]
	v_mul_f64 v[60:61], v[12:13], v[54:55]
	v_add_f64 v[86:87], v[86:87], v[90:91]
	v_fma_f64 v[50:51], v[12:13], v[52:53], -v[50:51]
	v_fmac_f64_e32 v[60:61], v[14:15], v[52:53]
	v_add_f64 v[82:83], v[84:85], v[50:51]
	v_add_f64 v[84:85], v[60:61], v[86:87]
	ds_read_b128 v[60:63], v69 offset:8224
	s_waitcnt lgkmcnt(1)
	v_mul_f64 v[50:51], v[14:15], v[58:59]
	v_fma_f64 v[50:51], v[12:13], v[56:57], -v[50:51]
	v_mul_f64 v[12:13], v[12:13], v[58:59]
	v_add_f64 v[78:79], v[78:79], v[88:89]
	v_fmac_f64_e32 v[12:13], v[14:15], v[56:57]
	v_add_f64 v[78:79], v[78:79], v[50:51]
	v_add_f64 v[76:77], v[12:13], v[76:77]
	ds_read_b128 v[12:15], v69 offset:8240
	s_waitcnt lgkmcnt(1)
	v_mul_f64 v[50:51], v[62:63], v[54:55]
	v_fma_f64 v[50:51], v[60:61], v[52:53], -v[50:51]
	v_mul_f64 v[54:55], v[60:61], v[54:55]
	v_fmac_f64_e32 v[54:55], v[62:63], v[52:53]
	v_add_f64 v[72:73], v[72:73], v[50:51]
	v_mul_f64 v[50:51], v[62:63], v[58:59]
	v_add_f64 v[74:75], v[54:55], v[74:75]
	v_fma_f64 v[54:55], v[60:61], v[56:57], -v[50:51]
	v_mul_f64 v[58:59], v[60:61], v[58:59]
	ds_read_b128 v[50:53], v67 offset:1536
	v_fmac_f64_e32 v[58:59], v[62:63], v[56:57]
	v_add_f64 v[60:61], v[64:65], v[54:55]
	ds_read_b128 v[54:57], v67 offset:1792
	v_add_f64 v[58:59], v[58:59], v[80:81]
	s_waitcnt lgkmcnt(1)
	v_mul_f64 v[62:63], v[10:11], v[52:53]
	v_fma_f64 v[62:63], v[8:9], v[50:51], -v[62:63]
	v_mul_f64 v[64:65], v[8:9], v[52:53]
	s_waitcnt lgkmcnt(0)
	v_mul_f64 v[80:81], v[10:11], v[56:57]
	v_fma_f64 v[80:81], v[8:9], v[54:55], -v[80:81]
	v_mul_f64 v[8:9], v[8:9], v[56:57]
	v_fmac_f64_e32 v[8:9], v[10:11], v[54:55]
	v_add_f64 v[76:77], v[8:9], v[76:77]
	v_mul_f64 v[8:9], v[14:15], v[52:53]
	v_fmac_f64_e32 v[64:65], v[10:11], v[50:51]
	v_fma_f64 v[8:9], v[12:13], v[50:51], -v[8:9]
	v_mul_f64 v[10:11], v[12:13], v[52:53]
	v_fmac_f64_e32 v[10:11], v[14:15], v[50:51]
	v_add_f64 v[72:73], v[72:73], v[8:9]
	v_mul_f64 v[8:9], v[14:15], v[56:57]
	v_mul_f64 v[52:53], v[12:13], v[56:57]
	v_add_f64 v[74:75], v[10:11], v[74:75]
	v_fma_f64 v[50:51], v[12:13], v[54:55], -v[8:9]
	v_fmac_f64_e32 v[52:53], v[14:15], v[54:55]
	ds_read_b128 v[8:11], v69 offset:64
	ds_read_b128 v[12:15], v67 offset:2048
	v_add_f64 v[62:63], v[82:83], v[62:63]
	v_add_f64 v[78:79], v[78:79], v[80:81]
	;; [unrolled: 1-line block ×4, first 2 shown]
	ds_read_b128 v[50:53], v67 offset:2304
	ds_read_b128 v[54:57], v69 offset:80
	s_waitcnt lgkmcnt(2)
	v_mul_f64 v[58:59], v[10:11], v[14:15]
	v_fma_f64 v[58:59], v[8:9], v[12:13], -v[58:59]
	v_mul_f64 v[60:61], v[8:9], v[14:15]
	v_add_f64 v[64:65], v[64:65], v[84:85]
	v_fmac_f64_e32 v[60:61], v[10:11], v[12:13]
	v_add_f64 v[62:63], v[62:63], v[58:59]
	s_waitcnt lgkmcnt(1)
	v_mul_f64 v[58:59], v[10:11], v[52:53]
	v_add_f64 v[64:65], v[60:61], v[64:65]
	v_fma_f64 v[84:85], v[8:9], v[50:51], -v[58:59]
	ds_read_b128 v[58:61], v69 offset:8256
	v_mul_f64 v[8:9], v[8:9], v[52:53]
	v_fmac_f64_e32 v[8:9], v[10:11], v[50:51]
	v_add_f64 v[78:79], v[78:79], v[84:85]
	v_add_f64 v[76:77], v[8:9], v[76:77]
	ds_read_b128 v[8:11], v69 offset:8272
	s_waitcnt lgkmcnt(1)
	v_mul_f64 v[84:85], v[60:61], v[14:15]
	v_mul_f64 v[14:15], v[58:59], v[14:15]
	v_fma_f64 v[84:85], v[58:59], v[12:13], -v[84:85]
	v_fmac_f64_e32 v[14:15], v[60:61], v[12:13]
	v_mul_f64 v[12:13], v[60:61], v[52:53]
	v_add_f64 v[72:73], v[72:73], v[84:85]
	v_add_f64 v[74:75], v[14:15], v[74:75]
	v_fma_f64 v[84:85], v[58:59], v[50:51], -v[12:13]
	v_mul_f64 v[52:53], v[58:59], v[52:53]
	ds_read_b128 v[12:15], v67 offset:2560
	v_fmac_f64_e32 v[52:53], v[60:61], v[50:51]
	v_add_f64 v[60:61], v[52:53], v[82:83]
	ds_read_b128 v[50:53], v67 offset:2816
	v_add_f64 v[58:59], v[80:81], v[84:85]
	s_waitcnt lgkmcnt(1)
	v_mul_f64 v[80:81], v[56:57], v[14:15]
	v_fma_f64 v[80:81], v[54:55], v[12:13], -v[80:81]
	v_add_f64 v[62:63], v[62:63], v[80:81]
	s_waitcnt lgkmcnt(0)
	v_mul_f64 v[80:81], v[56:57], v[52:53]
	v_mul_f64 v[82:83], v[54:55], v[14:15]
	v_fma_f64 v[80:81], v[54:55], v[50:51], -v[80:81]
	v_mul_f64 v[54:55], v[54:55], v[52:53]
	v_fmac_f64_e32 v[54:55], v[56:57], v[50:51]
	v_add_f64 v[76:77], v[54:55], v[76:77]
	v_mul_f64 v[54:55], v[10:11], v[14:15]
	v_mul_f64 v[14:15], v[8:9], v[14:15]
	v_fmac_f64_e32 v[82:83], v[56:57], v[12:13]
	v_fma_f64 v[54:55], v[8:9], v[12:13], -v[54:55]
	v_fmac_f64_e32 v[14:15], v[10:11], v[12:13]
	v_mul_f64 v[12:13], v[10:11], v[52:53]
	v_mul_f64 v[52:53], v[8:9], v[52:53]
	v_add_f64 v[72:73], v[72:73], v[54:55]
	v_add_f64 v[74:75], v[14:15], v[74:75]
	v_fma_f64 v[54:55], v[8:9], v[50:51], -v[12:13]
	v_fmac_f64_e32 v[52:53], v[10:11], v[50:51]
	ds_read_b128 v[8:11], v69 offset:96
	ds_read_b128 v[12:15], v67 offset:3072
	v_add_f64 v[64:65], v[82:83], v[64:65]
	v_add_f64 v[78:79], v[78:79], v[80:81]
	v_add_f64 v[80:81], v[58:59], v[54:55]
	v_add_f64 v[82:83], v[52:53], v[60:61]
	ds_read_b128 v[50:53], v67 offset:3328
	ds_read_b128 v[54:57], v69 offset:112
	s_waitcnt lgkmcnt(2)
	v_mul_f64 v[58:59], v[10:11], v[14:15]
	v_fma_f64 v[58:59], v[8:9], v[12:13], -v[58:59]
	v_mul_f64 v[60:61], v[8:9], v[14:15]
	v_fmac_f64_e32 v[60:61], v[10:11], v[12:13]
	v_add_f64 v[62:63], v[62:63], v[58:59]
	s_waitcnt lgkmcnt(1)
	v_mul_f64 v[58:59], v[10:11], v[52:53]
	v_add_f64 v[64:65], v[60:61], v[64:65]
	v_fma_f64 v[84:85], v[8:9], v[50:51], -v[58:59]
	ds_read_b128 v[58:61], v69 offset:8288
	v_mul_f64 v[8:9], v[8:9], v[52:53]
	v_fmac_f64_e32 v[8:9], v[10:11], v[50:51]
	v_add_f64 v[78:79], v[78:79], v[84:85]
	v_add_f64 v[76:77], v[8:9], v[76:77]
	ds_read_b128 v[8:11], v69 offset:8304
	s_waitcnt lgkmcnt(1)
	v_mul_f64 v[84:85], v[60:61], v[14:15]
	v_mul_f64 v[14:15], v[58:59], v[14:15]
	v_fma_f64 v[84:85], v[58:59], v[12:13], -v[84:85]
	v_fmac_f64_e32 v[14:15], v[60:61], v[12:13]
	v_mul_f64 v[12:13], v[60:61], v[52:53]
	v_add_f64 v[72:73], v[72:73], v[84:85]
	v_add_f64 v[74:75], v[14:15], v[74:75]
	v_fma_f64 v[84:85], v[58:59], v[50:51], -v[12:13]
	v_mul_f64 v[52:53], v[58:59], v[52:53]
	ds_read_b128 v[12:15], v67 offset:3584
	v_fmac_f64_e32 v[52:53], v[60:61], v[50:51]
	v_add_f64 v[60:61], v[52:53], v[82:83]
	ds_read_b128 v[50:53], v67 offset:3840
	v_add_f64 v[58:59], v[80:81], v[84:85]
	s_waitcnt lgkmcnt(1)
	v_mul_f64 v[80:81], v[56:57], v[14:15]
	v_fma_f64 v[80:81], v[54:55], v[12:13], -v[80:81]
	v_add_f64 v[62:63], v[62:63], v[80:81]
	s_waitcnt lgkmcnt(0)
	v_mul_f64 v[80:81], v[56:57], v[52:53]
	v_mul_f64 v[82:83], v[54:55], v[14:15]
	v_fma_f64 v[80:81], v[54:55], v[50:51], -v[80:81]
	v_mul_f64 v[54:55], v[54:55], v[52:53]
	v_fmac_f64_e32 v[54:55], v[56:57], v[50:51]
	v_add_f64 v[76:77], v[54:55], v[76:77]
	v_mul_f64 v[54:55], v[10:11], v[14:15]
	v_mul_f64 v[14:15], v[8:9], v[14:15]
	v_fmac_f64_e32 v[82:83], v[56:57], v[12:13]
	v_fma_f64 v[54:55], v[8:9], v[12:13], -v[54:55]
	v_fmac_f64_e32 v[14:15], v[10:11], v[12:13]
	v_mul_f64 v[12:13], v[10:11], v[52:53]
	v_mul_f64 v[52:53], v[8:9], v[52:53]
	v_add_f64 v[72:73], v[72:73], v[54:55]
	v_add_f64 v[74:75], v[14:15], v[74:75]
	v_fma_f64 v[54:55], v[8:9], v[50:51], -v[12:13]
	v_fmac_f64_e32 v[52:53], v[10:11], v[50:51]
	ds_read_b128 v[8:11], v69 offset:128
	ds_read_b128 v[12:15], v67 offset:4096
	v_add_f64 v[64:65], v[82:83], v[64:65]
	v_add_f64 v[78:79], v[78:79], v[80:81]
	v_add_f64 v[80:81], v[58:59], v[54:55]
	v_add_f64 v[82:83], v[52:53], v[60:61]
	ds_read_b128 v[50:53], v67 offset:4352
	ds_read_b128 v[54:57], v69 offset:144
	s_waitcnt lgkmcnt(2)
	v_mul_f64 v[58:59], v[10:11], v[14:15]
	v_fma_f64 v[58:59], v[8:9], v[12:13], -v[58:59]
	v_mul_f64 v[60:61], v[8:9], v[14:15]
	;; [unrolled: 61-line block ×13, first 2 shown]
	v_fmac_f64_e32 v[60:61], v[10:11], v[12:13]
	v_add_f64 v[62:63], v[62:63], v[58:59]
	s_waitcnt lgkmcnt(1)
	v_mul_f64 v[58:59], v[10:11], v[52:53]
	v_add_f64 v[64:65], v[60:61], v[64:65]
	v_fma_f64 v[84:85], v[8:9], v[50:51], -v[58:59]
	ds_read_b128 v[58:61], v69 offset:8672
	v_mul_f64 v[8:9], v[8:9], v[52:53]
	v_fmac_f64_e32 v[8:9], v[10:11], v[50:51]
	v_add_f64 v[78:79], v[78:79], v[84:85]
	v_add_f64 v[76:77], v[8:9], v[76:77]
	ds_read_b128 v[8:11], v69 offset:8688
	s_waitcnt lgkmcnt(1)
	v_mul_f64 v[84:85], v[60:61], v[14:15]
	v_mul_f64 v[14:15], v[58:59], v[14:15]
	v_fma_f64 v[84:85], v[58:59], v[12:13], -v[84:85]
	v_fmac_f64_e32 v[14:15], v[60:61], v[12:13]
	v_mul_f64 v[12:13], v[60:61], v[52:53]
	v_add_f64 v[72:73], v[72:73], v[84:85]
	v_add_f64 v[74:75], v[14:15], v[74:75]
	v_fma_f64 v[84:85], v[58:59], v[50:51], -v[12:13]
	v_mul_f64 v[52:53], v[58:59], v[52:53]
	ds_read_b128 v[12:15], v67 offset:15872
	v_fmac_f64_e32 v[52:53], v[60:61], v[50:51]
	v_add_f64 v[82:83], v[52:53], v[82:83]
	ds_read_b128 v[50:53], v67 offset:16128
	s_add_u32 s38, s38, 32
	s_waitcnt lgkmcnt(1)
	v_mul_f64 v[58:59], v[56:57], v[14:15]
	v_fma_f64 v[58:59], v[54:55], v[12:13], -v[58:59]
	v_add_f64 v[62:63], v[62:63], v[58:59]
	s_waitcnt lgkmcnt(0)
	v_mul_f64 v[58:59], v[56:57], v[52:53]
	v_mul_f64 v[60:61], v[54:55], v[14:15]
	v_fma_f64 v[58:59], v[54:55], v[50:51], -v[58:59]
	v_mul_f64 v[54:55], v[54:55], v[52:53]
	v_fmac_f64_e32 v[60:61], v[56:57], v[12:13]
	v_fmac_f64_e32 v[54:55], v[56:57], v[50:51]
	v_add_f64 v[64:65], v[60:61], v[64:65]
	v_add_f64 v[60:61], v[54:55], v[76:77]
	v_mul_f64 v[54:55], v[10:11], v[14:15]
	v_mul_f64 v[14:15], v[8:9], v[14:15]
	v_fma_f64 v[54:55], v[8:9], v[12:13], -v[54:55]
	v_fmac_f64_e32 v[14:15], v[10:11], v[12:13]
	v_mul_f64 v[12:13], v[10:11], v[52:53]
	v_fma_f64 v[12:13], v[8:9], v[50:51], -v[12:13]
	v_mul_f64 v[8:9], v[8:9], v[52:53]
	v_add_f64 v[80:81], v[80:81], v[84:85]
	v_fmac_f64_e32 v[8:9], v[10:11], v[50:51]
	s_addc_u32 s39, s39, 0
	v_add_f64 v[58:59], v[78:79], v[58:59]
	v_add_f64 v[54:55], v[72:73], v[54:55]
	;; [unrolled: 1-line block ×5, first 2 shown]
	v_lshl_add_u64 v[42:43], v[42:43], 0, s[36:37]
	v_lshl_add_u64 v[48:49], v[48:49], 0, s[54:55]
	;; [unrolled: 1-line block ×3, first 2 shown]
	s_cmp_ge_i32 s38, s2
	v_lshl_add_u64 v[44:45], v[44:45], 0, s[36:37]
	s_barrier
	s_cbranch_scc1 .LBB111_56
.LBB111_7:                              ;   Parent Loop BB111_4 Depth=1
                                        ; =>  This Inner Loop Header: Depth=2
	v_lshl_add_u64 v[8:9], v[16:17], 0, s[38:39]
	v_cmp_le_i64_e64 s[12:13], s[52:53], v[8:9]
	v_cmp_eq_u64_e64 s[4:5], s[38:39], v[24:25]
	v_cmp_lt_i64_e64 s[10:11], v[8:9], v[18:19]
	s_and_b64 s[42:43], s[34:35], s[4:5]
	s_or_b64 s[4:5], s[12:13], s[10:11]
	s_or_b64 s[4:5], s[4:5], s[42:43]
	v_lshl_add_u64 v[10:11], v[46:47], 0, v[30:31]
	s_nor_b64 s[4:5], s[0:1], s[4:5]
	s_and_saveexec_b64 s[40:41], s[4:5]
	s_xor_b64 s[4:5], exec, s[40:41]
	s_cbranch_execz .LBB111_9
; %bb.8:                                ;   in Loop: Header=BB111_7 Depth=2
	global_load_dwordx4 v[12:15], v[10:11], off offset:-256
	s_waitcnt vmcnt(0)
	ds_write2_b64 v68, v[12:13], v[14:15] offset1:1
.LBB111_9:                              ;   in Loop: Header=BB111_7 Depth=2
	s_or_saveexec_b64 s[4:5], s[4:5]
	s_xor_b64 s[40:41], s[42:43], -1
	s_xor_b64 exec, exec, s[4:5]
	s_cbranch_execz .LBB111_15
; %bb.10:                               ;   in Loop: Header=BB111_7 Depth=2
	s_and_saveexec_b64 s[50:51], s[40:41]
	s_xor_b64 s[50:51], exec, s[50:51]
; %bb.11:                               ;   in Loop: Header=BB111_7 Depth=2
	ds_write_b128 v68, v[0:3]
; %bb.12:                               ;   in Loop: Header=BB111_7 Depth=2
	s_andn2_saveexec_b64 s[50:51], s[50:51]
; %bb.13:                               ;   in Loop: Header=BB111_7 Depth=2
	ds_write_b128 v68, v[4:7]
; %bb.14:                               ;   in Loop: Header=BB111_7 Depth=2
	s_or_b64 exec, exec, s[50:51]
.LBB111_15:                             ;   in Loop: Header=BB111_7 Depth=2
	s_or_b64 exec, exec, s[4:5]
	v_cmp_eq_u64_e64 s[4:5], s[38:39], v[26:27]
	s_and_b64 s[50:51], s[34:35], s[4:5]
	v_cmp_gt_i64_e64 s[4:5], v[20:21], v[8:9]
	s_or_b64 s[4:5], s[12:13], s[4:5]
	s_or_b64 s[4:5], s[4:5], s[50:51]
	s_nor_b64 s[4:5], s[14:15], s[4:5]
	s_and_saveexec_b64 s[12:13], s[4:5]
	s_xor_b64 s[4:5], exec, s[12:13]
	s_cbranch_execz .LBB111_17
; %bb.16:                               ;   in Loop: Header=BB111_7 Depth=2
	global_load_dwordx4 v[10:13], v[10:11], off
	v_add_u32_e32 v14, 0x100, v68
	s_waitcnt vmcnt(0)
	ds_write2_b64 v14, v[10:11], v[12:13] offset1:1
.LBB111_17:                             ;   in Loop: Header=BB111_7 Depth=2
	s_andn2_saveexec_b64 s[4:5], s[4:5]
	s_cbranch_execz .LBB111_23
; %bb.18:                               ;   in Loop: Header=BB111_7 Depth=2
	s_xor_b64 s[12:13], s[50:51], -1
	s_and_saveexec_b64 s[50:51], s[12:13]
	s_xor_b64 s[12:13], exec, s[50:51]
; %bb.19:                               ;   in Loop: Header=BB111_7 Depth=2
	ds_write_b128 v68, v[0:3] offset:256
; %bb.20:                               ;   in Loop: Header=BB111_7 Depth=2
	s_andn2_saveexec_b64 s[12:13], s[12:13]
; %bb.21:                               ;   in Loop: Header=BB111_7 Depth=2
	ds_write_b128 v68, v[4:7] offset:256
; %bb.22:                               ;   in Loop: Header=BB111_7 Depth=2
	s_or_b64 exec, exec, s[12:13]
.LBB111_23:                             ;   in Loop: Header=BB111_7 Depth=2
	s_or_b64 exec, exec, s[4:5]
	v_lshl_add_u64 v[10:11], v[8:9], 0, 16
	v_cmp_eq_u64_e64 s[4:5], s[38:39], v[28:29]
	v_cmp_le_i64_e64 s[12:13], s[52:53], v[10:11]
	s_and_b64 s[50:51], s[34:35], s[4:5]
	v_cmp_lt_i64_e64 s[4:5], v[10:11], v[18:19]
	s_or_b64 s[4:5], s[12:13], s[4:5]
	s_or_b64 s[4:5], s[4:5], s[50:51]
	v_lshl_add_u64 v[8:9], v[48:49], 0, v[30:31]
	s_nor_b64 s[4:5], s[0:1], s[4:5]
	s_and_saveexec_b64 s[60:61], s[4:5]
	s_xor_b64 s[4:5], exec, s[60:61]
	s_cbranch_execz .LBB111_25
; %bb.24:                               ;   in Loop: Header=BB111_7 Depth=2
	global_load_dwordx4 v[10:13], v[8:9], off offset:-256
	v_add_u32_e32 v14, 0x2000, v68
	s_waitcnt vmcnt(0)
	ds_write2_b64 v14, v[10:11], v[12:13] offset1:1
.LBB111_25:                             ;   in Loop: Header=BB111_7 Depth=2
	s_andn2_saveexec_b64 s[4:5], s[4:5]
	s_cbranch_execz .LBB111_31
; %bb.26:                               ;   in Loop: Header=BB111_7 Depth=2
	s_xor_b64 s[50:51], s[50:51], -1
	s_and_saveexec_b64 s[60:61], s[50:51]
	s_xor_b64 s[50:51], exec, s[60:61]
; %bb.27:                               ;   in Loop: Header=BB111_7 Depth=2
	ds_write_b128 v68, v[0:3] offset:8192
; %bb.28:                               ;   in Loop: Header=BB111_7 Depth=2
	s_andn2_saveexec_b64 s[50:51], s[50:51]
; %bb.29:                               ;   in Loop: Header=BB111_7 Depth=2
	ds_write_b128 v68, v[4:7] offset:8192
; %bb.30:                               ;   in Loop: Header=BB111_7 Depth=2
	s_or_b64 exec, exec, s[50:51]
.LBB111_31:                             ;   in Loop: Header=BB111_7 Depth=2
	s_or_b64 exec, exec, s[4:5]
	s_or_b64 s[4:5], s[12:13], s[10:11]
	s_or_b64 s[4:5], s[4:5], s[42:43]
	s_nor_b64 s[4:5], s[14:15], s[4:5]
	s_and_saveexec_b64 s[10:11], s[4:5]
	s_xor_b64 s[4:5], exec, s[10:11]
	s_cbranch_execz .LBB111_33
; %bb.32:                               ;   in Loop: Header=BB111_7 Depth=2
	global_load_dwordx4 v[8:11], v[8:9], off
	v_add_u32_e32 v12, 0x2100, v68
	s_waitcnt vmcnt(0)
	ds_write2_b64 v12, v[8:9], v[10:11] offset1:1
.LBB111_33:                             ;   in Loop: Header=BB111_7 Depth=2
	s_andn2_saveexec_b64 s[4:5], s[4:5]
	s_cbranch_execz .LBB111_39
; %bb.34:                               ;   in Loop: Header=BB111_7 Depth=2
	s_and_saveexec_b64 s[10:11], s[40:41]
	s_xor_b64 s[10:11], exec, s[10:11]
; %bb.35:                               ;   in Loop: Header=BB111_7 Depth=2
	ds_write_b128 v68, v[0:3] offset:8448
; %bb.36:                               ;   in Loop: Header=BB111_7 Depth=2
	s_andn2_saveexec_b64 s[10:11], s[10:11]
; %bb.37:                               ;   in Loop: Header=BB111_7 Depth=2
	ds_write_b128 v68, v[4:7] offset:8448
; %bb.38:                               ;   in Loop: Header=BB111_7 Depth=2
	s_or_b64 exec, exec, s[10:11]
.LBB111_39:                             ;   in Loop: Header=BB111_7 Depth=2
	s_or_b64 exec, exec, s[4:5]
	v_lshl_add_u64 v[10:11], v[18:19], 0, s[38:39]
	v_cmp_gt_i64_e64 s[10:11], s[52:53], v[10:11]
	s_and_b64 s[4:5], vcc, s[10:11]
	s_xor_b64 s[4:5], s[4:5], -1
	s_and_saveexec_b64 s[12:13], s[4:5]
	s_xor_b64 s[4:5], exec, s[12:13]
; %bb.40:                               ;   in Loop: Header=BB111_7 Depth=2
	ds_write_b128 v70, v[0:3]
; %bb.41:                               ;   in Loop: Header=BB111_7 Depth=2
	s_or_saveexec_b64 s[4:5], s[4:5]
	v_lshl_add_u64 v[8:9], v[42:43], 0, v[30:31]
	s_xor_b64 exec, exec, s[4:5]
	s_cbranch_execz .LBB111_43
; %bb.42:                               ;   in Loop: Header=BB111_7 Depth=2
	global_load_dwordx4 v[12:15], v[8:9], off offset:-256
	s_waitcnt vmcnt(0)
	ds_write2_b64 v70, v[12:13], v[14:15] offset1:1
.LBB111_43:                             ;   in Loop: Header=BB111_7 Depth=2
	s_or_b64 exec, exec, s[4:5]
	v_cmp_gt_i64_e64 s[12:13], s[56:57], v[10:11]
	s_and_b64 s[4:5], vcc, s[12:13]
	s_xor_b64 s[4:5], s[4:5], -1
	s_and_saveexec_b64 s[40:41], s[4:5]
	s_xor_b64 s[4:5], exec, s[40:41]
; %bb.44:                               ;   in Loop: Header=BB111_7 Depth=2
	ds_write_b128 v70, v[0:3] offset:256
                                        ; implicit-def: $vgpr8_vgpr9
; %bb.45:                               ;   in Loop: Header=BB111_7 Depth=2
	s_andn2_saveexec_b64 s[4:5], s[4:5]
	s_cbranch_execz .LBB111_47
; %bb.46:                               ;   in Loop: Header=BB111_7 Depth=2
	global_load_dwordx4 v[8:11], v[8:9], off
	v_add_u32_e32 v12, 0x100, v70
	s_waitcnt vmcnt(0)
	ds_write2_b64 v12, v[8:9], v[10:11] offset1:1
.LBB111_47:                             ;   in Loop: Header=BB111_7 Depth=2
	s_or_b64 exec, exec, s[4:5]
	s_and_b64 s[4:5], s[8:9], s[10:11]
	s_xor_b64 s[4:5], s[4:5], -1
	s_and_saveexec_b64 s[10:11], s[4:5]
	s_xor_b64 s[4:5], exec, s[10:11]
; %bb.48:                               ;   in Loop: Header=BB111_7 Depth=2
	ds_write_b128 v70, v[0:3] offset:8192
; %bb.49:                               ;   in Loop: Header=BB111_7 Depth=2
	s_or_saveexec_b64 s[4:5], s[4:5]
	v_lshl_add_u64 v[8:9], v[44:45], 0, v[30:31]
	s_xor_b64 exec, exec, s[4:5]
	s_cbranch_execz .LBB111_51
; %bb.50:                               ;   in Loop: Header=BB111_7 Depth=2
	global_load_dwordx4 v[10:13], v[8:9], off
	v_add_u32_e32 v14, 0x2000, v70
	s_waitcnt vmcnt(0)
	ds_write2_b64 v14, v[10:11], v[12:13] offset1:1
.LBB111_51:                             ;   in Loop: Header=BB111_7 Depth=2
	s_or_b64 exec, exec, s[4:5]
	s_and_b64 s[4:5], s[8:9], s[12:13]
	s_xor_b64 s[4:5], s[4:5], -1
	s_and_saveexec_b64 s[10:11], s[4:5]
	s_xor_b64 s[4:5], exec, s[10:11]
; %bb.52:                               ;   in Loop: Header=BB111_7 Depth=2
	ds_write_b128 v70, v[0:3] offset:8448
                                        ; implicit-def: $vgpr8_vgpr9
; %bb.53:                               ;   in Loop: Header=BB111_7 Depth=2
	s_andn2_saveexec_b64 s[4:5], s[4:5]
	s_cbranch_execz .LBB111_6
; %bb.54:                               ;   in Loop: Header=BB111_7 Depth=2
	global_load_dwordx4 v[8:11], v[8:9], off offset:256
	s_waitcnt vmcnt(0)
	ds_write2_b64 v71, v[8:9], v[10:11] offset1:1
	s_branch .LBB111_6
.LBB111_55:                             ;   in Loop: Header=BB111_4 Depth=1
	v_mov_b64_e32 v[62:63], 0
	v_mov_b64_e32 v[64:65], 0
	;; [unrolled: 1-line block ×8, first 2 shown]
.LBB111_56:                             ;   in Loop: Header=BB111_4 Depth=1
	v_mul_lo_u32 v10, s21, v40
	v_mul_lo_u32 v11, s20, v41
	v_mad_u64_u32 v[8:9], s[4:5], s20, v40, 0
	v_cmp_gt_i32_e32 vcc, s30, v40
	v_add3_u32 v9, v9, v11, v10
	v_lshl_add_u64 v[8:9], v[8:9], 4, s[18:19]
	s_and_b64 s[8:9], s[16:17], vcc
	s_and_saveexec_b64 s[4:5], s[8:9]
	s_cbranch_execz .LBB111_58
; %bb.57:                               ;   in Loop: Header=BB111_4 Depth=1
	v_lshl_add_u64 v[14:15], v[18:19], 4, v[8:9]
	global_load_dwordx4 v[10:13], v[14:15], off
	v_mul_f64 v[42:43], s[26:27], v[64:65]
	v_mul_f64 v[44:45], s[24:25], v[64:65]
	v_fma_f64 v[42:43], s[24:25], v[62:63], -v[42:43]
	v_fmac_f64_e32 v[44:45], s[26:27], v[62:63]
	s_waitcnt vmcnt(0)
	v_add_f64 v[10:11], v[10:11], v[42:43]
	v_add_f64 v[12:13], v[44:45], v[12:13]
	global_store_dwordx4 v[14:15], v[10:13], off
.LBB111_58:                             ;   in Loop: Header=BB111_4 Depth=1
	s_or_b64 exec, exec, s[4:5]
	s_and_b64 s[8:9], s[6:7], vcc
	s_and_saveexec_b64 s[4:5], s[8:9]
	s_cbranch_execz .LBB111_60
; %bb.59:                               ;   in Loop: Header=BB111_4 Depth=1
	v_lshl_add_u64 v[12:13], v[22:23], 4, v[8:9]
	global_load_dwordx4 v[8:11], v[12:13], off
	v_mul_f64 v[14:15], s[26:27], v[60:61]
	v_mul_f64 v[42:43], s[24:25], v[60:61]
	v_fma_f64 v[14:15], s[24:25], v[58:59], -v[14:15]
	v_fmac_f64_e32 v[42:43], s[26:27], v[58:59]
	s_waitcnt vmcnt(0)
	v_add_f64 v[8:9], v[8:9], v[14:15]
	v_add_f64 v[10:11], v[42:43], v[10:11]
	global_store_dwordx4 v[12:13], v[8:11], off
.LBB111_60:                             ;   in Loop: Header=BB111_4 Depth=1
	s_or_b64 exec, exec, s[4:5]
	s_nop 0
	v_add_u32_e32 v8, 16, v40
	v_ashrrev_i32_e32 v9, 31, v8
	v_cmp_gt_i32_e32 vcc, s30, v8
	v_mul_lo_u32 v10, s20, v9
	v_mul_lo_u32 v11, s21, v8
	v_mad_u64_u32 v[8:9], s[4:5], s20, v8, 0
	v_add3_u32 v9, v9, v10, v11
	v_lshl_add_u64 v[8:9], v[8:9], 4, s[18:19]
	s_and_b64 s[8:9], s[16:17], vcc
	s_and_saveexec_b64 s[4:5], s[8:9]
	s_cbranch_execz .LBB111_62
; %bb.61:                               ;   in Loop: Header=BB111_4 Depth=1
	v_lshl_add_u64 v[14:15], v[18:19], 4, v[8:9]
	global_load_dwordx4 v[10:13], v[14:15], off
	v_mul_f64 v[40:41], s[26:27], v[56:57]
	v_mul_f64 v[42:43], s[24:25], v[56:57]
	v_fma_f64 v[40:41], s[24:25], v[54:55], -v[40:41]
	v_fmac_f64_e32 v[42:43], s[26:27], v[54:55]
	s_waitcnt vmcnt(0)
	v_add_f64 v[10:11], v[10:11], v[40:41]
	v_add_f64 v[12:13], v[42:43], v[12:13]
	global_store_dwordx4 v[14:15], v[10:13], off
.LBB111_62:                             ;   in Loop: Header=BB111_4 Depth=1
	s_or_b64 exec, exec, s[4:5]
	s_and_b64 s[8:9], s[6:7], vcc
	s_and_saveexec_b64 s[4:5], s[8:9]
	s_cbranch_execz .LBB111_3
; %bb.63:                               ;   in Loop: Header=BB111_4 Depth=1
	v_lshl_add_u64 v[12:13], v[22:23], 4, v[8:9]
	global_load_dwordx4 v[8:11], v[12:13], off
	v_mul_f64 v[14:15], s[26:27], v[50:51]
	v_mul_f64 v[40:41], s[24:25], v[50:51]
	v_fma_f64 v[14:15], s[24:25], v[52:53], -v[14:15]
	v_fmac_f64_e32 v[40:41], s[26:27], v[52:53]
	s_waitcnt vmcnt(0)
	v_add_f64 v[8:9], v[8:9], v[14:15]
	v_add_f64 v[10:11], v[40:41], v[10:11]
	global_store_dwordx4 v[12:13], v[8:11], off
	s_branch .LBB111_3
.LBB111_64:
	s_endpgm
	.section	.rodata,"a",@progbits
	.p2align	6, 0x0
	.amdhsa_kernel _ZL30rocblas_trmm_outofplace_kernelI19rocblas_complex_numIdELi32ELi2ELb1ELb1ELb0ELb0ES1_KS1_S1_Ev17rocblas_diagonal_iiT6_lPT7_lllS6_lllPT8_llli
		.amdhsa_group_segment_fixed_size 32768
		.amdhsa_private_segment_fixed_size 0
		.amdhsa_kernarg_size 400
		.amdhsa_user_sgpr_count 2
		.amdhsa_user_sgpr_dispatch_ptr 0
		.amdhsa_user_sgpr_queue_ptr 0
		.amdhsa_user_sgpr_kernarg_segment_ptr 1
		.amdhsa_user_sgpr_dispatch_id 0
		.amdhsa_user_sgpr_kernarg_preload_length 0
		.amdhsa_user_sgpr_kernarg_preload_offset 0
		.amdhsa_user_sgpr_private_segment_size 0
		.amdhsa_uses_dynamic_stack 0
		.amdhsa_enable_private_segment 0
		.amdhsa_system_sgpr_workgroup_id_x 1
		.amdhsa_system_sgpr_workgroup_id_y 1
		.amdhsa_system_sgpr_workgroup_id_z 1
		.amdhsa_system_sgpr_workgroup_info 0
		.amdhsa_system_vgpr_workitem_id 1
		.amdhsa_next_free_vgpr 94
		.amdhsa_next_free_sgpr 62
		.amdhsa_accum_offset 96
		.amdhsa_reserve_vcc 1
		.amdhsa_float_round_mode_32 0
		.amdhsa_float_round_mode_16_64 0
		.amdhsa_float_denorm_mode_32 3
		.amdhsa_float_denorm_mode_16_64 3
		.amdhsa_dx10_clamp 1
		.amdhsa_ieee_mode 1
		.amdhsa_fp16_overflow 0
		.amdhsa_tg_split 0
		.amdhsa_exception_fp_ieee_invalid_op 0
		.amdhsa_exception_fp_denorm_src 0
		.amdhsa_exception_fp_ieee_div_zero 0
		.amdhsa_exception_fp_ieee_overflow 0
		.amdhsa_exception_fp_ieee_underflow 0
		.amdhsa_exception_fp_ieee_inexact 0
		.amdhsa_exception_int_div_zero 0
	.end_amdhsa_kernel
	.section	.text._ZL30rocblas_trmm_outofplace_kernelI19rocblas_complex_numIdELi32ELi2ELb1ELb1ELb0ELb0ES1_KS1_S1_Ev17rocblas_diagonal_iiT6_lPT7_lllS6_lllPT8_llli,"axG",@progbits,_ZL30rocblas_trmm_outofplace_kernelI19rocblas_complex_numIdELi32ELi2ELb1ELb1ELb0ELb0ES1_KS1_S1_Ev17rocblas_diagonal_iiT6_lPT7_lllS6_lllPT8_llli,comdat
.Lfunc_end111:
	.size	_ZL30rocblas_trmm_outofplace_kernelI19rocblas_complex_numIdELi32ELi2ELb1ELb1ELb0ELb0ES1_KS1_S1_Ev17rocblas_diagonal_iiT6_lPT7_lllS6_lllPT8_llli, .Lfunc_end111-_ZL30rocblas_trmm_outofplace_kernelI19rocblas_complex_numIdELi32ELi2ELb1ELb1ELb0ELb0ES1_KS1_S1_Ev17rocblas_diagonal_iiT6_lPT7_lllS6_lllPT8_llli
                                        ; -- End function
	.set _ZL30rocblas_trmm_outofplace_kernelI19rocblas_complex_numIdELi32ELi2ELb1ELb1ELb0ELb0ES1_KS1_S1_Ev17rocblas_diagonal_iiT6_lPT7_lllS6_lllPT8_llli.num_vgpr, 94
	.set _ZL30rocblas_trmm_outofplace_kernelI19rocblas_complex_numIdELi32ELi2ELb1ELb1ELb0ELb0ES1_KS1_S1_Ev17rocblas_diagonal_iiT6_lPT7_lllS6_lllPT8_llli.num_agpr, 0
	.set _ZL30rocblas_trmm_outofplace_kernelI19rocblas_complex_numIdELi32ELi2ELb1ELb1ELb0ELb0ES1_KS1_S1_Ev17rocblas_diagonal_iiT6_lPT7_lllS6_lllPT8_llli.numbered_sgpr, 62
	.set _ZL30rocblas_trmm_outofplace_kernelI19rocblas_complex_numIdELi32ELi2ELb1ELb1ELb0ELb0ES1_KS1_S1_Ev17rocblas_diagonal_iiT6_lPT7_lllS6_lllPT8_llli.num_named_barrier, 0
	.set _ZL30rocblas_trmm_outofplace_kernelI19rocblas_complex_numIdELi32ELi2ELb1ELb1ELb0ELb0ES1_KS1_S1_Ev17rocblas_diagonal_iiT6_lPT7_lllS6_lllPT8_llli.private_seg_size, 0
	.set _ZL30rocblas_trmm_outofplace_kernelI19rocblas_complex_numIdELi32ELi2ELb1ELb1ELb0ELb0ES1_KS1_S1_Ev17rocblas_diagonal_iiT6_lPT7_lllS6_lllPT8_llli.uses_vcc, 1
	.set _ZL30rocblas_trmm_outofplace_kernelI19rocblas_complex_numIdELi32ELi2ELb1ELb1ELb0ELb0ES1_KS1_S1_Ev17rocblas_diagonal_iiT6_lPT7_lllS6_lllPT8_llli.uses_flat_scratch, 0
	.set _ZL30rocblas_trmm_outofplace_kernelI19rocblas_complex_numIdELi32ELi2ELb1ELb1ELb0ELb0ES1_KS1_S1_Ev17rocblas_diagonal_iiT6_lPT7_lllS6_lllPT8_llli.has_dyn_sized_stack, 0
	.set _ZL30rocblas_trmm_outofplace_kernelI19rocblas_complex_numIdELi32ELi2ELb1ELb1ELb0ELb0ES1_KS1_S1_Ev17rocblas_diagonal_iiT6_lPT7_lllS6_lllPT8_llli.has_recursion, 0
	.set _ZL30rocblas_trmm_outofplace_kernelI19rocblas_complex_numIdELi32ELi2ELb1ELb1ELb0ELb0ES1_KS1_S1_Ev17rocblas_diagonal_iiT6_lPT7_lllS6_lllPT8_llli.has_indirect_call, 0
	.section	.AMDGPU.csdata,"",@progbits
; Kernel info:
; codeLenInByte = 9128
; TotalNumSgprs: 68
; NumVgprs: 94
; NumAgprs: 0
; TotalNumVgprs: 94
; ScratchSize: 0
; MemoryBound: 0
; FloatMode: 240
; IeeeMode: 1
; LDSByteSize: 32768 bytes/workgroup (compile time only)
; SGPRBlocks: 8
; VGPRBlocks: 11
; NumSGPRsForWavesPerEU: 68
; NumVGPRsForWavesPerEU: 94
; AccumOffset: 96
; Occupancy: 5
; WaveLimiterHint : 0
; COMPUTE_PGM_RSRC2:SCRATCH_EN: 0
; COMPUTE_PGM_RSRC2:USER_SGPR: 2
; COMPUTE_PGM_RSRC2:TRAP_HANDLER: 0
; COMPUTE_PGM_RSRC2:TGID_X_EN: 1
; COMPUTE_PGM_RSRC2:TGID_Y_EN: 1
; COMPUTE_PGM_RSRC2:TGID_Z_EN: 1
; COMPUTE_PGM_RSRC2:TIDIG_COMP_CNT: 1
; COMPUTE_PGM_RSRC3_GFX90A:ACCUM_OFFSET: 23
; COMPUTE_PGM_RSRC3_GFX90A:TG_SPLIT: 0
	.section	.text._ZL30rocblas_trmm_outofplace_kernelI19rocblas_complex_numIdELi32ELi2ELb1ELb0ELb1ELb0EPKS1_S2_S1_Ev17rocblas_diagonal_iiT6_lPT7_lllS7_lllPT8_llli,"axG",@progbits,_ZL30rocblas_trmm_outofplace_kernelI19rocblas_complex_numIdELi32ELi2ELb1ELb0ELb1ELb0EPKS1_S2_S1_Ev17rocblas_diagonal_iiT6_lPT7_lllS7_lllPT8_llli,comdat
	.globl	_ZL30rocblas_trmm_outofplace_kernelI19rocblas_complex_numIdELi32ELi2ELb1ELb0ELb1ELb0EPKS1_S2_S1_Ev17rocblas_diagonal_iiT6_lPT7_lllS7_lllPT8_llli ; -- Begin function _ZL30rocblas_trmm_outofplace_kernelI19rocblas_complex_numIdELi32ELi2ELb1ELb0ELb1ELb0EPKS1_S2_S1_Ev17rocblas_diagonal_iiT6_lPT7_lllS7_lllPT8_llli
	.p2align	8
	.type	_ZL30rocblas_trmm_outofplace_kernelI19rocblas_complex_numIdELi32ELi2ELb1ELb0ELb1ELb0EPKS1_S2_S1_Ev17rocblas_diagonal_iiT6_lPT7_lllS7_lllPT8_llli,@function
_ZL30rocblas_trmm_outofplace_kernelI19rocblas_complex_numIdELi32ELi2ELb1ELb0ELb1ELb0EPKS1_S2_S1_Ev17rocblas_diagonal_iiT6_lPT7_lllS7_lllPT8_llli: ; @_ZL30rocblas_trmm_outofplace_kernelI19rocblas_complex_numIdELi32ELi2ELb1ELb0ELb1ELb0EPKS1_S2_S1_Ev17rocblas_diagonal_iiT6_lPT7_lllS7_lllPT8_llli
; %bb.0:
	s_load_dwordx16 s[16:31], s[0:1], 0x10
	s_waitcnt lgkmcnt(0)
	s_mul_i32 s5, s19, s4
	s_mul_hi_u32 s6, s18, s4
	s_add_i32 s7, s6, s5
	s_mul_i32 s6, s18, s4
	s_lshl_b64 s[6:7], s[6:7], 4
	s_add_u32 s6, s16, s6
	s_addc_u32 s7, s17, s7
	s_load_dwordx4 s[44:47], s[6:7], 0x0
	s_waitcnt lgkmcnt(0)
	v_cmp_eq_f64_e64 s[6:7], s[44:45], 0
	v_cmp_eq_f64_e64 s[8:9], s[46:47], 0
	s_and_b64 s[6:7], s[6:7], s[8:9]
	s_and_b64 vcc, exec, s[6:7]
	s_cbranch_vccnz .LBB112_64
; %bb.1:
	s_load_dwordx4 s[48:51], s[0:1], 0x0
	s_waitcnt lgkmcnt(0)
	s_add_i32 s5, s50, -1
	s_ashr_i32 s6, s5, 31
	s_lshr_b32 s6, s6, 27
	s_add_i32 s5, s5, s6
	s_ashr_i32 s33, s5, 5
	s_cmp_gt_i32 s3, s33
	s_cbranch_scc1 .LBB112_64
; %bb.2:
	s_load_dwordx4 s[52:55], s[0:1], 0x70
	s_load_dwordx8 s[36:43], s[0:1], 0x50
	s_load_dword s51, s[0:1], 0x8c
	v_bfe_u32 v64, v0, 10, 10
	v_and_b32_e32 v0, 0x3ff, v0
	v_lshlrev_b32_e32 v1, 9, v64
	s_waitcnt lgkmcnt(0)
	s_mul_i32 s0, s55, s4
	s_mul_hi_u32 s1, s54, s4
	s_add_i32 s1, s1, s0
	s_mul_i32 s0, s54, s4
	s_lshl_b64 s[0:1], s[0:1], 4
	s_add_u32 s5, s40, s0
	s_addc_u32 s6, s41, s1
	s_lshl_b64 s[0:1], s[42:43], 4
	s_add_u32 s18, s5, s0
	s_addc_u32 s19, s6, s1
	s_lshl_b32 s0, s2, 5
	s_sub_i32 s2, s49, s0
	s_cmp_gt_i32 s2, 0
	s_cselect_b64 s[34:35], -1, 0
	s_cmpk_eq_i32 s48, 0x84
	s_cselect_b64 s[40:41], -1, 0
	s_ashr_i32 s43, s49, 31
	s_ashr_i32 s48, s50, 31
	s_add_u32 s54, s49, -16
	s_mul_i32 s5, s39, s4
	s_mul_hi_u32 s8, s38, s4
	s_addc_u32 s55, s43, -1
	s_add_i32 s9, s8, s5
	s_mul_i32 s8, s38, s4
	s_lshl_b64 s[8:9], s[8:9], 4
	s_lshl_b64 s[10:11], s[30:31], 4
	v_add_u32_e32 v18, s0, v0
	s_add_u32 s5, s8, s10
	s_addc_u32 s9, s9, s11
	v_mad_u64_u32 v[2:3], s[10:11], s24, v18, 0
	s_add_u32 s8, s28, s5
	s_mul_i32 s5, s27, s4
	s_mul_hi_u32 s10, s26, s4
	s_addc_u32 s9, s29, s9
	s_add_i32 s5, s10, s5
	s_mul_i32 s4, s26, s4
	v_ashrrev_i32_e32 v19, 31, v18
	s_lshl_b64 s[28:29], s[36:37], 4
	s_lshl_b32 s38, s51, 5
	s_lshl_b64 s[4:5], s[4:5], 4
	s_lshl_b64 s[10:11], s[22:23], 4
	v_add_u32_e32 v16, s0, v64
	v_mul_lo_u32 v4, s24, v19
	v_mul_lo_u32 v5, s25, v18
	s_add_u32 s4, s10, s4
	v_ashrrev_i32_e32 v17, 31, v16
	v_lshlrev_b32_e32 v65, 4, v0
	v_add3_u32 v3, v3, v4, v5
	s_addc_u32 s5, s11, s5
	v_add_u32_e32 v66, v65, v1
	v_add_u32_e32 v67, 0x4000, v1
	v_lshlrev_b64 v[0:1], 4, v[18:19]
	v_lshl_add_u64 v[2:3], v[2:3], 4, s[4:5]
	v_lshlrev_b64 v[6:7], 4, v[16:17]
	v_lshl_add_u64 v[30:31], s[8:9], 0, v[0:1]
	s_mov_b64 s[8:9], 0x100
	v_lshl_add_u64 v[2:3], v[2:3], 0, v[6:7]
	v_mov_b64_e32 v[4:5], s[4:5]
	v_lshl_add_u64 v[2:3], s[20:21], 0, v[2:3]
	v_lshl_add_u64 v[0:1], v[0:1], 0, s[8:9]
	;; [unrolled: 1-line block ×3, first 2 shown]
	v_mul_lo_u32 v2, s24, v1
	v_mul_lo_u32 v3, s25, v0
	v_mad_u64_u32 v[0:1], s[4:5], s24, v0, v[4:5]
	v_add3_u32 v1, v3, v1, v2
	v_sub_co_u32_e32 v24, vcc, v18, v16
	v_lshl_add_u64 v[0:1], v[0:1], 0, v[6:7]
	s_mov_b32 s42, s49
	v_add_u32_e32 v68, v67, v65
	v_lshl_add_u64 v[20:21], v[18:19], 0, 16
	v_add_u32_e32 v22, 16, v18
	v_subb_co_u32_e32 v25, vcc, v19, v17, vcc
	v_lshl_add_u64 v[38:39], s[20:21], 0, v[0:1]
	v_mov_b32_e32 v0, 0
	v_cmp_le_i32_e64 s[0:1], s49, v18
	v_cmp_le_i64_e64 s[14:15], s[42:43], v[20:21]
	v_add_u32_e32 v69, 0x100, v66
	v_add_u32_e32 v70, 0x2000, v66
	;; [unrolled: 1-line block ×6, first 2 shown]
	v_cmp_gt_i32_e64 s[16:17], s49, v18
	v_cmp_gt_i32_e64 s[6:7], s49, v22
	v_ashrrev_i32_e32 v23, 31, v22
	v_lshl_add_u64 v[26:27], v[24:25], 0, 16
	v_lshl_add_u64 v[28:29], v[24:25], 0, -16
	v_lshl_add_u64 v[32:33], v[30:31], 0, s[8:9]
	v_lshl_add_u32 v34, s3, 5, v64
	v_mov_b64_e32 v[40:41], 0x100
	v_mov_b32_e32 v1, v0
	v_mov_b32_e32 v2, v0
	;; [unrolled: 1-line block ×7, first 2 shown]
	s_branch .LBB112_4
.LBB112_3:                              ;   in Loop: Header=BB112_4 Depth=1
	s_or_b64 exec, exec, s[4:5]
	s_add_i32 s3, s51, s3
	s_cmp_le_i32 s3, s33
	v_add_u32_e32 v34, s38, v34
	s_cbranch_scc0 .LBB112_64
.LBB112_4:                              ; =>This Loop Header: Depth=1
                                        ;     Child Loop BB112_7 Depth 2
	v_lshl_add_u32 v42, s3, 5, v64
	s_andn2_b64 vcc, exec, s[34:35]
	v_ashrrev_i32_e32 v43, 31, v42
	s_cbranch_vccnz .LBB112_55
; %bb.5:                                ;   in Loop: Header=BB112_4 Depth=1
	v_ashrrev_i32_e32 v35, 31, v34
	v_mad_u64_u32 v[44:45], s[4:5], s28, v34, v[32:33]
	v_mul_lo_u32 v8, s29, v34
	v_mul_lo_u32 v9, s28, v35
	v_add3_u32 v45, v8, v45, v9
	v_lshl_add_u64 v[8:9], v[34:35], 4, v[40:41]
	v_mul_lo_u32 v9, s36, v9
	v_mul_lo_u32 v10, s37, v8
	v_mad_u64_u32 v[46:47], s[4:5], s36, v8, v[30:31]
	v_add3_u32 v47, v10, v47, v9
	v_mov_b32_e32 v9, s48
	v_sub_co_u32_e32 v8, vcc, s50, v42
	s_mov_b64 s[20:21], 0
	s_nop 0
	v_subb_co_u32_e32 v9, vcc, v9, v43, vcc
	v_cmp_lt_i64_e32 vcc, 0, v[8:9]
	v_cmp_lt_i64_e64 s[8:9], 16, v[8:9]
	v_mov_b64_e32 v[48:49], 0
	s_mov_b64 s[22:23], 0
	v_mov_b64_e32 v[50:51], 0
	v_mov_b64_e32 v[58:59], 0
	;; [unrolled: 1-line block ×7, first 2 shown]
	s_branch .LBB112_7
.LBB112_6:                              ;   in Loop: Header=BB112_7 Depth=2
	s_or_b64 exec, exec, s[4:5]
	s_waitcnt lgkmcnt(0)
	s_barrier
	ds_read_b128 v[76:79], v67
	ds_read_b128 v[80:83], v67 offset:16
	ds_read_b128 v[12:15], v67 offset:32
	;; [unrolled: 1-line block ×3, first 2 shown]
	ds_read_b128 v[84:87], v65
	s_add_u32 s22, s22, 32
	s_addc_u32 s23, s23, 0
	s_add_u32 s20, s20, 0x200
	s_addc_u32 s21, s21, 0
	s_waitcnt lgkmcnt(0)
	v_mul_f64 v[88:89], v[78:79], v[86:87]
	v_mul_f64 v[90:91], v[76:77], v[86:87]
	v_fma_f64 v[88:89], v[76:77], v[84:85], -v[88:89]
	v_fmac_f64_e32 v[90:91], v[78:79], v[84:85]
	v_add_f64 v[88:89], v[60:61], v[88:89]
	v_add_f64 v[90:91], v[90:91], v[62:63]
	ds_read_b128 v[60:63], v65 offset:256
	s_cmp_ge_i32 s22, s2
	s_waitcnt lgkmcnt(0)
	v_mul_f64 v[92:93], v[78:79], v[62:63]
	v_fma_f64 v[92:93], v[76:77], v[60:61], -v[92:93]
	v_mul_f64 v[76:77], v[76:77], v[62:63]
	v_fmac_f64_e32 v[76:77], v[78:79], v[60:61]
	v_add_f64 v[78:79], v[52:53], v[92:93]
	v_add_f64 v[76:77], v[76:77], v[54:55]
	ds_read_b128 v[52:55], v67 offset:8192
	s_waitcnt lgkmcnt(0)
	v_mul_f64 v[92:93], v[54:55], v[86:87]
	v_fma_f64 v[92:93], v[52:53], v[84:85], -v[92:93]
	v_mul_f64 v[86:87], v[52:53], v[86:87]
	v_fmac_f64_e32 v[86:87], v[54:55], v[84:85]
	v_add_f64 v[84:85], v[56:57], v[92:93]
	v_mul_f64 v[56:57], v[54:55], v[62:63]
	v_fma_f64 v[56:57], v[52:53], v[60:61], -v[56:57]
	v_mul_f64 v[52:53], v[52:53], v[62:63]
	v_fmac_f64_e32 v[52:53], v[54:55], v[60:61]
	v_add_f64 v[94:95], v[52:53], v[48:49]
	ds_read_b128 v[52:55], v65 offset:512
	v_add_f64 v[86:87], v[86:87], v[58:59]
	v_add_f64 v[92:93], v[50:51], v[56:57]
	ds_read_b128 v[56:59], v65 offset:768
	ds_read_b128 v[60:63], v67 offset:8208
	s_waitcnt lgkmcnt(2)
	v_mul_f64 v[50:51], v[80:81], v[54:55]
	v_fmac_f64_e32 v[50:51], v[82:83], v[52:53]
	v_mul_f64 v[48:49], v[82:83], v[54:55]
	v_add_f64 v[90:91], v[50:51], v[90:91]
	s_waitcnt lgkmcnt(1)
	v_mul_f64 v[50:51], v[80:81], v[58:59]
	v_fma_f64 v[48:49], v[80:81], v[52:53], -v[48:49]
	v_fmac_f64_e32 v[50:51], v[82:83], v[56:57]
	v_add_f64 v[88:89], v[88:89], v[48:49]
	v_mul_f64 v[48:49], v[82:83], v[58:59]
	v_add_f64 v[50:51], v[50:51], v[76:77]
	s_waitcnt lgkmcnt(0)
	v_mul_f64 v[76:77], v[62:63], v[54:55]
	v_mul_f64 v[54:55], v[60:61], v[54:55]
	v_fma_f64 v[48:49], v[80:81], v[56:57], -v[48:49]
	v_fmac_f64_e32 v[54:55], v[62:63], v[52:53]
	v_add_f64 v[48:49], v[78:79], v[48:49]
	v_fma_f64 v[76:77], v[60:61], v[52:53], -v[76:77]
	v_add_f64 v[78:79], v[54:55], v[86:87]
	v_mul_f64 v[52:53], v[62:63], v[58:59]
	v_mul_f64 v[54:55], v[60:61], v[58:59]
	v_fma_f64 v[52:53], v[60:61], v[56:57], -v[52:53]
	v_fmac_f64_e32 v[54:55], v[62:63], v[56:57]
	v_add_f64 v[60:61], v[92:93], v[52:53]
	v_add_f64 v[62:63], v[54:55], v[94:95]
	ds_read_b128 v[52:55], v65 offset:1024
	v_add_f64 v[76:77], v[84:85], v[76:77]
	s_waitcnt lgkmcnt(0)
	v_mul_f64 v[56:57], v[14:15], v[54:55]
	v_mul_f64 v[58:59], v[12:13], v[54:55]
	v_fma_f64 v[56:57], v[12:13], v[52:53], -v[56:57]
	v_fmac_f64_e32 v[58:59], v[14:15], v[52:53]
	v_add_f64 v[80:81], v[88:89], v[56:57]
	v_add_f64 v[82:83], v[58:59], v[90:91]
	ds_read_b128 v[56:59], v65 offset:1280
	s_waitcnt lgkmcnt(0)
	v_mul_f64 v[84:85], v[14:15], v[58:59]
	v_fma_f64 v[84:85], v[12:13], v[56:57], -v[84:85]
	v_mul_f64 v[12:13], v[12:13], v[58:59]
	v_fmac_f64_e32 v[12:13], v[14:15], v[56:57]
	v_add_f64 v[86:87], v[12:13], v[50:51]
	ds_read_b128 v[12:15], v67 offset:8224
	v_add_f64 v[84:85], v[48:49], v[84:85]
	s_waitcnt lgkmcnt(0)
	v_mul_f64 v[48:49], v[14:15], v[54:55]
	v_fma_f64 v[48:49], v[12:13], v[52:53], -v[48:49]
	v_mul_f64 v[50:51], v[12:13], v[54:55]
	v_fmac_f64_e32 v[50:51], v[14:15], v[52:53]
	v_add_f64 v[52:53], v[76:77], v[48:49]
	v_mul_f64 v[48:49], v[14:15], v[58:59]
	v_fma_f64 v[48:49], v[12:13], v[56:57], -v[48:49]
	v_mul_f64 v[12:13], v[12:13], v[58:59]
	v_fmac_f64_e32 v[12:13], v[14:15], v[56:57]
	v_add_f64 v[58:59], v[12:13], v[62:63]
	ds_read_b128 v[12:15], v65 offset:1536
	v_add_f64 v[54:55], v[50:51], v[78:79]
	v_add_f64 v[56:57], v[60:61], v[48:49]
	s_waitcnt lgkmcnt(0)
	v_mul_f64 v[48:49], v[10:11], v[14:15]
	v_mul_f64 v[50:51], v[8:9], v[14:15]
	v_fma_f64 v[48:49], v[8:9], v[12:13], -v[48:49]
	v_fmac_f64_e32 v[50:51], v[10:11], v[12:13]
	v_add_f64 v[60:61], v[80:81], v[48:49]
	v_add_f64 v[62:63], v[50:51], v[82:83]
	ds_read_b128 v[48:51], v65 offset:1792
	s_waitcnt lgkmcnt(0)
	v_mul_f64 v[76:77], v[10:11], v[50:51]
	v_fma_f64 v[76:77], v[8:9], v[48:49], -v[76:77]
	v_mul_f64 v[8:9], v[8:9], v[50:51]
	v_fmac_f64_e32 v[8:9], v[10:11], v[48:49]
	v_add_f64 v[78:79], v[8:9], v[86:87]
	ds_read_b128 v[8:11], v67 offset:8240
	v_add_f64 v[76:77], v[84:85], v[76:77]
	s_waitcnt lgkmcnt(0)
	v_mul_f64 v[80:81], v[10:11], v[14:15]
	v_mul_f64 v[14:15], v[8:9], v[14:15]
	v_fma_f64 v[80:81], v[8:9], v[12:13], -v[80:81]
	v_fmac_f64_e32 v[14:15], v[10:11], v[12:13]
	v_mul_f64 v[12:13], v[10:11], v[50:51]
	v_fma_f64 v[12:13], v[8:9], v[48:49], -v[12:13]
	v_mul_f64 v[8:9], v[8:9], v[50:51]
	v_fmac_f64_e32 v[8:9], v[10:11], v[48:49]
	v_add_f64 v[54:55], v[14:15], v[54:55]
	v_add_f64 v[56:57], v[56:57], v[12:13]
	;; [unrolled: 1-line block ×3, first 2 shown]
	ds_read_b128 v[8:11], v67 offset:64
	ds_read_b128 v[12:15], v65 offset:2048
	v_add_f64 v[52:53], v[52:53], v[80:81]
	s_waitcnt lgkmcnt(0)
	v_mul_f64 v[48:49], v[10:11], v[14:15]
	v_mul_f64 v[50:51], v[8:9], v[14:15]
	v_fma_f64 v[48:49], v[8:9], v[12:13], -v[48:49]
	v_fmac_f64_e32 v[50:51], v[10:11], v[12:13]
	v_add_f64 v[60:61], v[60:61], v[48:49]
	v_add_f64 v[62:63], v[50:51], v[62:63]
	ds_read_b128 v[48:51], v65 offset:2304
	s_waitcnt lgkmcnt(0)
	v_mul_f64 v[80:81], v[10:11], v[50:51]
	v_fma_f64 v[80:81], v[8:9], v[48:49], -v[80:81]
	v_mul_f64 v[8:9], v[8:9], v[50:51]
	v_fmac_f64_e32 v[8:9], v[10:11], v[48:49]
	v_add_f64 v[78:79], v[8:9], v[78:79]
	ds_read_b128 v[8:11], v67 offset:8256
	v_add_f64 v[76:77], v[76:77], v[80:81]
	s_waitcnt lgkmcnt(0)
	v_mul_f64 v[80:81], v[10:11], v[14:15]
	v_fma_f64 v[80:81], v[8:9], v[12:13], -v[80:81]
	v_mul_f64 v[14:15], v[8:9], v[14:15]
	v_fmac_f64_e32 v[14:15], v[10:11], v[12:13]
	v_add_f64 v[12:13], v[52:53], v[80:81]
	v_mul_f64 v[52:53], v[10:11], v[50:51]
	v_mul_f64 v[50:51], v[8:9], v[50:51]
	v_fma_f64 v[52:53], v[8:9], v[48:49], -v[52:53]
	v_fmac_f64_e32 v[50:51], v[10:11], v[48:49]
	v_add_f64 v[14:15], v[14:15], v[54:55]
	v_add_f64 v[8:9], v[56:57], v[52:53]
	v_add_f64 v[10:11], v[50:51], v[58:59]
	ds_read_b128 v[48:51], v67 offset:80
	ds_read_b128 v[52:55], v65 offset:2560
	s_waitcnt lgkmcnt(0)
	v_mul_f64 v[56:57], v[50:51], v[54:55]
	v_mul_f64 v[58:59], v[48:49], v[54:55]
	v_fma_f64 v[56:57], v[48:49], v[52:53], -v[56:57]
	v_fmac_f64_e32 v[58:59], v[50:51], v[52:53]
	v_add_f64 v[60:61], v[60:61], v[56:57]
	v_add_f64 v[62:63], v[58:59], v[62:63]
	ds_read_b128 v[56:59], v65 offset:2816
	s_waitcnt lgkmcnt(0)
	v_mul_f64 v[80:81], v[50:51], v[58:59]
	v_fma_f64 v[80:81], v[48:49], v[56:57], -v[80:81]
	v_mul_f64 v[48:49], v[48:49], v[58:59]
	v_fmac_f64_e32 v[48:49], v[50:51], v[56:57]
	v_add_f64 v[78:79], v[48:49], v[78:79]
	ds_read_b128 v[48:51], v67 offset:8272
	v_add_f64 v[76:77], v[76:77], v[80:81]
	s_waitcnt lgkmcnt(0)
	v_mul_f64 v[80:81], v[50:51], v[54:55]
	v_mul_f64 v[54:55], v[48:49], v[54:55]
	v_fma_f64 v[80:81], v[48:49], v[52:53], -v[80:81]
	v_fmac_f64_e32 v[54:55], v[50:51], v[52:53]
	v_add_f64 v[52:53], v[12:13], v[80:81]
	v_add_f64 v[54:55], v[54:55], v[14:15]
	v_mul_f64 v[12:13], v[50:51], v[58:59]
	v_mul_f64 v[14:15], v[48:49], v[58:59]
	v_fma_f64 v[12:13], v[48:49], v[56:57], -v[12:13]
	v_fmac_f64_e32 v[14:15], v[50:51], v[56:57]
	v_add_f64 v[56:57], v[8:9], v[12:13]
	v_add_f64 v[58:59], v[14:15], v[10:11]
	ds_read_b128 v[8:11], v67 offset:96
	ds_read_b128 v[12:15], v65 offset:3072
	s_waitcnt lgkmcnt(0)
	v_mul_f64 v[48:49], v[10:11], v[14:15]
	v_mul_f64 v[50:51], v[8:9], v[14:15]
	v_fma_f64 v[48:49], v[8:9], v[12:13], -v[48:49]
	v_fmac_f64_e32 v[50:51], v[10:11], v[12:13]
	v_add_f64 v[60:61], v[60:61], v[48:49]
	v_add_f64 v[62:63], v[50:51], v[62:63]
	ds_read_b128 v[48:51], v65 offset:3328
	s_waitcnt lgkmcnt(0)
	v_mul_f64 v[80:81], v[10:11], v[50:51]
	v_fma_f64 v[80:81], v[8:9], v[48:49], -v[80:81]
	v_mul_f64 v[8:9], v[8:9], v[50:51]
	v_fmac_f64_e32 v[8:9], v[10:11], v[48:49]
	v_add_f64 v[78:79], v[8:9], v[78:79]
	ds_read_b128 v[8:11], v67 offset:8288
	v_add_f64 v[76:77], v[76:77], v[80:81]
	s_waitcnt lgkmcnt(0)
	v_mul_f64 v[80:81], v[10:11], v[14:15]
	v_fma_f64 v[80:81], v[8:9], v[12:13], -v[80:81]
	v_mul_f64 v[14:15], v[8:9], v[14:15]
	v_fmac_f64_e32 v[14:15], v[10:11], v[12:13]
	v_add_f64 v[12:13], v[52:53], v[80:81]
	v_mul_f64 v[52:53], v[10:11], v[50:51]
	v_mul_f64 v[50:51], v[8:9], v[50:51]
	v_fma_f64 v[52:53], v[8:9], v[48:49], -v[52:53]
	v_fmac_f64_e32 v[50:51], v[10:11], v[48:49]
	v_add_f64 v[14:15], v[14:15], v[54:55]
	v_add_f64 v[8:9], v[56:57], v[52:53]
	v_add_f64 v[10:11], v[50:51], v[58:59]
	ds_read_b128 v[48:51], v67 offset:112
	ds_read_b128 v[52:55], v65 offset:3584
	s_waitcnt lgkmcnt(0)
	v_mul_f64 v[56:57], v[50:51], v[54:55]
	v_mul_f64 v[58:59], v[48:49], v[54:55]
	v_fma_f64 v[56:57], v[48:49], v[52:53], -v[56:57]
	v_fmac_f64_e32 v[58:59], v[50:51], v[52:53]
	v_add_f64 v[60:61], v[60:61], v[56:57]
	v_add_f64 v[62:63], v[58:59], v[62:63]
	ds_read_b128 v[56:59], v65 offset:3840
	s_waitcnt lgkmcnt(0)
	v_mul_f64 v[80:81], v[50:51], v[58:59]
	v_fma_f64 v[80:81], v[48:49], v[56:57], -v[80:81]
	v_mul_f64 v[48:49], v[48:49], v[58:59]
	v_fmac_f64_e32 v[48:49], v[50:51], v[56:57]
	v_add_f64 v[78:79], v[48:49], v[78:79]
	ds_read_b128 v[48:51], v67 offset:8304
	v_add_f64 v[76:77], v[76:77], v[80:81]
	s_waitcnt lgkmcnt(0)
	v_mul_f64 v[80:81], v[50:51], v[54:55]
	v_mul_f64 v[54:55], v[48:49], v[54:55]
	v_fma_f64 v[80:81], v[48:49], v[52:53], -v[80:81]
	v_fmac_f64_e32 v[54:55], v[50:51], v[52:53]
	v_add_f64 v[52:53], v[12:13], v[80:81]
	v_add_f64 v[54:55], v[54:55], v[14:15]
	v_mul_f64 v[12:13], v[50:51], v[58:59]
	v_mul_f64 v[14:15], v[48:49], v[58:59]
	v_fma_f64 v[12:13], v[48:49], v[56:57], -v[12:13]
	v_fmac_f64_e32 v[14:15], v[50:51], v[56:57]
	v_add_f64 v[56:57], v[8:9], v[12:13]
	v_add_f64 v[58:59], v[14:15], v[10:11]
	ds_read_b128 v[8:11], v67 offset:128
	ds_read_b128 v[12:15], v65 offset:4096
	;; [unrolled: 62-line block ×13, first 2 shown]
	s_waitcnt lgkmcnt(0)
	v_mul_f64 v[48:49], v[10:11], v[14:15]
	v_mul_f64 v[50:51], v[8:9], v[14:15]
	v_fma_f64 v[48:49], v[8:9], v[12:13], -v[48:49]
	v_fmac_f64_e32 v[50:51], v[10:11], v[12:13]
	v_add_f64 v[60:61], v[60:61], v[48:49]
	v_add_f64 v[62:63], v[50:51], v[62:63]
	ds_read_b128 v[48:51], v65 offset:15616
	s_waitcnt lgkmcnt(0)
	v_mul_f64 v[80:81], v[10:11], v[50:51]
	v_fma_f64 v[80:81], v[8:9], v[48:49], -v[80:81]
	v_mul_f64 v[8:9], v[8:9], v[50:51]
	v_fmac_f64_e32 v[8:9], v[10:11], v[48:49]
	v_add_f64 v[82:83], v[8:9], v[78:79]
	ds_read_b128 v[8:11], v67 offset:8672
	v_add_f64 v[80:81], v[76:77], v[80:81]
	s_waitcnt lgkmcnt(0)
	v_mul_f64 v[76:77], v[10:11], v[14:15]
	v_fma_f64 v[76:77], v[8:9], v[12:13], -v[76:77]
	v_mul_f64 v[14:15], v[8:9], v[14:15]
	v_fmac_f64_e32 v[14:15], v[10:11], v[12:13]
	v_add_f64 v[12:13], v[52:53], v[76:77]
	v_mul_f64 v[52:53], v[10:11], v[50:51]
	v_mul_f64 v[50:51], v[8:9], v[50:51]
	v_fma_f64 v[52:53], v[8:9], v[48:49], -v[52:53]
	v_fmac_f64_e32 v[50:51], v[10:11], v[48:49]
	v_add_f64 v[8:9], v[56:57], v[52:53]
	v_add_f64 v[10:11], v[50:51], v[58:59]
	ds_read_b128 v[48:51], v67 offset:496
	ds_read_b128 v[56:59], v65 offset:15872
	;; [unrolled: 1-line block ×3, first 2 shown]
	v_add_f64 v[14:15], v[14:15], v[54:55]
	s_waitcnt lgkmcnt(1)
	v_mul_f64 v[52:53], v[50:51], v[58:59]
	v_fma_f64 v[52:53], v[48:49], v[56:57], -v[52:53]
	v_add_f64 v[60:61], v[60:61], v[52:53]
	s_waitcnt lgkmcnt(0)
	v_mul_f64 v[52:53], v[50:51], v[78:79]
	v_mul_f64 v[54:55], v[48:49], v[58:59]
	v_fma_f64 v[52:53], v[48:49], v[76:77], -v[52:53]
	v_mul_f64 v[48:49], v[48:49], v[78:79]
	v_fmac_f64_e32 v[54:55], v[50:51], v[56:57]
	v_fmac_f64_e32 v[48:49], v[50:51], v[76:77]
	v_add_f64 v[62:63], v[54:55], v[62:63]
	v_add_f64 v[54:55], v[48:49], v[82:83]
	ds_read_b128 v[48:51], v67 offset:8688
	v_add_f64 v[52:53], v[80:81], v[52:53]
	s_waitcnt lgkmcnt(0)
	s_barrier
	v_mul_f64 v[80:81], v[50:51], v[58:59]
	v_mul_f64 v[58:59], v[48:49], v[58:59]
	v_fma_f64 v[80:81], v[48:49], v[56:57], -v[80:81]
	v_fmac_f64_e32 v[58:59], v[50:51], v[56:57]
	v_add_f64 v[56:57], v[12:13], v[80:81]
	v_add_f64 v[58:59], v[58:59], v[14:15]
	v_mul_f64 v[12:13], v[50:51], v[78:79]
	v_mul_f64 v[14:15], v[48:49], v[78:79]
	v_fma_f64 v[12:13], v[48:49], v[76:77], -v[12:13]
	v_fmac_f64_e32 v[14:15], v[50:51], v[76:77]
	v_add_f64 v[50:51], v[8:9], v[12:13]
	v_add_f64 v[48:49], v[14:15], v[10:11]
	s_cbranch_scc1 .LBB112_56
.LBB112_7:                              ;   Parent Loop BB112_4 Depth=1
                                        ; =>  This Inner Loop Header: Depth=2
	v_lshl_add_u64 v[12:13], v[16:17], 0, s[22:23]
	v_cmp_le_i64_e64 s[12:13], s[42:43], v[12:13]
	v_cmp_eq_u64_e64 s[4:5], s[22:23], v[24:25]
	v_cmp_lt_i64_e64 s[10:11], v[12:13], v[18:19]
	s_and_b64 s[26:27], s[40:41], s[4:5]
	s_or_b64 s[4:5], s[12:13], s[10:11]
	s_or_b64 s[4:5], s[4:5], s[26:27]
	v_lshl_add_u64 v[8:9], v[36:37], 0, s[20:21]
	s_nor_b64 s[4:5], s[0:1], s[4:5]
	s_and_saveexec_b64 s[24:25], s[4:5]
	s_xor_b64 s[4:5], exec, s[24:25]
	s_cbranch_execz .LBB112_9
; %bb.8:                                ;   in Loop: Header=BB112_7 Depth=2
	global_load_dwordx4 v[76:79], v[8:9], off offset:-256
	s_waitcnt vmcnt(0)
	ds_write2_b64 v66, v[76:77], v[78:79] offset1:1
.LBB112_9:                              ;   in Loop: Header=BB112_7 Depth=2
	s_or_saveexec_b64 s[4:5], s[4:5]
	s_xor_b64 s[24:25], s[26:27], -1
	s_xor_b64 exec, exec, s[4:5]
	s_cbranch_execz .LBB112_15
; %bb.10:                               ;   in Loop: Header=BB112_7 Depth=2
	s_and_saveexec_b64 s[30:31], s[24:25]
	s_xor_b64 s[30:31], exec, s[30:31]
; %bb.11:                               ;   in Loop: Header=BB112_7 Depth=2
	ds_write_b128 v66, v[0:3]
; %bb.12:                               ;   in Loop: Header=BB112_7 Depth=2
	s_andn2_saveexec_b64 s[30:31], s[30:31]
; %bb.13:                               ;   in Loop: Header=BB112_7 Depth=2
	ds_write_b128 v66, v[4:7]
; %bb.14:                               ;   in Loop: Header=BB112_7 Depth=2
	s_or_b64 exec, exec, s[30:31]
.LBB112_15:                             ;   in Loop: Header=BB112_7 Depth=2
	s_or_b64 exec, exec, s[4:5]
	v_cmp_eq_u64_e64 s[4:5], s[22:23], v[26:27]
	s_and_b64 s[30:31], s[40:41], s[4:5]
	v_cmp_gt_i64_e64 s[4:5], v[20:21], v[12:13]
	s_or_b64 s[4:5], s[12:13], s[4:5]
	s_or_b64 s[4:5], s[4:5], s[30:31]
	s_nor_b64 s[4:5], s[14:15], s[4:5]
	v_lshl_add_u64 v[10:11], v[38:39], 0, s[20:21]
	s_and_saveexec_b64 s[12:13], s[4:5]
	s_xor_b64 s[4:5], exec, s[12:13]
	s_cbranch_execz .LBB112_17
; %bb.16:                               ;   in Loop: Header=BB112_7 Depth=2
	global_load_dwordx4 v[76:79], v[10:11], off
	s_waitcnt vmcnt(0)
	ds_write2_b64 v69, v[76:77], v[78:79] offset1:1
.LBB112_17:                             ;   in Loop: Header=BB112_7 Depth=2
	s_andn2_saveexec_b64 s[4:5], s[4:5]
	s_cbranch_execz .LBB112_23
; %bb.18:                               ;   in Loop: Header=BB112_7 Depth=2
	s_xor_b64 s[12:13], s[30:31], -1
	s_and_saveexec_b64 s[30:31], s[12:13]
	s_xor_b64 s[12:13], exec, s[30:31]
; %bb.19:                               ;   in Loop: Header=BB112_7 Depth=2
	ds_write_b128 v66, v[0:3] offset:256
; %bb.20:                               ;   in Loop: Header=BB112_7 Depth=2
	s_andn2_saveexec_b64 s[12:13], s[12:13]
; %bb.21:                               ;   in Loop: Header=BB112_7 Depth=2
	ds_write_b128 v66, v[4:7] offset:256
; %bb.22:                               ;   in Loop: Header=BB112_7 Depth=2
	s_or_b64 exec, exec, s[12:13]
.LBB112_23:                             ;   in Loop: Header=BB112_7 Depth=2
	s_or_b64 exec, exec, s[4:5]
	v_lshl_add_u64 v[12:13], v[12:13], 0, 16
	v_cmp_eq_u64_e64 s[4:5], s[22:23], v[28:29]
	v_cmp_le_i64_e64 s[12:13], s[42:43], v[12:13]
	s_and_b64 s[30:31], s[40:41], s[4:5]
	v_cmp_lt_i64_e64 s[4:5], v[12:13], v[18:19]
	s_or_b64 s[4:5], s[12:13], s[4:5]
	s_or_b64 s[4:5], s[4:5], s[30:31]
	s_nor_b64 s[4:5], s[0:1], s[4:5]
	s_and_saveexec_b64 s[56:57], s[4:5]
	s_xor_b64 s[4:5], exec, s[56:57]
	s_cbranch_execz .LBB112_25
; %bb.24:                               ;   in Loop: Header=BB112_7 Depth=2
	global_load_dwordx4 v[12:15], v[8:9], off
	s_waitcnt vmcnt(0)
	ds_write2_b64 v70, v[12:13], v[14:15] offset1:1
.LBB112_25:                             ;   in Loop: Header=BB112_7 Depth=2
	s_andn2_saveexec_b64 s[4:5], s[4:5]
	s_cbranch_execz .LBB112_31
; %bb.26:                               ;   in Loop: Header=BB112_7 Depth=2
	s_xor_b64 s[30:31], s[30:31], -1
	s_and_saveexec_b64 s[56:57], s[30:31]
	s_xor_b64 s[30:31], exec, s[56:57]
; %bb.27:                               ;   in Loop: Header=BB112_7 Depth=2
	ds_write_b128 v66, v[0:3] offset:8192
; %bb.28:                               ;   in Loop: Header=BB112_7 Depth=2
	s_andn2_saveexec_b64 s[30:31], s[30:31]
; %bb.29:                               ;   in Loop: Header=BB112_7 Depth=2
	ds_write_b128 v66, v[4:7] offset:8192
; %bb.30:                               ;   in Loop: Header=BB112_7 Depth=2
	s_or_b64 exec, exec, s[30:31]
.LBB112_31:                             ;   in Loop: Header=BB112_7 Depth=2
	s_or_b64 exec, exec, s[4:5]
	s_or_b64 s[4:5], s[12:13], s[10:11]
	s_or_b64 s[4:5], s[4:5], s[26:27]
	s_nor_b64 s[4:5], s[14:15], s[4:5]
	s_and_saveexec_b64 s[10:11], s[4:5]
	s_xor_b64 s[4:5], exec, s[10:11]
	s_cbranch_execz .LBB112_33
; %bb.32:                               ;   in Loop: Header=BB112_7 Depth=2
	global_load_dwordx4 v[8:11], v[10:11], off offset:256
	s_waitcnt vmcnt(0)
	ds_write2_b64 v71, v[8:9], v[10:11] offset1:1
.LBB112_33:                             ;   in Loop: Header=BB112_7 Depth=2
	s_andn2_saveexec_b64 s[4:5], s[4:5]
	s_cbranch_execz .LBB112_39
; %bb.34:                               ;   in Loop: Header=BB112_7 Depth=2
	s_and_saveexec_b64 s[10:11], s[24:25]
	s_xor_b64 s[10:11], exec, s[10:11]
; %bb.35:                               ;   in Loop: Header=BB112_7 Depth=2
	ds_write_b128 v66, v[0:3] offset:8448
; %bb.36:                               ;   in Loop: Header=BB112_7 Depth=2
	s_andn2_saveexec_b64 s[10:11], s[10:11]
; %bb.37:                               ;   in Loop: Header=BB112_7 Depth=2
	ds_write_b128 v66, v[4:7] offset:8448
; %bb.38:                               ;   in Loop: Header=BB112_7 Depth=2
	s_or_b64 exec, exec, s[10:11]
.LBB112_39:                             ;   in Loop: Header=BB112_7 Depth=2
	s_or_b64 exec, exec, s[4:5]
	v_lshl_add_u64 v[10:11], v[18:19], 0, s[22:23]
	v_cmp_gt_i64_e64 s[10:11], s[42:43], v[10:11]
	s_and_b64 s[4:5], vcc, s[10:11]
	s_xor_b64 s[4:5], s[4:5], -1
	s_and_saveexec_b64 s[12:13], s[4:5]
	s_xor_b64 s[4:5], exec, s[12:13]
; %bb.40:                               ;   in Loop: Header=BB112_7 Depth=2
	ds_write_b128 v68, v[0:3]
; %bb.41:                               ;   in Loop: Header=BB112_7 Depth=2
	s_or_saveexec_b64 s[4:5], s[4:5]
	v_lshl_add_u64 v[8:9], v[44:45], 0, s[20:21]
	s_xor_b64 exec, exec, s[4:5]
	s_cbranch_execz .LBB112_43
; %bb.42:                               ;   in Loop: Header=BB112_7 Depth=2
	global_load_dwordx4 v[12:15], v[8:9], off offset:-256
	s_waitcnt vmcnt(0)
	ds_write2_b64 v68, v[12:13], v[14:15] offset1:1
.LBB112_43:                             ;   in Loop: Header=BB112_7 Depth=2
	s_or_b64 exec, exec, s[4:5]
	v_cmp_gt_i64_e64 s[12:13], s[54:55], v[10:11]
	s_and_b64 s[4:5], vcc, s[12:13]
	s_xor_b64 s[4:5], s[4:5], -1
	s_and_saveexec_b64 s[24:25], s[4:5]
	s_xor_b64 s[4:5], exec, s[24:25]
; %bb.44:                               ;   in Loop: Header=BB112_7 Depth=2
	ds_write_b128 v68, v[0:3] offset:256
                                        ; implicit-def: $vgpr8_vgpr9
; %bb.45:                               ;   in Loop: Header=BB112_7 Depth=2
	s_andn2_saveexec_b64 s[4:5], s[4:5]
	s_cbranch_execz .LBB112_47
; %bb.46:                               ;   in Loop: Header=BB112_7 Depth=2
	global_load_dwordx4 v[8:11], v[8:9], off
	s_waitcnt vmcnt(0)
	ds_write2_b64 v72, v[8:9], v[10:11] offset1:1
.LBB112_47:                             ;   in Loop: Header=BB112_7 Depth=2
	s_or_b64 exec, exec, s[4:5]
	s_and_b64 s[4:5], s[8:9], s[10:11]
	s_xor_b64 s[4:5], s[4:5], -1
	s_and_saveexec_b64 s[10:11], s[4:5]
	s_xor_b64 s[4:5], exec, s[10:11]
; %bb.48:                               ;   in Loop: Header=BB112_7 Depth=2
	ds_write_b128 v68, v[0:3] offset:8192
; %bb.49:                               ;   in Loop: Header=BB112_7 Depth=2
	s_or_saveexec_b64 s[4:5], s[4:5]
	v_lshl_add_u64 v[8:9], v[46:47], 0, s[20:21]
	s_xor_b64 exec, exec, s[4:5]
	s_cbranch_execz .LBB112_51
; %bb.50:                               ;   in Loop: Header=BB112_7 Depth=2
	global_load_dwordx4 v[10:13], v[8:9], off
	s_waitcnt vmcnt(0)
	ds_write2_b64 v73, v[10:11], v[12:13] offset1:1
.LBB112_51:                             ;   in Loop: Header=BB112_7 Depth=2
	s_or_b64 exec, exec, s[4:5]
	s_and_b64 s[4:5], s[8:9], s[12:13]
	s_xor_b64 s[4:5], s[4:5], -1
	s_and_saveexec_b64 s[10:11], s[4:5]
	s_xor_b64 s[4:5], exec, s[10:11]
; %bb.52:                               ;   in Loop: Header=BB112_7 Depth=2
	ds_write_b128 v68, v[0:3] offset:8448
                                        ; implicit-def: $vgpr8_vgpr9
; %bb.53:                               ;   in Loop: Header=BB112_7 Depth=2
	s_andn2_saveexec_b64 s[4:5], s[4:5]
	s_cbranch_execz .LBB112_6
; %bb.54:                               ;   in Loop: Header=BB112_7 Depth=2
	global_load_dwordx4 v[8:11], v[8:9], off offset:256
	s_waitcnt vmcnt(0)
	ds_write2_b64 v74, v[8:9], v[10:11] offset1:1
	s_branch .LBB112_6
.LBB112_55:                             ;   in Loop: Header=BB112_4 Depth=1
	v_mov_b64_e32 v[60:61], 0
	v_mov_b64_e32 v[62:63], 0
	;; [unrolled: 1-line block ×8, first 2 shown]
.LBB112_56:                             ;   in Loop: Header=BB112_4 Depth=1
	v_mul_lo_u32 v10, s53, v42
	v_mul_lo_u32 v11, s52, v43
	v_mad_u64_u32 v[8:9], s[4:5], s52, v42, 0
	v_cmp_gt_i32_e32 vcc, s50, v42
	v_add3_u32 v9, v9, v11, v10
	v_lshl_add_u64 v[8:9], v[8:9], 4, s[18:19]
	s_and_b64 s[8:9], s[16:17], vcc
	s_and_saveexec_b64 s[4:5], s[8:9]
	s_cbranch_execz .LBB112_58
; %bb.57:                               ;   in Loop: Header=BB112_4 Depth=1
	v_lshl_add_u64 v[14:15], v[18:19], 4, v[8:9]
	global_load_dwordx4 v[10:13], v[14:15], off
	v_mul_f64 v[44:45], s[46:47], v[62:63]
	v_mul_f64 v[46:47], s[44:45], v[62:63]
	v_fma_f64 v[44:45], s[44:45], v[60:61], -v[44:45]
	v_fmac_f64_e32 v[46:47], s[46:47], v[60:61]
	s_waitcnt vmcnt(0)
	v_add_f64 v[10:11], v[10:11], v[44:45]
	v_add_f64 v[12:13], v[46:47], v[12:13]
	global_store_dwordx4 v[14:15], v[10:13], off
.LBB112_58:                             ;   in Loop: Header=BB112_4 Depth=1
	s_or_b64 exec, exec, s[4:5]
	s_and_b64 s[8:9], s[6:7], vcc
	s_and_saveexec_b64 s[4:5], s[8:9]
	s_cbranch_execz .LBB112_60
; %bb.59:                               ;   in Loop: Header=BB112_4 Depth=1
	v_lshl_add_u64 v[12:13], v[22:23], 4, v[8:9]
	global_load_dwordx4 v[8:11], v[12:13], off
	v_mul_f64 v[14:15], s[46:47], v[54:55]
	v_mul_f64 v[44:45], s[44:45], v[54:55]
	v_fma_f64 v[14:15], s[44:45], v[52:53], -v[14:15]
	v_fmac_f64_e32 v[44:45], s[46:47], v[52:53]
	s_waitcnt vmcnt(0)
	v_add_f64 v[8:9], v[8:9], v[14:15]
	v_add_f64 v[10:11], v[44:45], v[10:11]
	global_store_dwordx4 v[12:13], v[8:11], off
.LBB112_60:                             ;   in Loop: Header=BB112_4 Depth=1
	s_or_b64 exec, exec, s[4:5]
	s_nop 0
	v_add_u32_e32 v8, 16, v42
	v_ashrrev_i32_e32 v9, 31, v8
	v_cmp_gt_i32_e32 vcc, s50, v8
	v_mul_lo_u32 v10, s52, v9
	v_mul_lo_u32 v11, s53, v8
	v_mad_u64_u32 v[8:9], s[4:5], s52, v8, 0
	v_add3_u32 v9, v9, v10, v11
	v_lshl_add_u64 v[8:9], v[8:9], 4, s[18:19]
	s_and_b64 s[8:9], s[16:17], vcc
	s_and_saveexec_b64 s[4:5], s[8:9]
	s_cbranch_execz .LBB112_62
; %bb.61:                               ;   in Loop: Header=BB112_4 Depth=1
	v_lshl_add_u64 v[14:15], v[18:19], 4, v[8:9]
	global_load_dwordx4 v[10:13], v[14:15], off
	v_mul_f64 v[42:43], s[46:47], v[58:59]
	v_mul_f64 v[44:45], s[44:45], v[58:59]
	v_fma_f64 v[42:43], s[44:45], v[56:57], -v[42:43]
	v_fmac_f64_e32 v[44:45], s[46:47], v[56:57]
	s_waitcnt vmcnt(0)
	v_add_f64 v[10:11], v[10:11], v[42:43]
	v_add_f64 v[12:13], v[44:45], v[12:13]
	global_store_dwordx4 v[14:15], v[10:13], off
.LBB112_62:                             ;   in Loop: Header=BB112_4 Depth=1
	s_or_b64 exec, exec, s[4:5]
	s_and_b64 s[8:9], s[6:7], vcc
	s_and_saveexec_b64 s[4:5], s[8:9]
	s_cbranch_execz .LBB112_3
; %bb.63:                               ;   in Loop: Header=BB112_4 Depth=1
	v_lshl_add_u64 v[12:13], v[22:23], 4, v[8:9]
	global_load_dwordx4 v[8:11], v[12:13], off
	v_mul_f64 v[14:15], s[46:47], v[48:49]
	v_mul_f64 v[42:43], s[44:45], v[48:49]
	v_fma_f64 v[14:15], s[44:45], v[50:51], -v[14:15]
	v_fmac_f64_e32 v[42:43], s[46:47], v[50:51]
	s_waitcnt vmcnt(0)
	v_add_f64 v[8:9], v[8:9], v[14:15]
	v_add_f64 v[10:11], v[42:43], v[10:11]
	global_store_dwordx4 v[12:13], v[8:11], off
	s_branch .LBB112_3
.LBB112_64:
	s_endpgm
	.section	.rodata,"a",@progbits
	.p2align	6, 0x0
	.amdhsa_kernel _ZL30rocblas_trmm_outofplace_kernelI19rocblas_complex_numIdELi32ELi2ELb1ELb0ELb1ELb0EPKS1_S2_S1_Ev17rocblas_diagonal_iiT6_lPT7_lllS7_lllPT8_llli
		.amdhsa_group_segment_fixed_size 32768
		.amdhsa_private_segment_fixed_size 0
		.amdhsa_kernarg_size 392
		.amdhsa_user_sgpr_count 2
		.amdhsa_user_sgpr_dispatch_ptr 0
		.amdhsa_user_sgpr_queue_ptr 0
		.amdhsa_user_sgpr_kernarg_segment_ptr 1
		.amdhsa_user_sgpr_dispatch_id 0
		.amdhsa_user_sgpr_kernarg_preload_length 0
		.amdhsa_user_sgpr_kernarg_preload_offset 0
		.amdhsa_user_sgpr_private_segment_size 0
		.amdhsa_uses_dynamic_stack 0
		.amdhsa_enable_private_segment 0
		.amdhsa_system_sgpr_workgroup_id_x 1
		.amdhsa_system_sgpr_workgroup_id_y 1
		.amdhsa_system_sgpr_workgroup_id_z 1
		.amdhsa_system_sgpr_workgroup_info 0
		.amdhsa_system_vgpr_workitem_id 1
		.amdhsa_next_free_vgpr 96
		.amdhsa_next_free_sgpr 58
		.amdhsa_accum_offset 96
		.amdhsa_reserve_vcc 1
		.amdhsa_float_round_mode_32 0
		.amdhsa_float_round_mode_16_64 0
		.amdhsa_float_denorm_mode_32 3
		.amdhsa_float_denorm_mode_16_64 3
		.amdhsa_dx10_clamp 1
		.amdhsa_ieee_mode 1
		.amdhsa_fp16_overflow 0
		.amdhsa_tg_split 0
		.amdhsa_exception_fp_ieee_invalid_op 0
		.amdhsa_exception_fp_denorm_src 0
		.amdhsa_exception_fp_ieee_div_zero 0
		.amdhsa_exception_fp_ieee_overflow 0
		.amdhsa_exception_fp_ieee_underflow 0
		.amdhsa_exception_fp_ieee_inexact 0
		.amdhsa_exception_int_div_zero 0
	.end_amdhsa_kernel
	.section	.text._ZL30rocblas_trmm_outofplace_kernelI19rocblas_complex_numIdELi32ELi2ELb1ELb0ELb1ELb0EPKS1_S2_S1_Ev17rocblas_diagonal_iiT6_lPT7_lllS7_lllPT8_llli,"axG",@progbits,_ZL30rocblas_trmm_outofplace_kernelI19rocblas_complex_numIdELi32ELi2ELb1ELb0ELb1ELb0EPKS1_S2_S1_Ev17rocblas_diagonal_iiT6_lPT7_lllS7_lllPT8_llli,comdat
.Lfunc_end112:
	.size	_ZL30rocblas_trmm_outofplace_kernelI19rocblas_complex_numIdELi32ELi2ELb1ELb0ELb1ELb0EPKS1_S2_S1_Ev17rocblas_diagonal_iiT6_lPT7_lllS7_lllPT8_llli, .Lfunc_end112-_ZL30rocblas_trmm_outofplace_kernelI19rocblas_complex_numIdELi32ELi2ELb1ELb0ELb1ELb0EPKS1_S2_S1_Ev17rocblas_diagonal_iiT6_lPT7_lllS7_lllPT8_llli
                                        ; -- End function
	.set _ZL30rocblas_trmm_outofplace_kernelI19rocblas_complex_numIdELi32ELi2ELb1ELb0ELb1ELb0EPKS1_S2_S1_Ev17rocblas_diagonal_iiT6_lPT7_lllS7_lllPT8_llli.num_vgpr, 96
	.set _ZL30rocblas_trmm_outofplace_kernelI19rocblas_complex_numIdELi32ELi2ELb1ELb0ELb1ELb0EPKS1_S2_S1_Ev17rocblas_diagonal_iiT6_lPT7_lllS7_lllPT8_llli.num_agpr, 0
	.set _ZL30rocblas_trmm_outofplace_kernelI19rocblas_complex_numIdELi32ELi2ELb1ELb0ELb1ELb0EPKS1_S2_S1_Ev17rocblas_diagonal_iiT6_lPT7_lllS7_lllPT8_llli.numbered_sgpr, 58
	.set _ZL30rocblas_trmm_outofplace_kernelI19rocblas_complex_numIdELi32ELi2ELb1ELb0ELb1ELb0EPKS1_S2_S1_Ev17rocblas_diagonal_iiT6_lPT7_lllS7_lllPT8_llli.num_named_barrier, 0
	.set _ZL30rocblas_trmm_outofplace_kernelI19rocblas_complex_numIdELi32ELi2ELb1ELb0ELb1ELb0EPKS1_S2_S1_Ev17rocblas_diagonal_iiT6_lPT7_lllS7_lllPT8_llli.private_seg_size, 0
	.set _ZL30rocblas_trmm_outofplace_kernelI19rocblas_complex_numIdELi32ELi2ELb1ELb0ELb1ELb0EPKS1_S2_S1_Ev17rocblas_diagonal_iiT6_lPT7_lllS7_lllPT8_llli.uses_vcc, 1
	.set _ZL30rocblas_trmm_outofplace_kernelI19rocblas_complex_numIdELi32ELi2ELb1ELb0ELb1ELb0EPKS1_S2_S1_Ev17rocblas_diagonal_iiT6_lPT7_lllS7_lllPT8_llli.uses_flat_scratch, 0
	.set _ZL30rocblas_trmm_outofplace_kernelI19rocblas_complex_numIdELi32ELi2ELb1ELb0ELb1ELb0EPKS1_S2_S1_Ev17rocblas_diagonal_iiT6_lPT7_lllS7_lllPT8_llli.has_dyn_sized_stack, 0
	.set _ZL30rocblas_trmm_outofplace_kernelI19rocblas_complex_numIdELi32ELi2ELb1ELb0ELb1ELb0EPKS1_S2_S1_Ev17rocblas_diagonal_iiT6_lPT7_lllS7_lllPT8_llli.has_recursion, 0
	.set _ZL30rocblas_trmm_outofplace_kernelI19rocblas_complex_numIdELi32ELi2ELb1ELb0ELb1ELb0EPKS1_S2_S1_Ev17rocblas_diagonal_iiT6_lPT7_lllS7_lllPT8_llli.has_indirect_call, 0
	.section	.AMDGPU.csdata,"",@progbits
; Kernel info:
; codeLenInByte = 9216
; TotalNumSgprs: 64
; NumVgprs: 96
; NumAgprs: 0
; TotalNumVgprs: 96
; ScratchSize: 0
; MemoryBound: 0
; FloatMode: 240
; IeeeMode: 1
; LDSByteSize: 32768 bytes/workgroup (compile time only)
; SGPRBlocks: 7
; VGPRBlocks: 11
; NumSGPRsForWavesPerEU: 64
; NumVGPRsForWavesPerEU: 96
; AccumOffset: 96
; Occupancy: 5
; WaveLimiterHint : 0
; COMPUTE_PGM_RSRC2:SCRATCH_EN: 0
; COMPUTE_PGM_RSRC2:USER_SGPR: 2
; COMPUTE_PGM_RSRC2:TRAP_HANDLER: 0
; COMPUTE_PGM_RSRC2:TGID_X_EN: 1
; COMPUTE_PGM_RSRC2:TGID_Y_EN: 1
; COMPUTE_PGM_RSRC2:TGID_Z_EN: 1
; COMPUTE_PGM_RSRC2:TIDIG_COMP_CNT: 1
; COMPUTE_PGM_RSRC3_GFX90A:ACCUM_OFFSET: 23
; COMPUTE_PGM_RSRC3_GFX90A:TG_SPLIT: 0
	.section	.text._ZL30rocblas_trmm_outofplace_kernelI19rocblas_complex_numIdELi32ELi2ELb1ELb0ELb1ELb0ES1_KS1_S1_Ev17rocblas_diagonal_iiT6_lPT7_lllS6_lllPT8_llli,"axG",@progbits,_ZL30rocblas_trmm_outofplace_kernelI19rocblas_complex_numIdELi32ELi2ELb1ELb0ELb1ELb0ES1_KS1_S1_Ev17rocblas_diagonal_iiT6_lPT7_lllS6_lllPT8_llli,comdat
	.globl	_ZL30rocblas_trmm_outofplace_kernelI19rocblas_complex_numIdELi32ELi2ELb1ELb0ELb1ELb0ES1_KS1_S1_Ev17rocblas_diagonal_iiT6_lPT7_lllS6_lllPT8_llli ; -- Begin function _ZL30rocblas_trmm_outofplace_kernelI19rocblas_complex_numIdELi32ELi2ELb1ELb0ELb1ELb0ES1_KS1_S1_Ev17rocblas_diagonal_iiT6_lPT7_lllS6_lllPT8_llli
	.p2align	8
	.type	_ZL30rocblas_trmm_outofplace_kernelI19rocblas_complex_numIdELi32ELi2ELb1ELb0ELb1ELb0ES1_KS1_S1_Ev17rocblas_diagonal_iiT6_lPT7_lllS6_lllPT8_llli,@function
_ZL30rocblas_trmm_outofplace_kernelI19rocblas_complex_numIdELi32ELi2ELb1ELb0ELb1ELb0ES1_KS1_S1_Ev17rocblas_diagonal_iiT6_lPT7_lllS6_lllPT8_llli: ; @_ZL30rocblas_trmm_outofplace_kernelI19rocblas_complex_numIdELi32ELi2ELb1ELb0ELb1ELb0ES1_KS1_S1_Ev17rocblas_diagonal_iiT6_lPT7_lllS6_lllPT8_llli
; %bb.0:
	s_load_dwordx4 s[24:27], s[0:1], 0x10
	s_waitcnt lgkmcnt(0)
	v_cmp_eq_f64_e64 s[6:7], s[24:25], 0
	v_cmp_eq_f64_e64 s[8:9], s[26:27], 0
	s_and_b64 s[6:7], s[6:7], s[8:9]
	s_and_b64 vcc, exec, s[6:7]
	s_cbranch_vccnz .LBB113_64
; %bb.1:
	s_load_dwordx4 s[28:31], s[0:1], 0x0
	s_waitcnt lgkmcnt(0)
	s_add_i32 s5, s30, -1
	s_ashr_i32 s6, s5, 31
	s_lshr_b32 s6, s6, 27
	s_add_i32 s5, s5, s6
	s_ashr_i32 s31, s5, 5
	s_cmp_gt_i32 s3, s31
	s_cbranch_scc1 .LBB113_64
; %bb.2:
	s_load_dwordx8 s[16:23], s[0:1], 0x68
	v_bfe_u32 v64, v0, 10, 10
	s_load_dwordx16 s[36:51], s[0:1], 0x28
	v_and_b32_e32 v0, 0x3ff, v0
	s_load_dword s56, s[0:1], 0x94
	s_waitcnt lgkmcnt(0)
	s_mul_i32 s5, s23, s4
	s_mul_hi_u32 s7, s22, s4
	s_mul_i32 s6, s22, s4
	s_add_i32 s7, s7, s5
	s_lshl_b64 s[6:7], s[6:7], 4
	s_add_u32 s5, s16, s6
	s_addc_u32 s8, s17, s7
	s_lshl_b64 s[6:7], s[18:19], 4
	s_add_u32 s22, s5, s6
	s_addc_u32 s23, s8, s7
	s_lshl_b32 s2, s2, 5
	v_add_u32_e32 v16, s2, v64
	v_add_u32_e32 v18, s2, v0
	s_sub_i32 s2, s29, s2
	s_cmp_gt_i32 s2, 0
	s_cselect_b64 s[8:9], -1, 0
	s_cmpk_eq_i32 s28, 0x84
	s_cselect_b64 s[34:35], -1, 0
	s_ashr_i32 s53, s29, 31
	s_ashr_i32 s33, s30, 31
	s_add_u32 s54, s29, -16
	s_mul_i32 s5, s51, s4
	s_mul_hi_u32 s10, s50, s4
	s_addc_u32 s55, s53, -1
	s_add_i32 s11, s10, s5
	s_mul_i32 s10, s50, s4
	s_lshl_b64 s[10:11], s[10:11], 4
	s_lshl_b64 s[12:13], s[46:47], 4
	s_add_u32 s5, s10, s12
	s_addc_u32 s11, s11, s13
	v_mad_u64_u32 v[2:3], s[12:13], s40, v18, 0
	s_add_u32 s10, s44, s5
	s_mul_i32 s5, s43, s4
	s_mul_hi_u32 s12, s42, s4
	v_add_u32_e32 v22, 16, v18
	s_addc_u32 s11, s45, s11
	s_add_i32 s5, s12, s5
	s_mul_i32 s4, s42, s4
	v_ashrrev_i32_e32 v19, 31, v18
	s_mov_b32 s52, s29
	v_cmp_le_i32_e64 s[0:1], s29, v18
	v_cmp_gt_i32_e64 s[18:19], s29, v18
	v_cmp_gt_i32_e64 s[6:7], s29, v22
	s_lshl_b64 s[28:29], s[48:49], 4
	s_lshl_b32 s46, s56, 5
	s_lshl_b64 s[4:5], s[4:5], 4
	s_lshl_b64 s[12:13], s[38:39], 4
	v_mul_lo_u32 v4, s40, v19
	v_mul_lo_u32 v5, s41, v18
	s_add_u32 s4, s12, s4
	v_ashrrev_i32_e32 v17, 31, v16
	v_lshlrev_b32_e32 v1, 9, v64
	v_lshlrev_b32_e32 v65, 4, v0
	v_add3_u32 v3, v3, v4, v5
	s_addc_u32 s5, s13, s5
	v_add_u32_e32 v66, v65, v1
	v_add_u32_e32 v67, 0x4000, v1
	v_lshlrev_b64 v[0:1], 4, v[18:19]
	v_lshl_add_u64 v[2:3], v[2:3], 4, s[4:5]
	v_lshlrev_b64 v[6:7], 4, v[16:17]
	v_lshl_add_u64 v[30:31], s[10:11], 0, v[0:1]
	s_mov_b64 s[10:11], 0x100
	v_lshl_add_u64 v[2:3], v[2:3], 0, v[6:7]
	v_mov_b64_e32 v[4:5], s[4:5]
	v_lshl_add_u64 v[2:3], s[36:37], 0, v[2:3]
	v_lshl_add_u64 v[0:1], v[0:1], 0, s[10:11]
	;; [unrolled: 1-line block ×3, first 2 shown]
	v_mul_lo_u32 v2, s40, v1
	v_mul_lo_u32 v3, s41, v0
	v_mad_u64_u32 v[0:1], s[4:5], s40, v0, v[4:5]
	v_add3_u32 v1, v3, v1, v2
	v_lshl_add_u64 v[0:1], v[0:1], 0, v[6:7]
	v_sub_co_u32_e32 v24, vcc, v18, v16
	v_lshl_add_u64 v[38:39], s[36:37], 0, v[0:1]
	v_cndmask_b32_e64 v0, 0, 1, s[8:9]
	v_add_u32_e32 v68, v67, v65
	v_lshl_add_u64 v[20:21], v[18:19], 0, 16
	v_subb_co_u32_e32 v25, vcc, v19, v17, vcc
	v_cmp_ne_u32_e64 s[8:9], 1, v0
	v_mov_b32_e32 v0, 0
	v_cmp_le_i64_e64 s[16:17], s[52:53], v[20:21]
	v_add_u32_e32 v69, 0x100, v66
	v_add_u32_e32 v70, 0x2000, v66
	;; [unrolled: 1-line block ×6, first 2 shown]
	v_ashrrev_i32_e32 v23, 31, v22
	v_lshl_add_u64 v[26:27], v[24:25], 0, 16
	v_lshl_add_u64 v[28:29], v[24:25], 0, -16
	v_lshl_add_u64 v[32:33], v[30:31], 0, s[10:11]
	v_lshl_add_u32 v34, s3, 5, v64
	v_mov_b64_e32 v[40:41], 0x100
	v_mov_b32_e32 v1, v0
	v_mov_b32_e32 v2, v0
	;; [unrolled: 1-line block ×7, first 2 shown]
	s_branch .LBB113_4
.LBB113_3:                              ;   in Loop: Header=BB113_4 Depth=1
	s_or_b64 exec, exec, s[4:5]
	s_add_i32 s3, s56, s3
	s_cmp_le_i32 s3, s31
	v_add_u32_e32 v34, s46, v34
	s_cbranch_scc0 .LBB113_64
.LBB113_4:                              ; =>This Loop Header: Depth=1
                                        ;     Child Loop BB113_7 Depth 2
	v_lshl_add_u32 v42, s3, 5, v64
	s_and_b64 vcc, exec, s[8:9]
	v_ashrrev_i32_e32 v43, 31, v42
	s_cbranch_vccnz .LBB113_55
; %bb.5:                                ;   in Loop: Header=BB113_4 Depth=1
	v_ashrrev_i32_e32 v35, 31, v34
	v_mad_u64_u32 v[44:45], s[4:5], s28, v34, v[32:33]
	v_mul_lo_u32 v8, s29, v34
	v_mul_lo_u32 v9, s28, v35
	v_add3_u32 v45, v8, v45, v9
	v_lshl_add_u64 v[8:9], v[34:35], 4, v[40:41]
	v_mul_lo_u32 v9, s48, v9
	v_mul_lo_u32 v10, s49, v8
	v_mad_u64_u32 v[46:47], s[4:5], s48, v8, v[30:31]
	v_add3_u32 v47, v10, v47, v9
	v_mov_b32_e32 v9, s33
	v_sub_co_u32_e32 v8, vcc, s30, v42
	s_mov_b64 s[36:37], 0
	s_nop 0
	v_subb_co_u32_e32 v9, vcc, v9, v43, vcc
	v_cmp_lt_i64_e32 vcc, 0, v[8:9]
	v_cmp_lt_i64_e64 s[10:11], 16, v[8:9]
	v_mov_b64_e32 v[48:49], 0
	s_mov_b64 s[38:39], 0
	v_mov_b64_e32 v[50:51], 0
	v_mov_b64_e32 v[58:59], 0
	;; [unrolled: 1-line block ×7, first 2 shown]
	s_branch .LBB113_7
.LBB113_6:                              ;   in Loop: Header=BB113_7 Depth=2
	s_or_b64 exec, exec, s[4:5]
	s_waitcnt lgkmcnt(0)
	s_barrier
	ds_read_b128 v[76:79], v67
	ds_read_b128 v[80:83], v67 offset:16
	ds_read_b128 v[12:15], v67 offset:32
	;; [unrolled: 1-line block ×3, first 2 shown]
	ds_read_b128 v[84:87], v65
	s_add_u32 s38, s38, 32
	s_addc_u32 s39, s39, 0
	s_add_u32 s36, s36, 0x200
	s_addc_u32 s37, s37, 0
	s_waitcnt lgkmcnt(0)
	v_mul_f64 v[88:89], v[78:79], v[86:87]
	v_mul_f64 v[90:91], v[76:77], v[86:87]
	v_fma_f64 v[88:89], v[76:77], v[84:85], -v[88:89]
	v_fmac_f64_e32 v[90:91], v[78:79], v[84:85]
	v_add_f64 v[88:89], v[60:61], v[88:89]
	v_add_f64 v[90:91], v[90:91], v[62:63]
	ds_read_b128 v[60:63], v65 offset:256
	s_cmp_ge_i32 s38, s2
	s_waitcnt lgkmcnt(0)
	v_mul_f64 v[92:93], v[78:79], v[62:63]
	v_fma_f64 v[92:93], v[76:77], v[60:61], -v[92:93]
	v_mul_f64 v[76:77], v[76:77], v[62:63]
	v_fmac_f64_e32 v[76:77], v[78:79], v[60:61]
	v_add_f64 v[78:79], v[52:53], v[92:93]
	v_add_f64 v[76:77], v[76:77], v[54:55]
	ds_read_b128 v[52:55], v67 offset:8192
	s_waitcnt lgkmcnt(0)
	v_mul_f64 v[92:93], v[54:55], v[86:87]
	v_fma_f64 v[92:93], v[52:53], v[84:85], -v[92:93]
	v_mul_f64 v[86:87], v[52:53], v[86:87]
	v_fmac_f64_e32 v[86:87], v[54:55], v[84:85]
	v_add_f64 v[84:85], v[56:57], v[92:93]
	v_mul_f64 v[56:57], v[54:55], v[62:63]
	v_fma_f64 v[56:57], v[52:53], v[60:61], -v[56:57]
	v_mul_f64 v[52:53], v[52:53], v[62:63]
	v_fmac_f64_e32 v[52:53], v[54:55], v[60:61]
	v_add_f64 v[94:95], v[52:53], v[48:49]
	ds_read_b128 v[52:55], v65 offset:512
	v_add_f64 v[86:87], v[86:87], v[58:59]
	v_add_f64 v[92:93], v[50:51], v[56:57]
	ds_read_b128 v[56:59], v65 offset:768
	ds_read_b128 v[60:63], v67 offset:8208
	s_waitcnt lgkmcnt(2)
	v_mul_f64 v[50:51], v[80:81], v[54:55]
	v_fmac_f64_e32 v[50:51], v[82:83], v[52:53]
	v_mul_f64 v[48:49], v[82:83], v[54:55]
	v_add_f64 v[90:91], v[50:51], v[90:91]
	s_waitcnt lgkmcnt(1)
	v_mul_f64 v[50:51], v[80:81], v[58:59]
	v_fma_f64 v[48:49], v[80:81], v[52:53], -v[48:49]
	v_fmac_f64_e32 v[50:51], v[82:83], v[56:57]
	v_add_f64 v[88:89], v[88:89], v[48:49]
	v_mul_f64 v[48:49], v[82:83], v[58:59]
	v_add_f64 v[50:51], v[50:51], v[76:77]
	s_waitcnt lgkmcnt(0)
	v_mul_f64 v[76:77], v[62:63], v[54:55]
	v_mul_f64 v[54:55], v[60:61], v[54:55]
	v_fma_f64 v[48:49], v[80:81], v[56:57], -v[48:49]
	v_fmac_f64_e32 v[54:55], v[62:63], v[52:53]
	v_add_f64 v[48:49], v[78:79], v[48:49]
	v_fma_f64 v[76:77], v[60:61], v[52:53], -v[76:77]
	v_add_f64 v[78:79], v[54:55], v[86:87]
	v_mul_f64 v[52:53], v[62:63], v[58:59]
	v_mul_f64 v[54:55], v[60:61], v[58:59]
	v_fma_f64 v[52:53], v[60:61], v[56:57], -v[52:53]
	v_fmac_f64_e32 v[54:55], v[62:63], v[56:57]
	v_add_f64 v[60:61], v[92:93], v[52:53]
	v_add_f64 v[62:63], v[54:55], v[94:95]
	ds_read_b128 v[52:55], v65 offset:1024
	v_add_f64 v[76:77], v[84:85], v[76:77]
	s_waitcnt lgkmcnt(0)
	v_mul_f64 v[56:57], v[14:15], v[54:55]
	v_mul_f64 v[58:59], v[12:13], v[54:55]
	v_fma_f64 v[56:57], v[12:13], v[52:53], -v[56:57]
	v_fmac_f64_e32 v[58:59], v[14:15], v[52:53]
	v_add_f64 v[80:81], v[88:89], v[56:57]
	v_add_f64 v[82:83], v[58:59], v[90:91]
	ds_read_b128 v[56:59], v65 offset:1280
	s_waitcnt lgkmcnt(0)
	v_mul_f64 v[84:85], v[14:15], v[58:59]
	v_fma_f64 v[84:85], v[12:13], v[56:57], -v[84:85]
	v_mul_f64 v[12:13], v[12:13], v[58:59]
	v_fmac_f64_e32 v[12:13], v[14:15], v[56:57]
	v_add_f64 v[86:87], v[12:13], v[50:51]
	ds_read_b128 v[12:15], v67 offset:8224
	v_add_f64 v[84:85], v[48:49], v[84:85]
	s_waitcnt lgkmcnt(0)
	v_mul_f64 v[48:49], v[14:15], v[54:55]
	v_fma_f64 v[48:49], v[12:13], v[52:53], -v[48:49]
	v_mul_f64 v[50:51], v[12:13], v[54:55]
	v_fmac_f64_e32 v[50:51], v[14:15], v[52:53]
	v_add_f64 v[52:53], v[76:77], v[48:49]
	v_mul_f64 v[48:49], v[14:15], v[58:59]
	v_fma_f64 v[48:49], v[12:13], v[56:57], -v[48:49]
	v_mul_f64 v[12:13], v[12:13], v[58:59]
	v_fmac_f64_e32 v[12:13], v[14:15], v[56:57]
	v_add_f64 v[58:59], v[12:13], v[62:63]
	ds_read_b128 v[12:15], v65 offset:1536
	v_add_f64 v[54:55], v[50:51], v[78:79]
	v_add_f64 v[56:57], v[60:61], v[48:49]
	s_waitcnt lgkmcnt(0)
	v_mul_f64 v[48:49], v[10:11], v[14:15]
	v_mul_f64 v[50:51], v[8:9], v[14:15]
	v_fma_f64 v[48:49], v[8:9], v[12:13], -v[48:49]
	v_fmac_f64_e32 v[50:51], v[10:11], v[12:13]
	v_add_f64 v[60:61], v[80:81], v[48:49]
	v_add_f64 v[62:63], v[50:51], v[82:83]
	ds_read_b128 v[48:51], v65 offset:1792
	s_waitcnt lgkmcnt(0)
	v_mul_f64 v[76:77], v[10:11], v[50:51]
	v_fma_f64 v[76:77], v[8:9], v[48:49], -v[76:77]
	v_mul_f64 v[8:9], v[8:9], v[50:51]
	v_fmac_f64_e32 v[8:9], v[10:11], v[48:49]
	v_add_f64 v[78:79], v[8:9], v[86:87]
	ds_read_b128 v[8:11], v67 offset:8240
	v_add_f64 v[76:77], v[84:85], v[76:77]
	s_waitcnt lgkmcnt(0)
	v_mul_f64 v[80:81], v[10:11], v[14:15]
	v_mul_f64 v[14:15], v[8:9], v[14:15]
	v_fma_f64 v[80:81], v[8:9], v[12:13], -v[80:81]
	v_fmac_f64_e32 v[14:15], v[10:11], v[12:13]
	v_mul_f64 v[12:13], v[10:11], v[50:51]
	v_fma_f64 v[12:13], v[8:9], v[48:49], -v[12:13]
	v_mul_f64 v[8:9], v[8:9], v[50:51]
	v_fmac_f64_e32 v[8:9], v[10:11], v[48:49]
	v_add_f64 v[54:55], v[14:15], v[54:55]
	v_add_f64 v[56:57], v[56:57], v[12:13]
	;; [unrolled: 1-line block ×3, first 2 shown]
	ds_read_b128 v[8:11], v67 offset:64
	ds_read_b128 v[12:15], v65 offset:2048
	v_add_f64 v[52:53], v[52:53], v[80:81]
	s_waitcnt lgkmcnt(0)
	v_mul_f64 v[48:49], v[10:11], v[14:15]
	v_mul_f64 v[50:51], v[8:9], v[14:15]
	v_fma_f64 v[48:49], v[8:9], v[12:13], -v[48:49]
	v_fmac_f64_e32 v[50:51], v[10:11], v[12:13]
	v_add_f64 v[60:61], v[60:61], v[48:49]
	v_add_f64 v[62:63], v[50:51], v[62:63]
	ds_read_b128 v[48:51], v65 offset:2304
	s_waitcnt lgkmcnt(0)
	v_mul_f64 v[80:81], v[10:11], v[50:51]
	v_fma_f64 v[80:81], v[8:9], v[48:49], -v[80:81]
	v_mul_f64 v[8:9], v[8:9], v[50:51]
	v_fmac_f64_e32 v[8:9], v[10:11], v[48:49]
	v_add_f64 v[78:79], v[8:9], v[78:79]
	ds_read_b128 v[8:11], v67 offset:8256
	v_add_f64 v[76:77], v[76:77], v[80:81]
	s_waitcnt lgkmcnt(0)
	v_mul_f64 v[80:81], v[10:11], v[14:15]
	v_fma_f64 v[80:81], v[8:9], v[12:13], -v[80:81]
	v_mul_f64 v[14:15], v[8:9], v[14:15]
	v_fmac_f64_e32 v[14:15], v[10:11], v[12:13]
	v_add_f64 v[12:13], v[52:53], v[80:81]
	v_mul_f64 v[52:53], v[10:11], v[50:51]
	v_mul_f64 v[50:51], v[8:9], v[50:51]
	v_fma_f64 v[52:53], v[8:9], v[48:49], -v[52:53]
	v_fmac_f64_e32 v[50:51], v[10:11], v[48:49]
	v_add_f64 v[14:15], v[14:15], v[54:55]
	v_add_f64 v[8:9], v[56:57], v[52:53]
	v_add_f64 v[10:11], v[50:51], v[58:59]
	ds_read_b128 v[48:51], v67 offset:80
	ds_read_b128 v[52:55], v65 offset:2560
	s_waitcnt lgkmcnt(0)
	v_mul_f64 v[56:57], v[50:51], v[54:55]
	v_mul_f64 v[58:59], v[48:49], v[54:55]
	v_fma_f64 v[56:57], v[48:49], v[52:53], -v[56:57]
	v_fmac_f64_e32 v[58:59], v[50:51], v[52:53]
	v_add_f64 v[60:61], v[60:61], v[56:57]
	v_add_f64 v[62:63], v[58:59], v[62:63]
	ds_read_b128 v[56:59], v65 offset:2816
	s_waitcnt lgkmcnt(0)
	v_mul_f64 v[80:81], v[50:51], v[58:59]
	v_fma_f64 v[80:81], v[48:49], v[56:57], -v[80:81]
	v_mul_f64 v[48:49], v[48:49], v[58:59]
	v_fmac_f64_e32 v[48:49], v[50:51], v[56:57]
	v_add_f64 v[78:79], v[48:49], v[78:79]
	ds_read_b128 v[48:51], v67 offset:8272
	v_add_f64 v[76:77], v[76:77], v[80:81]
	s_waitcnt lgkmcnt(0)
	v_mul_f64 v[80:81], v[50:51], v[54:55]
	v_mul_f64 v[54:55], v[48:49], v[54:55]
	v_fma_f64 v[80:81], v[48:49], v[52:53], -v[80:81]
	v_fmac_f64_e32 v[54:55], v[50:51], v[52:53]
	v_add_f64 v[52:53], v[12:13], v[80:81]
	v_add_f64 v[54:55], v[54:55], v[14:15]
	v_mul_f64 v[12:13], v[50:51], v[58:59]
	v_mul_f64 v[14:15], v[48:49], v[58:59]
	v_fma_f64 v[12:13], v[48:49], v[56:57], -v[12:13]
	v_fmac_f64_e32 v[14:15], v[50:51], v[56:57]
	v_add_f64 v[56:57], v[8:9], v[12:13]
	v_add_f64 v[58:59], v[14:15], v[10:11]
	ds_read_b128 v[8:11], v67 offset:96
	ds_read_b128 v[12:15], v65 offset:3072
	s_waitcnt lgkmcnt(0)
	v_mul_f64 v[48:49], v[10:11], v[14:15]
	v_mul_f64 v[50:51], v[8:9], v[14:15]
	v_fma_f64 v[48:49], v[8:9], v[12:13], -v[48:49]
	v_fmac_f64_e32 v[50:51], v[10:11], v[12:13]
	v_add_f64 v[60:61], v[60:61], v[48:49]
	v_add_f64 v[62:63], v[50:51], v[62:63]
	ds_read_b128 v[48:51], v65 offset:3328
	s_waitcnt lgkmcnt(0)
	v_mul_f64 v[80:81], v[10:11], v[50:51]
	v_fma_f64 v[80:81], v[8:9], v[48:49], -v[80:81]
	v_mul_f64 v[8:9], v[8:9], v[50:51]
	v_fmac_f64_e32 v[8:9], v[10:11], v[48:49]
	v_add_f64 v[78:79], v[8:9], v[78:79]
	ds_read_b128 v[8:11], v67 offset:8288
	v_add_f64 v[76:77], v[76:77], v[80:81]
	s_waitcnt lgkmcnt(0)
	v_mul_f64 v[80:81], v[10:11], v[14:15]
	v_fma_f64 v[80:81], v[8:9], v[12:13], -v[80:81]
	v_mul_f64 v[14:15], v[8:9], v[14:15]
	v_fmac_f64_e32 v[14:15], v[10:11], v[12:13]
	v_add_f64 v[12:13], v[52:53], v[80:81]
	v_mul_f64 v[52:53], v[10:11], v[50:51]
	v_mul_f64 v[50:51], v[8:9], v[50:51]
	v_fma_f64 v[52:53], v[8:9], v[48:49], -v[52:53]
	v_fmac_f64_e32 v[50:51], v[10:11], v[48:49]
	v_add_f64 v[14:15], v[14:15], v[54:55]
	v_add_f64 v[8:9], v[56:57], v[52:53]
	v_add_f64 v[10:11], v[50:51], v[58:59]
	ds_read_b128 v[48:51], v67 offset:112
	ds_read_b128 v[52:55], v65 offset:3584
	s_waitcnt lgkmcnt(0)
	v_mul_f64 v[56:57], v[50:51], v[54:55]
	v_mul_f64 v[58:59], v[48:49], v[54:55]
	v_fma_f64 v[56:57], v[48:49], v[52:53], -v[56:57]
	v_fmac_f64_e32 v[58:59], v[50:51], v[52:53]
	v_add_f64 v[60:61], v[60:61], v[56:57]
	v_add_f64 v[62:63], v[58:59], v[62:63]
	ds_read_b128 v[56:59], v65 offset:3840
	s_waitcnt lgkmcnt(0)
	v_mul_f64 v[80:81], v[50:51], v[58:59]
	v_fma_f64 v[80:81], v[48:49], v[56:57], -v[80:81]
	v_mul_f64 v[48:49], v[48:49], v[58:59]
	v_fmac_f64_e32 v[48:49], v[50:51], v[56:57]
	v_add_f64 v[78:79], v[48:49], v[78:79]
	ds_read_b128 v[48:51], v67 offset:8304
	v_add_f64 v[76:77], v[76:77], v[80:81]
	s_waitcnt lgkmcnt(0)
	v_mul_f64 v[80:81], v[50:51], v[54:55]
	v_mul_f64 v[54:55], v[48:49], v[54:55]
	v_fma_f64 v[80:81], v[48:49], v[52:53], -v[80:81]
	v_fmac_f64_e32 v[54:55], v[50:51], v[52:53]
	v_add_f64 v[52:53], v[12:13], v[80:81]
	v_add_f64 v[54:55], v[54:55], v[14:15]
	v_mul_f64 v[12:13], v[50:51], v[58:59]
	v_mul_f64 v[14:15], v[48:49], v[58:59]
	v_fma_f64 v[12:13], v[48:49], v[56:57], -v[12:13]
	v_fmac_f64_e32 v[14:15], v[50:51], v[56:57]
	v_add_f64 v[56:57], v[8:9], v[12:13]
	v_add_f64 v[58:59], v[14:15], v[10:11]
	ds_read_b128 v[8:11], v67 offset:128
	ds_read_b128 v[12:15], v65 offset:4096
	;; [unrolled: 62-line block ×13, first 2 shown]
	s_waitcnt lgkmcnt(0)
	v_mul_f64 v[48:49], v[10:11], v[14:15]
	v_mul_f64 v[50:51], v[8:9], v[14:15]
	v_fma_f64 v[48:49], v[8:9], v[12:13], -v[48:49]
	v_fmac_f64_e32 v[50:51], v[10:11], v[12:13]
	v_add_f64 v[60:61], v[60:61], v[48:49]
	v_add_f64 v[62:63], v[50:51], v[62:63]
	ds_read_b128 v[48:51], v65 offset:15616
	s_waitcnt lgkmcnt(0)
	v_mul_f64 v[80:81], v[10:11], v[50:51]
	v_fma_f64 v[80:81], v[8:9], v[48:49], -v[80:81]
	v_mul_f64 v[8:9], v[8:9], v[50:51]
	v_fmac_f64_e32 v[8:9], v[10:11], v[48:49]
	v_add_f64 v[82:83], v[8:9], v[78:79]
	ds_read_b128 v[8:11], v67 offset:8672
	v_add_f64 v[80:81], v[76:77], v[80:81]
	s_waitcnt lgkmcnt(0)
	v_mul_f64 v[76:77], v[10:11], v[14:15]
	v_fma_f64 v[76:77], v[8:9], v[12:13], -v[76:77]
	v_mul_f64 v[14:15], v[8:9], v[14:15]
	v_fmac_f64_e32 v[14:15], v[10:11], v[12:13]
	v_add_f64 v[12:13], v[52:53], v[76:77]
	v_mul_f64 v[52:53], v[10:11], v[50:51]
	v_mul_f64 v[50:51], v[8:9], v[50:51]
	v_fma_f64 v[52:53], v[8:9], v[48:49], -v[52:53]
	v_fmac_f64_e32 v[50:51], v[10:11], v[48:49]
	v_add_f64 v[8:9], v[56:57], v[52:53]
	v_add_f64 v[10:11], v[50:51], v[58:59]
	ds_read_b128 v[48:51], v67 offset:496
	ds_read_b128 v[56:59], v65 offset:15872
	;; [unrolled: 1-line block ×3, first 2 shown]
	v_add_f64 v[14:15], v[14:15], v[54:55]
	s_waitcnt lgkmcnt(1)
	v_mul_f64 v[52:53], v[50:51], v[58:59]
	v_fma_f64 v[52:53], v[48:49], v[56:57], -v[52:53]
	v_add_f64 v[60:61], v[60:61], v[52:53]
	s_waitcnt lgkmcnt(0)
	v_mul_f64 v[52:53], v[50:51], v[78:79]
	v_mul_f64 v[54:55], v[48:49], v[58:59]
	v_fma_f64 v[52:53], v[48:49], v[76:77], -v[52:53]
	v_mul_f64 v[48:49], v[48:49], v[78:79]
	v_fmac_f64_e32 v[54:55], v[50:51], v[56:57]
	v_fmac_f64_e32 v[48:49], v[50:51], v[76:77]
	v_add_f64 v[62:63], v[54:55], v[62:63]
	v_add_f64 v[54:55], v[48:49], v[82:83]
	ds_read_b128 v[48:51], v67 offset:8688
	v_add_f64 v[52:53], v[80:81], v[52:53]
	s_waitcnt lgkmcnt(0)
	s_barrier
	v_mul_f64 v[80:81], v[50:51], v[58:59]
	v_mul_f64 v[58:59], v[48:49], v[58:59]
	v_fma_f64 v[80:81], v[48:49], v[56:57], -v[80:81]
	v_fmac_f64_e32 v[58:59], v[50:51], v[56:57]
	v_add_f64 v[56:57], v[12:13], v[80:81]
	v_add_f64 v[58:59], v[58:59], v[14:15]
	v_mul_f64 v[12:13], v[50:51], v[78:79]
	v_mul_f64 v[14:15], v[48:49], v[78:79]
	v_fma_f64 v[12:13], v[48:49], v[76:77], -v[12:13]
	v_fmac_f64_e32 v[14:15], v[50:51], v[76:77]
	v_add_f64 v[50:51], v[8:9], v[12:13]
	v_add_f64 v[48:49], v[14:15], v[10:11]
	s_cbranch_scc1 .LBB113_56
.LBB113_7:                              ;   Parent Loop BB113_4 Depth=1
                                        ; =>  This Inner Loop Header: Depth=2
	v_lshl_add_u64 v[12:13], v[16:17], 0, s[38:39]
	v_cmp_le_i64_e64 s[14:15], s[52:53], v[12:13]
	v_cmp_eq_u64_e64 s[4:5], s[38:39], v[24:25]
	v_cmp_lt_i64_e64 s[12:13], v[12:13], v[18:19]
	s_and_b64 s[42:43], s[34:35], s[4:5]
	s_or_b64 s[4:5], s[14:15], s[12:13]
	s_or_b64 s[4:5], s[4:5], s[42:43]
	v_lshl_add_u64 v[8:9], v[36:37], 0, s[36:37]
	s_nor_b64 s[4:5], s[0:1], s[4:5]
	s_and_saveexec_b64 s[40:41], s[4:5]
	s_xor_b64 s[4:5], exec, s[40:41]
	s_cbranch_execz .LBB113_9
; %bb.8:                                ;   in Loop: Header=BB113_7 Depth=2
	global_load_dwordx4 v[76:79], v[8:9], off offset:-256
	s_waitcnt vmcnt(0)
	ds_write2_b64 v66, v[76:77], v[78:79] offset1:1
.LBB113_9:                              ;   in Loop: Header=BB113_7 Depth=2
	s_or_saveexec_b64 s[4:5], s[4:5]
	s_xor_b64 s[40:41], s[42:43], -1
	s_xor_b64 exec, exec, s[4:5]
	s_cbranch_execz .LBB113_15
; %bb.10:                               ;   in Loop: Header=BB113_7 Depth=2
	s_and_saveexec_b64 s[44:45], s[40:41]
	s_xor_b64 s[44:45], exec, s[44:45]
; %bb.11:                               ;   in Loop: Header=BB113_7 Depth=2
	ds_write_b128 v66, v[0:3]
; %bb.12:                               ;   in Loop: Header=BB113_7 Depth=2
	s_andn2_saveexec_b64 s[44:45], s[44:45]
; %bb.13:                               ;   in Loop: Header=BB113_7 Depth=2
	ds_write_b128 v66, v[4:7]
; %bb.14:                               ;   in Loop: Header=BB113_7 Depth=2
	s_or_b64 exec, exec, s[44:45]
.LBB113_15:                             ;   in Loop: Header=BB113_7 Depth=2
	s_or_b64 exec, exec, s[4:5]
	v_cmp_eq_u64_e64 s[4:5], s[38:39], v[26:27]
	s_and_b64 s[44:45], s[34:35], s[4:5]
	v_cmp_gt_i64_e64 s[4:5], v[20:21], v[12:13]
	s_or_b64 s[4:5], s[14:15], s[4:5]
	s_or_b64 s[4:5], s[4:5], s[44:45]
	s_nor_b64 s[4:5], s[16:17], s[4:5]
	v_lshl_add_u64 v[10:11], v[38:39], 0, s[36:37]
	s_and_saveexec_b64 s[14:15], s[4:5]
	s_xor_b64 s[4:5], exec, s[14:15]
	s_cbranch_execz .LBB113_17
; %bb.16:                               ;   in Loop: Header=BB113_7 Depth=2
	global_load_dwordx4 v[76:79], v[10:11], off
	s_waitcnt vmcnt(0)
	ds_write2_b64 v69, v[76:77], v[78:79] offset1:1
.LBB113_17:                             ;   in Loop: Header=BB113_7 Depth=2
	s_andn2_saveexec_b64 s[4:5], s[4:5]
	s_cbranch_execz .LBB113_23
; %bb.18:                               ;   in Loop: Header=BB113_7 Depth=2
	s_xor_b64 s[14:15], s[44:45], -1
	s_and_saveexec_b64 s[44:45], s[14:15]
	s_xor_b64 s[14:15], exec, s[44:45]
; %bb.19:                               ;   in Loop: Header=BB113_7 Depth=2
	ds_write_b128 v66, v[0:3] offset:256
; %bb.20:                               ;   in Loop: Header=BB113_7 Depth=2
	s_andn2_saveexec_b64 s[14:15], s[14:15]
; %bb.21:                               ;   in Loop: Header=BB113_7 Depth=2
	ds_write_b128 v66, v[4:7] offset:256
; %bb.22:                               ;   in Loop: Header=BB113_7 Depth=2
	s_or_b64 exec, exec, s[14:15]
.LBB113_23:                             ;   in Loop: Header=BB113_7 Depth=2
	s_or_b64 exec, exec, s[4:5]
	v_lshl_add_u64 v[12:13], v[12:13], 0, 16
	v_cmp_eq_u64_e64 s[4:5], s[38:39], v[28:29]
	v_cmp_le_i64_e64 s[14:15], s[52:53], v[12:13]
	s_and_b64 s[44:45], s[34:35], s[4:5]
	v_cmp_lt_i64_e64 s[4:5], v[12:13], v[18:19]
	s_or_b64 s[4:5], s[14:15], s[4:5]
	s_or_b64 s[4:5], s[4:5], s[44:45]
	s_nor_b64 s[4:5], s[0:1], s[4:5]
	s_and_saveexec_b64 s[50:51], s[4:5]
	s_xor_b64 s[4:5], exec, s[50:51]
	s_cbranch_execz .LBB113_25
; %bb.24:                               ;   in Loop: Header=BB113_7 Depth=2
	global_load_dwordx4 v[12:15], v[8:9], off
	s_waitcnt vmcnt(0)
	ds_write2_b64 v70, v[12:13], v[14:15] offset1:1
.LBB113_25:                             ;   in Loop: Header=BB113_7 Depth=2
	s_andn2_saveexec_b64 s[4:5], s[4:5]
	s_cbranch_execz .LBB113_31
; %bb.26:                               ;   in Loop: Header=BB113_7 Depth=2
	s_xor_b64 s[44:45], s[44:45], -1
	s_and_saveexec_b64 s[50:51], s[44:45]
	s_xor_b64 s[44:45], exec, s[50:51]
; %bb.27:                               ;   in Loop: Header=BB113_7 Depth=2
	ds_write_b128 v66, v[0:3] offset:8192
; %bb.28:                               ;   in Loop: Header=BB113_7 Depth=2
	s_andn2_saveexec_b64 s[44:45], s[44:45]
; %bb.29:                               ;   in Loop: Header=BB113_7 Depth=2
	ds_write_b128 v66, v[4:7] offset:8192
; %bb.30:                               ;   in Loop: Header=BB113_7 Depth=2
	s_or_b64 exec, exec, s[44:45]
.LBB113_31:                             ;   in Loop: Header=BB113_7 Depth=2
	s_or_b64 exec, exec, s[4:5]
	s_or_b64 s[4:5], s[14:15], s[12:13]
	s_or_b64 s[4:5], s[4:5], s[42:43]
	s_nor_b64 s[4:5], s[16:17], s[4:5]
	s_and_saveexec_b64 s[12:13], s[4:5]
	s_xor_b64 s[4:5], exec, s[12:13]
	s_cbranch_execz .LBB113_33
; %bb.32:                               ;   in Loop: Header=BB113_7 Depth=2
	global_load_dwordx4 v[8:11], v[10:11], off offset:256
	s_waitcnt vmcnt(0)
	ds_write2_b64 v71, v[8:9], v[10:11] offset1:1
.LBB113_33:                             ;   in Loop: Header=BB113_7 Depth=2
	s_andn2_saveexec_b64 s[4:5], s[4:5]
	s_cbranch_execz .LBB113_39
; %bb.34:                               ;   in Loop: Header=BB113_7 Depth=2
	s_and_saveexec_b64 s[12:13], s[40:41]
	s_xor_b64 s[12:13], exec, s[12:13]
; %bb.35:                               ;   in Loop: Header=BB113_7 Depth=2
	ds_write_b128 v66, v[0:3] offset:8448
; %bb.36:                               ;   in Loop: Header=BB113_7 Depth=2
	s_andn2_saveexec_b64 s[12:13], s[12:13]
; %bb.37:                               ;   in Loop: Header=BB113_7 Depth=2
	ds_write_b128 v66, v[4:7] offset:8448
; %bb.38:                               ;   in Loop: Header=BB113_7 Depth=2
	s_or_b64 exec, exec, s[12:13]
.LBB113_39:                             ;   in Loop: Header=BB113_7 Depth=2
	s_or_b64 exec, exec, s[4:5]
	v_lshl_add_u64 v[10:11], v[18:19], 0, s[38:39]
	v_cmp_gt_i64_e64 s[12:13], s[52:53], v[10:11]
	s_and_b64 s[4:5], vcc, s[12:13]
	s_xor_b64 s[4:5], s[4:5], -1
	s_and_saveexec_b64 s[14:15], s[4:5]
	s_xor_b64 s[4:5], exec, s[14:15]
; %bb.40:                               ;   in Loop: Header=BB113_7 Depth=2
	ds_write_b128 v68, v[0:3]
; %bb.41:                               ;   in Loop: Header=BB113_7 Depth=2
	s_or_saveexec_b64 s[4:5], s[4:5]
	v_lshl_add_u64 v[8:9], v[44:45], 0, s[36:37]
	s_xor_b64 exec, exec, s[4:5]
	s_cbranch_execz .LBB113_43
; %bb.42:                               ;   in Loop: Header=BB113_7 Depth=2
	global_load_dwordx4 v[12:15], v[8:9], off offset:-256
	s_waitcnt vmcnt(0)
	ds_write2_b64 v68, v[12:13], v[14:15] offset1:1
.LBB113_43:                             ;   in Loop: Header=BB113_7 Depth=2
	s_or_b64 exec, exec, s[4:5]
	v_cmp_gt_i64_e64 s[14:15], s[54:55], v[10:11]
	s_and_b64 s[4:5], vcc, s[14:15]
	s_xor_b64 s[4:5], s[4:5], -1
	s_and_saveexec_b64 s[40:41], s[4:5]
	s_xor_b64 s[4:5], exec, s[40:41]
; %bb.44:                               ;   in Loop: Header=BB113_7 Depth=2
	ds_write_b128 v68, v[0:3] offset:256
                                        ; implicit-def: $vgpr8_vgpr9
; %bb.45:                               ;   in Loop: Header=BB113_7 Depth=2
	s_andn2_saveexec_b64 s[4:5], s[4:5]
	s_cbranch_execz .LBB113_47
; %bb.46:                               ;   in Loop: Header=BB113_7 Depth=2
	global_load_dwordx4 v[8:11], v[8:9], off
	s_waitcnt vmcnt(0)
	ds_write2_b64 v72, v[8:9], v[10:11] offset1:1
.LBB113_47:                             ;   in Loop: Header=BB113_7 Depth=2
	s_or_b64 exec, exec, s[4:5]
	s_and_b64 s[4:5], s[10:11], s[12:13]
	s_xor_b64 s[4:5], s[4:5], -1
	s_and_saveexec_b64 s[12:13], s[4:5]
	s_xor_b64 s[4:5], exec, s[12:13]
; %bb.48:                               ;   in Loop: Header=BB113_7 Depth=2
	ds_write_b128 v68, v[0:3] offset:8192
; %bb.49:                               ;   in Loop: Header=BB113_7 Depth=2
	s_or_saveexec_b64 s[4:5], s[4:5]
	v_lshl_add_u64 v[8:9], v[46:47], 0, s[36:37]
	s_xor_b64 exec, exec, s[4:5]
	s_cbranch_execz .LBB113_51
; %bb.50:                               ;   in Loop: Header=BB113_7 Depth=2
	global_load_dwordx4 v[10:13], v[8:9], off
	s_waitcnt vmcnt(0)
	ds_write2_b64 v73, v[10:11], v[12:13] offset1:1
.LBB113_51:                             ;   in Loop: Header=BB113_7 Depth=2
	s_or_b64 exec, exec, s[4:5]
	s_and_b64 s[4:5], s[10:11], s[14:15]
	s_xor_b64 s[4:5], s[4:5], -1
	s_and_saveexec_b64 s[12:13], s[4:5]
	s_xor_b64 s[4:5], exec, s[12:13]
; %bb.52:                               ;   in Loop: Header=BB113_7 Depth=2
	ds_write_b128 v68, v[0:3] offset:8448
                                        ; implicit-def: $vgpr8_vgpr9
; %bb.53:                               ;   in Loop: Header=BB113_7 Depth=2
	s_andn2_saveexec_b64 s[4:5], s[4:5]
	s_cbranch_execz .LBB113_6
; %bb.54:                               ;   in Loop: Header=BB113_7 Depth=2
	global_load_dwordx4 v[8:11], v[8:9], off offset:256
	s_waitcnt vmcnt(0)
	ds_write2_b64 v74, v[8:9], v[10:11] offset1:1
	s_branch .LBB113_6
.LBB113_55:                             ;   in Loop: Header=BB113_4 Depth=1
	v_mov_b64_e32 v[60:61], 0
	v_mov_b64_e32 v[62:63], 0
	;; [unrolled: 1-line block ×8, first 2 shown]
.LBB113_56:                             ;   in Loop: Header=BB113_4 Depth=1
	v_mul_lo_u32 v10, s21, v42
	v_mul_lo_u32 v11, s20, v43
	v_mad_u64_u32 v[8:9], s[4:5], s20, v42, 0
	v_cmp_gt_i32_e32 vcc, s30, v42
	v_add3_u32 v9, v9, v11, v10
	v_lshl_add_u64 v[8:9], v[8:9], 4, s[22:23]
	s_and_b64 s[10:11], s[18:19], vcc
	s_and_saveexec_b64 s[4:5], s[10:11]
	s_cbranch_execz .LBB113_58
; %bb.57:                               ;   in Loop: Header=BB113_4 Depth=1
	v_lshl_add_u64 v[14:15], v[18:19], 4, v[8:9]
	global_load_dwordx4 v[10:13], v[14:15], off
	v_mul_f64 v[44:45], s[26:27], v[62:63]
	v_mul_f64 v[46:47], s[24:25], v[62:63]
	v_fma_f64 v[44:45], s[24:25], v[60:61], -v[44:45]
	v_fmac_f64_e32 v[46:47], s[26:27], v[60:61]
	s_waitcnt vmcnt(0)
	v_add_f64 v[10:11], v[10:11], v[44:45]
	v_add_f64 v[12:13], v[46:47], v[12:13]
	global_store_dwordx4 v[14:15], v[10:13], off
.LBB113_58:                             ;   in Loop: Header=BB113_4 Depth=1
	s_or_b64 exec, exec, s[4:5]
	s_and_b64 s[10:11], s[6:7], vcc
	s_and_saveexec_b64 s[4:5], s[10:11]
	s_cbranch_execz .LBB113_60
; %bb.59:                               ;   in Loop: Header=BB113_4 Depth=1
	v_lshl_add_u64 v[12:13], v[22:23], 4, v[8:9]
	global_load_dwordx4 v[8:11], v[12:13], off
	v_mul_f64 v[14:15], s[26:27], v[54:55]
	v_mul_f64 v[44:45], s[24:25], v[54:55]
	v_fma_f64 v[14:15], s[24:25], v[52:53], -v[14:15]
	v_fmac_f64_e32 v[44:45], s[26:27], v[52:53]
	s_waitcnt vmcnt(0)
	v_add_f64 v[8:9], v[8:9], v[14:15]
	v_add_f64 v[10:11], v[44:45], v[10:11]
	global_store_dwordx4 v[12:13], v[8:11], off
.LBB113_60:                             ;   in Loop: Header=BB113_4 Depth=1
	s_or_b64 exec, exec, s[4:5]
	s_nop 0
	v_add_u32_e32 v8, 16, v42
	v_ashrrev_i32_e32 v9, 31, v8
	v_cmp_gt_i32_e32 vcc, s30, v8
	v_mul_lo_u32 v10, s20, v9
	v_mul_lo_u32 v11, s21, v8
	v_mad_u64_u32 v[8:9], s[4:5], s20, v8, 0
	v_add3_u32 v9, v9, v10, v11
	v_lshl_add_u64 v[8:9], v[8:9], 4, s[22:23]
	s_and_b64 s[10:11], s[18:19], vcc
	s_and_saveexec_b64 s[4:5], s[10:11]
	s_cbranch_execz .LBB113_62
; %bb.61:                               ;   in Loop: Header=BB113_4 Depth=1
	v_lshl_add_u64 v[14:15], v[18:19], 4, v[8:9]
	global_load_dwordx4 v[10:13], v[14:15], off
	v_mul_f64 v[42:43], s[26:27], v[58:59]
	v_mul_f64 v[44:45], s[24:25], v[58:59]
	v_fma_f64 v[42:43], s[24:25], v[56:57], -v[42:43]
	v_fmac_f64_e32 v[44:45], s[26:27], v[56:57]
	s_waitcnt vmcnt(0)
	v_add_f64 v[10:11], v[10:11], v[42:43]
	v_add_f64 v[12:13], v[44:45], v[12:13]
	global_store_dwordx4 v[14:15], v[10:13], off
.LBB113_62:                             ;   in Loop: Header=BB113_4 Depth=1
	s_or_b64 exec, exec, s[4:5]
	s_and_b64 s[10:11], s[6:7], vcc
	s_and_saveexec_b64 s[4:5], s[10:11]
	s_cbranch_execz .LBB113_3
; %bb.63:                               ;   in Loop: Header=BB113_4 Depth=1
	v_lshl_add_u64 v[12:13], v[22:23], 4, v[8:9]
	global_load_dwordx4 v[8:11], v[12:13], off
	v_mul_f64 v[14:15], s[26:27], v[48:49]
	v_mul_f64 v[42:43], s[24:25], v[48:49]
	v_fma_f64 v[14:15], s[24:25], v[50:51], -v[14:15]
	v_fmac_f64_e32 v[42:43], s[26:27], v[50:51]
	s_waitcnt vmcnt(0)
	v_add_f64 v[8:9], v[8:9], v[14:15]
	v_add_f64 v[10:11], v[42:43], v[10:11]
	global_store_dwordx4 v[12:13], v[8:11], off
	s_branch .LBB113_3
.LBB113_64:
	s_endpgm
	.section	.rodata,"a",@progbits
	.p2align	6, 0x0
	.amdhsa_kernel _ZL30rocblas_trmm_outofplace_kernelI19rocblas_complex_numIdELi32ELi2ELb1ELb0ELb1ELb0ES1_KS1_S1_Ev17rocblas_diagonal_iiT6_lPT7_lllS6_lllPT8_llli
		.amdhsa_group_segment_fixed_size 32768
		.amdhsa_private_segment_fixed_size 0
		.amdhsa_kernarg_size 400
		.amdhsa_user_sgpr_count 2
		.amdhsa_user_sgpr_dispatch_ptr 0
		.amdhsa_user_sgpr_queue_ptr 0
		.amdhsa_user_sgpr_kernarg_segment_ptr 1
		.amdhsa_user_sgpr_dispatch_id 0
		.amdhsa_user_sgpr_kernarg_preload_length 0
		.amdhsa_user_sgpr_kernarg_preload_offset 0
		.amdhsa_user_sgpr_private_segment_size 0
		.amdhsa_uses_dynamic_stack 0
		.amdhsa_enable_private_segment 0
		.amdhsa_system_sgpr_workgroup_id_x 1
		.amdhsa_system_sgpr_workgroup_id_y 1
		.amdhsa_system_sgpr_workgroup_id_z 1
		.amdhsa_system_sgpr_workgroup_info 0
		.amdhsa_system_vgpr_workitem_id 1
		.amdhsa_next_free_vgpr 96
		.amdhsa_next_free_sgpr 57
		.amdhsa_accum_offset 96
		.amdhsa_reserve_vcc 1
		.amdhsa_float_round_mode_32 0
		.amdhsa_float_round_mode_16_64 0
		.amdhsa_float_denorm_mode_32 3
		.amdhsa_float_denorm_mode_16_64 3
		.amdhsa_dx10_clamp 1
		.amdhsa_ieee_mode 1
		.amdhsa_fp16_overflow 0
		.amdhsa_tg_split 0
		.amdhsa_exception_fp_ieee_invalid_op 0
		.amdhsa_exception_fp_denorm_src 0
		.amdhsa_exception_fp_ieee_div_zero 0
		.amdhsa_exception_fp_ieee_overflow 0
		.amdhsa_exception_fp_ieee_underflow 0
		.amdhsa_exception_fp_ieee_inexact 0
		.amdhsa_exception_int_div_zero 0
	.end_amdhsa_kernel
	.section	.text._ZL30rocblas_trmm_outofplace_kernelI19rocblas_complex_numIdELi32ELi2ELb1ELb0ELb1ELb0ES1_KS1_S1_Ev17rocblas_diagonal_iiT6_lPT7_lllS6_lllPT8_llli,"axG",@progbits,_ZL30rocblas_trmm_outofplace_kernelI19rocblas_complex_numIdELi32ELi2ELb1ELb0ELb1ELb0ES1_KS1_S1_Ev17rocblas_diagonal_iiT6_lPT7_lllS6_lllPT8_llli,comdat
.Lfunc_end113:
	.size	_ZL30rocblas_trmm_outofplace_kernelI19rocblas_complex_numIdELi32ELi2ELb1ELb0ELb1ELb0ES1_KS1_S1_Ev17rocblas_diagonal_iiT6_lPT7_lllS6_lllPT8_llli, .Lfunc_end113-_ZL30rocblas_trmm_outofplace_kernelI19rocblas_complex_numIdELi32ELi2ELb1ELb0ELb1ELb0ES1_KS1_S1_Ev17rocblas_diagonal_iiT6_lPT7_lllS6_lllPT8_llli
                                        ; -- End function
	.set _ZL30rocblas_trmm_outofplace_kernelI19rocblas_complex_numIdELi32ELi2ELb1ELb0ELb1ELb0ES1_KS1_S1_Ev17rocblas_diagonal_iiT6_lPT7_lllS6_lllPT8_llli.num_vgpr, 96
	.set _ZL30rocblas_trmm_outofplace_kernelI19rocblas_complex_numIdELi32ELi2ELb1ELb0ELb1ELb0ES1_KS1_S1_Ev17rocblas_diagonal_iiT6_lPT7_lllS6_lllPT8_llli.num_agpr, 0
	.set _ZL30rocblas_trmm_outofplace_kernelI19rocblas_complex_numIdELi32ELi2ELb1ELb0ELb1ELb0ES1_KS1_S1_Ev17rocblas_diagonal_iiT6_lPT7_lllS6_lllPT8_llli.numbered_sgpr, 57
	.set _ZL30rocblas_trmm_outofplace_kernelI19rocblas_complex_numIdELi32ELi2ELb1ELb0ELb1ELb0ES1_KS1_S1_Ev17rocblas_diagonal_iiT6_lPT7_lllS6_lllPT8_llli.num_named_barrier, 0
	.set _ZL30rocblas_trmm_outofplace_kernelI19rocblas_complex_numIdELi32ELi2ELb1ELb0ELb1ELb0ES1_KS1_S1_Ev17rocblas_diagonal_iiT6_lPT7_lllS6_lllPT8_llli.private_seg_size, 0
	.set _ZL30rocblas_trmm_outofplace_kernelI19rocblas_complex_numIdELi32ELi2ELb1ELb0ELb1ELb0ES1_KS1_S1_Ev17rocblas_diagonal_iiT6_lPT7_lllS6_lllPT8_llli.uses_vcc, 1
	.set _ZL30rocblas_trmm_outofplace_kernelI19rocblas_complex_numIdELi32ELi2ELb1ELb0ELb1ELb0ES1_KS1_S1_Ev17rocblas_diagonal_iiT6_lPT7_lllS6_lllPT8_llli.uses_flat_scratch, 0
	.set _ZL30rocblas_trmm_outofplace_kernelI19rocblas_complex_numIdELi32ELi2ELb1ELb0ELb1ELb0ES1_KS1_S1_Ev17rocblas_diagonal_iiT6_lPT7_lllS6_lllPT8_llli.has_dyn_sized_stack, 0
	.set _ZL30rocblas_trmm_outofplace_kernelI19rocblas_complex_numIdELi32ELi2ELb1ELb0ELb1ELb0ES1_KS1_S1_Ev17rocblas_diagonal_iiT6_lPT7_lllS6_lllPT8_llli.has_recursion, 0
	.set _ZL30rocblas_trmm_outofplace_kernelI19rocblas_complex_numIdELi32ELi2ELb1ELb0ELb1ELb0ES1_KS1_S1_Ev17rocblas_diagonal_iiT6_lPT7_lllS6_lllPT8_llli.has_indirect_call, 0
	.section	.AMDGPU.csdata,"",@progbits
; Kernel info:
; codeLenInByte = 9192
; TotalNumSgprs: 63
; NumVgprs: 96
; NumAgprs: 0
; TotalNumVgprs: 96
; ScratchSize: 0
; MemoryBound: 0
; FloatMode: 240
; IeeeMode: 1
; LDSByteSize: 32768 bytes/workgroup (compile time only)
; SGPRBlocks: 7
; VGPRBlocks: 11
; NumSGPRsForWavesPerEU: 63
; NumVGPRsForWavesPerEU: 96
; AccumOffset: 96
; Occupancy: 5
; WaveLimiterHint : 0
; COMPUTE_PGM_RSRC2:SCRATCH_EN: 0
; COMPUTE_PGM_RSRC2:USER_SGPR: 2
; COMPUTE_PGM_RSRC2:TRAP_HANDLER: 0
; COMPUTE_PGM_RSRC2:TGID_X_EN: 1
; COMPUTE_PGM_RSRC2:TGID_Y_EN: 1
; COMPUTE_PGM_RSRC2:TGID_Z_EN: 1
; COMPUTE_PGM_RSRC2:TIDIG_COMP_CNT: 1
; COMPUTE_PGM_RSRC3_GFX90A:ACCUM_OFFSET: 23
; COMPUTE_PGM_RSRC3_GFX90A:TG_SPLIT: 0
	.section	.text._ZL30rocblas_trmm_outofplace_kernelI19rocblas_complex_numIdELi32ELi2ELb1ELb1ELb1ELb0EPKS1_S2_S1_Ev17rocblas_diagonal_iiT6_lPT7_lllS7_lllPT8_llli,"axG",@progbits,_ZL30rocblas_trmm_outofplace_kernelI19rocblas_complex_numIdELi32ELi2ELb1ELb1ELb1ELb0EPKS1_S2_S1_Ev17rocblas_diagonal_iiT6_lPT7_lllS7_lllPT8_llli,comdat
	.globl	_ZL30rocblas_trmm_outofplace_kernelI19rocblas_complex_numIdELi32ELi2ELb1ELb1ELb1ELb0EPKS1_S2_S1_Ev17rocblas_diagonal_iiT6_lPT7_lllS7_lllPT8_llli ; -- Begin function _ZL30rocblas_trmm_outofplace_kernelI19rocblas_complex_numIdELi32ELi2ELb1ELb1ELb1ELb0EPKS1_S2_S1_Ev17rocblas_diagonal_iiT6_lPT7_lllS7_lllPT8_llli
	.p2align	8
	.type	_ZL30rocblas_trmm_outofplace_kernelI19rocblas_complex_numIdELi32ELi2ELb1ELb1ELb1ELb0EPKS1_S2_S1_Ev17rocblas_diagonal_iiT6_lPT7_lllS7_lllPT8_llli,@function
_ZL30rocblas_trmm_outofplace_kernelI19rocblas_complex_numIdELi32ELi2ELb1ELb1ELb1ELb0EPKS1_S2_S1_Ev17rocblas_diagonal_iiT6_lPT7_lllS7_lllPT8_llli: ; @_ZL30rocblas_trmm_outofplace_kernelI19rocblas_complex_numIdELi32ELi2ELb1ELb1ELb1ELb0EPKS1_S2_S1_Ev17rocblas_diagonal_iiT6_lPT7_lllS7_lllPT8_llli
; %bb.0:
	s_load_dwordx16 s[16:31], s[0:1], 0x10
	s_waitcnt lgkmcnt(0)
	s_mul_i32 s5, s19, s4
	s_mul_hi_u32 s6, s18, s4
	s_add_i32 s7, s6, s5
	s_mul_i32 s6, s18, s4
	s_lshl_b64 s[6:7], s[6:7], 4
	s_add_u32 s6, s16, s6
	s_addc_u32 s7, s17, s7
	s_load_dwordx4 s[44:47], s[6:7], 0x0
	s_waitcnt lgkmcnt(0)
	v_cmp_eq_f64_e64 s[6:7], s[44:45], 0
	v_cmp_eq_f64_e64 s[8:9], s[46:47], 0
	s_and_b64 s[6:7], s[6:7], s[8:9]
	s_and_b64 vcc, exec, s[6:7]
	s_cbranch_vccnz .LBB114_63
; %bb.1:
	s_load_dwordx4 s[48:51], s[0:1], 0x0
	s_waitcnt lgkmcnt(0)
	s_add_i32 s5, s50, -1
	s_ashr_i32 s6, s5, 31
	s_lshr_b32 s6, s6, 27
	s_add_i32 s5, s5, s6
	s_ashr_i32 s33, s5, 5
	s_cmp_gt_i32 s3, s33
	s_cbranch_scc1 .LBB114_63
; %bb.2:
	s_load_dwordx4 s[52:55], s[0:1], 0x70
	s_load_dwordx8 s[36:43], s[0:1], 0x50
	s_load_dword s51, s[0:1], 0x8c
	v_bfe_u32 v12, v0, 10, 10
	v_and_b32_e32 v14, 0x3ff, v0
	v_lshlrev_b32_e32 v0, 9, v12
	s_waitcnt lgkmcnt(0)
	s_mul_i32 s0, s55, s4
	s_mul_hi_u32 s1, s54, s4
	s_add_i32 s1, s1, s0
	s_mul_i32 s0, s54, s4
	s_lshl_b64 s[0:1], s[0:1], 4
	s_add_u32 s5, s40, s0
	s_addc_u32 s6, s41, s1
	s_lshl_b64 s[0:1], s[42:43], 4
	s_add_u32 s18, s5, s0
	s_addc_u32 s19, s6, s1
	s_lshl_b32 s56, s2, 5
	s_cmp_gt_i32 s2, -1
	s_cselect_b64 s[34:35], -1, 0
	s_cmpk_eq_i32 s48, 0x84
	s_cselect_b64 s[40:41], -1, 0
	s_ashr_i32 s43, s49, 31
	s_ashr_i32 s2, s50, 31
	s_add_u32 s54, s49, -16
	s_mul_i32 s5, s39, s4
	s_mul_hi_u32 s8, s38, s4
	s_addc_u32 s55, s43, -1
	s_add_i32 s9, s8, s5
	s_mul_i32 s8, s38, s4
	s_lshl_b64 s[8:9], s[8:9], 4
	s_lshl_b64 s[10:11], s[30:31], 4
	v_add_u32_e32 v16, s56, v14
	v_lshlrev_b32_e32 v18, 4, v14
	s_add_u32 s5, s8, s10
	v_add_u32_e32 v43, v18, v0
	v_add_u32_e32 v64, 0x4000, v0
	s_addc_u32 s9, s9, s11
	v_mad_u64_u32 v[0:1], s[10:11], s24, v16, 0
	s_add_u32 s8, s28, s5
	s_mul_i32 s5, s27, s4
	s_mul_hi_u32 s10, s26, s4
	s_addc_u32 s9, s29, s9
	s_add_i32 s5, s10, s5
	s_mul_i32 s4, s26, s4
	v_ashrrev_i32_e32 v17, 31, v16
	s_lshl_b64 s[28:29], s[36:37], 4
	s_lshl_b32 s38, s51, 5
	s_lshl_b64 s[4:5], s[4:5], 4
	s_lshl_b64 s[10:11], s[22:23], 4
	v_mul_lo_u32 v2, s24, v17
	v_mul_lo_u32 v3, s25, v16
	s_add_u32 s4, s10, s4
	v_mov_b32_e32 v13, 0
	v_add3_u32 v1, v1, v2, v3
	s_addc_u32 s5, s11, s5
	v_lshl_add_u64 v[0:1], v[0:1], 4, s[4:5]
	v_lshlrev_b32_e32 v4, 4, v12
	v_mov_b32_e32 v5, v13
	v_mov_b32_e32 v19, v13
	v_lshl_add_u64 v[0:1], v[0:1], 0, v[4:5]
	v_lshl_add_u64 v[30:31], s[8:9], 0, v[18:19]
	s_mov_b64 s[8:9], 0x100
	v_lshl_add_u64 v[0:1], s[20:21], 0, v[0:1]
	v_mov_b64_e32 v[38:39], 0x100
	v_mov_b64_e32 v[2:3], s[4:5]
	v_lshl_add_u64 v[36:37], v[0:1], 0, s[8:9]
	v_lshl_add_u64 v[0:1], v[16:17], 4, v[38:39]
	v_mul_lo_u32 v6, s24, v1
	v_mul_lo_u32 v7, s25, v0
	v_mad_u64_u32 v[0:1], s[4:5], s24, v0, v[2:3]
	v_sub_co_u32_e32 v24, vcc, v16, v12
	v_add3_u32 v1, v7, v1, v6
	s_mov_b32 s42, s49
	v_add_u32_e32 v65, v64, v18
	v_lshl_add_u64 v[20:21], v[16:17], 0, 16
	v_add_u32_e32 v22, 16, v16
	v_subbrev_co_u32_e32 v25, vcc, 0, v17, vcc
	v_lshl_add_u64 v[0:1], v[0:1], 0, v[4:5]
	v_mov_b32_e32 v15, v13
	v_cmp_le_i32_e64 s[0:1], s49, v16
	v_cmp_le_i64_e64 s[14:15], s[42:43], v[20:21]
	v_add_u32_e32 v66, 0x100, v43
	v_add_u32_e32 v67, 0x2000, v43
	;; [unrolled: 1-line block ×6, first 2 shown]
	v_cmp_gt_i32_e64 s[16:17], s49, v16
	v_cmp_gt_i32_e64 s[6:7], s49, v22
	v_ashrrev_i32_e32 v23, 31, v22
	v_lshl_add_u64 v[26:27], v[24:25], 0, 16
	v_lshl_add_u64 v[28:29], v[24:25], 0, -16
	v_lshl_add_u64 v[32:33], v[30:31], 0, s[8:9]
	v_lshl_add_u32 v34, s3, 5, v12
	v_lshl_add_u64 v[40:41], s[20:21], 0, v[0:1]
	v_mov_b32_e32 v72, v13
	v_mov_b32_e32 v73, v13
	;; [unrolled: 1-line block ×8, first 2 shown]
	s_branch .LBB114_4
.LBB114_3:                              ;   in Loop: Header=BB114_4 Depth=1
	s_or_b64 exec, exec, s[4:5]
	s_add_i32 s3, s51, s3
	s_cmp_le_i32 s3, s33
	v_add_u32_e32 v34, s38, v34
	s_cbranch_scc0 .LBB114_63
.LBB114_4:                              ; =>This Loop Header: Depth=1
                                        ;     Child Loop BB114_7 Depth 2
	v_lshl_add_u32 v42, s3, 5, v12
	v_ashrrev_i32_e32 v19, 31, v42
	v_mov_b64_e32 v[60:61], 0
	s_andn2_b64 vcc, exec, s[34:35]
	v_mov_b64_e32 v[62:63], 0
	v_mov_b64_e32 v[52:53], 0
	;; [unrolled: 1-line block ×7, first 2 shown]
	s_cbranch_vccnz .LBB114_55
; %bb.5:                                ;   in Loop: Header=BB114_4 Depth=1
	v_ashrrev_i32_e32 v35, 31, v34
	v_mad_u64_u32 v[44:45], s[4:5], s28, v34, v[32:33]
	v_mul_lo_u32 v4, s29, v34
	v_mul_lo_u32 v5, s28, v35
	v_add3_u32 v45, v4, v45, v5
	v_lshl_add_u64 v[4:5], v[34:35], 4, v[38:39]
	v_mul_lo_u32 v5, s36, v5
	v_mul_lo_u32 v6, s37, v4
	v_mad_u64_u32 v[46:47], s[4:5], s36, v4, v[30:31]
	v_add3_u32 v47, v6, v47, v5
	v_mov_b32_e32 v5, s2
	v_sub_co_u32_e32 v4, vcc, s50, v42
	s_mov_b64 s[20:21], 0
	s_nop 0
	v_subb_co_u32_e32 v5, vcc, v5, v19, vcc
	v_cmp_lt_i64_e32 vcc, 0, v[4:5]
	v_cmp_lt_i64_e64 s[8:9], 16, v[4:5]
	v_mov_b64_e32 v[48:49], 0
	s_mov_b64 s[22:23], 0
	v_mov_b64_e32 v[50:51], 0
	v_mov_b64_e32 v[58:59], 0
	;; [unrolled: 1-line block ×7, first 2 shown]
	s_branch .LBB114_7
.LBB114_6:                              ;   in Loop: Header=BB114_7 Depth=2
	s_or_b64 exec, exec, s[4:5]
	s_waitcnt lgkmcnt(0)
	s_barrier
	ds_read_b128 v[76:79], v64
	ds_read_b128 v[80:83], v64 offset:16
	ds_read_b128 v[8:11], v64 offset:32
	;; [unrolled: 1-line block ×3, first 2 shown]
	ds_read_b128 v[84:87], v18
	s_add_u32 s22, s22, 32
	s_addc_u32 s23, s23, 0
	s_sub_i32 s4, s22, 32
	s_add_u32 s20, s20, 0x200
	s_waitcnt lgkmcnt(0)
	v_mul_f64 v[88:89], v[78:79], v[86:87]
	v_mul_f64 v[90:91], v[76:77], v[86:87]
	v_fma_f64 v[88:89], v[76:77], v[84:85], -v[88:89]
	v_fmac_f64_e32 v[90:91], v[78:79], v[84:85]
	v_add_f64 v[88:89], v[60:61], v[88:89]
	v_add_f64 v[90:91], v[90:91], v[62:63]
	ds_read_b128 v[60:63], v18 offset:256
	s_addc_u32 s21, s21, 0
	s_cmp_ge_i32 s4, s56
	s_waitcnt lgkmcnt(0)
	v_mul_f64 v[92:93], v[78:79], v[62:63]
	v_fma_f64 v[92:93], v[76:77], v[60:61], -v[92:93]
	v_mul_f64 v[76:77], v[76:77], v[62:63]
	v_fmac_f64_e32 v[76:77], v[78:79], v[60:61]
	v_add_f64 v[78:79], v[52:53], v[92:93]
	v_add_f64 v[76:77], v[76:77], v[54:55]
	ds_read_b128 v[52:55], v64 offset:8192
	s_waitcnt lgkmcnt(0)
	v_mul_f64 v[92:93], v[54:55], v[86:87]
	v_fma_f64 v[92:93], v[52:53], v[84:85], -v[92:93]
	v_mul_f64 v[86:87], v[52:53], v[86:87]
	v_fmac_f64_e32 v[86:87], v[54:55], v[84:85]
	v_add_f64 v[84:85], v[56:57], v[92:93]
	v_mul_f64 v[56:57], v[54:55], v[62:63]
	v_fma_f64 v[56:57], v[52:53], v[60:61], -v[56:57]
	v_mul_f64 v[52:53], v[52:53], v[62:63]
	v_fmac_f64_e32 v[52:53], v[54:55], v[60:61]
	v_add_f64 v[94:95], v[52:53], v[48:49]
	ds_read_b128 v[52:55], v18 offset:512
	v_add_f64 v[86:87], v[86:87], v[58:59]
	v_add_f64 v[92:93], v[50:51], v[56:57]
	ds_read_b128 v[56:59], v18 offset:768
	ds_read_b128 v[60:63], v64 offset:8208
	s_waitcnt lgkmcnt(2)
	v_mul_f64 v[50:51], v[80:81], v[54:55]
	v_fmac_f64_e32 v[50:51], v[82:83], v[52:53]
	v_mul_f64 v[48:49], v[82:83], v[54:55]
	v_add_f64 v[90:91], v[50:51], v[90:91]
	s_waitcnt lgkmcnt(1)
	v_mul_f64 v[50:51], v[80:81], v[58:59]
	v_fma_f64 v[48:49], v[80:81], v[52:53], -v[48:49]
	v_fmac_f64_e32 v[50:51], v[82:83], v[56:57]
	v_add_f64 v[88:89], v[88:89], v[48:49]
	v_mul_f64 v[48:49], v[82:83], v[58:59]
	v_add_f64 v[50:51], v[50:51], v[76:77]
	s_waitcnt lgkmcnt(0)
	v_mul_f64 v[76:77], v[62:63], v[54:55]
	v_mul_f64 v[54:55], v[60:61], v[54:55]
	v_fma_f64 v[48:49], v[80:81], v[56:57], -v[48:49]
	v_fmac_f64_e32 v[54:55], v[62:63], v[52:53]
	v_add_f64 v[48:49], v[78:79], v[48:49]
	v_fma_f64 v[76:77], v[60:61], v[52:53], -v[76:77]
	v_add_f64 v[78:79], v[54:55], v[86:87]
	v_mul_f64 v[52:53], v[62:63], v[58:59]
	v_mul_f64 v[54:55], v[60:61], v[58:59]
	v_fma_f64 v[52:53], v[60:61], v[56:57], -v[52:53]
	v_fmac_f64_e32 v[54:55], v[62:63], v[56:57]
	v_add_f64 v[60:61], v[92:93], v[52:53]
	v_add_f64 v[62:63], v[54:55], v[94:95]
	ds_read_b128 v[52:55], v18 offset:1024
	v_add_f64 v[76:77], v[84:85], v[76:77]
	s_waitcnt lgkmcnt(0)
	v_mul_f64 v[56:57], v[10:11], v[54:55]
	v_mul_f64 v[58:59], v[8:9], v[54:55]
	v_fma_f64 v[56:57], v[8:9], v[52:53], -v[56:57]
	v_fmac_f64_e32 v[58:59], v[10:11], v[52:53]
	v_add_f64 v[80:81], v[88:89], v[56:57]
	v_add_f64 v[82:83], v[58:59], v[90:91]
	ds_read_b128 v[56:59], v18 offset:1280
	s_waitcnt lgkmcnt(0)
	v_mul_f64 v[84:85], v[10:11], v[58:59]
	v_fma_f64 v[84:85], v[8:9], v[56:57], -v[84:85]
	v_mul_f64 v[8:9], v[8:9], v[58:59]
	v_fmac_f64_e32 v[8:9], v[10:11], v[56:57]
	v_add_f64 v[86:87], v[8:9], v[50:51]
	ds_read_b128 v[8:11], v64 offset:8224
	v_add_f64 v[84:85], v[48:49], v[84:85]
	s_waitcnt lgkmcnt(0)
	v_mul_f64 v[48:49], v[10:11], v[54:55]
	v_fma_f64 v[48:49], v[8:9], v[52:53], -v[48:49]
	v_mul_f64 v[50:51], v[8:9], v[54:55]
	v_fmac_f64_e32 v[50:51], v[10:11], v[52:53]
	v_add_f64 v[52:53], v[76:77], v[48:49]
	v_mul_f64 v[48:49], v[10:11], v[58:59]
	v_fma_f64 v[48:49], v[8:9], v[56:57], -v[48:49]
	v_mul_f64 v[8:9], v[8:9], v[58:59]
	v_fmac_f64_e32 v[8:9], v[10:11], v[56:57]
	v_add_f64 v[58:59], v[8:9], v[62:63]
	ds_read_b128 v[8:11], v18 offset:1536
	v_add_f64 v[54:55], v[50:51], v[78:79]
	v_add_f64 v[56:57], v[60:61], v[48:49]
	s_waitcnt lgkmcnt(0)
	v_mul_f64 v[48:49], v[6:7], v[10:11]
	v_mul_f64 v[50:51], v[4:5], v[10:11]
	v_fma_f64 v[48:49], v[4:5], v[8:9], -v[48:49]
	v_fmac_f64_e32 v[50:51], v[6:7], v[8:9]
	v_add_f64 v[60:61], v[80:81], v[48:49]
	v_add_f64 v[62:63], v[50:51], v[82:83]
	ds_read_b128 v[48:51], v18 offset:1792
	s_waitcnt lgkmcnt(0)
	v_mul_f64 v[76:77], v[6:7], v[50:51]
	v_fma_f64 v[76:77], v[4:5], v[48:49], -v[76:77]
	v_mul_f64 v[4:5], v[4:5], v[50:51]
	v_fmac_f64_e32 v[4:5], v[6:7], v[48:49]
	v_add_f64 v[78:79], v[4:5], v[86:87]
	ds_read_b128 v[4:7], v64 offset:8240
	v_add_f64 v[76:77], v[84:85], v[76:77]
	s_waitcnt lgkmcnt(0)
	v_mul_f64 v[80:81], v[6:7], v[10:11]
	v_mul_f64 v[10:11], v[4:5], v[10:11]
	v_fma_f64 v[80:81], v[4:5], v[8:9], -v[80:81]
	v_fmac_f64_e32 v[10:11], v[6:7], v[8:9]
	v_mul_f64 v[8:9], v[6:7], v[50:51]
	v_fma_f64 v[8:9], v[4:5], v[48:49], -v[8:9]
	v_mul_f64 v[4:5], v[4:5], v[50:51]
	v_fmac_f64_e32 v[4:5], v[6:7], v[48:49]
	v_add_f64 v[54:55], v[10:11], v[54:55]
	v_add_f64 v[56:57], v[56:57], v[8:9]
	;; [unrolled: 1-line block ×3, first 2 shown]
	ds_read_b128 v[4:7], v64 offset:64
	ds_read_b128 v[8:11], v18 offset:2048
	v_add_f64 v[52:53], v[52:53], v[80:81]
	s_waitcnt lgkmcnt(0)
	v_mul_f64 v[48:49], v[6:7], v[10:11]
	v_mul_f64 v[50:51], v[4:5], v[10:11]
	v_fma_f64 v[48:49], v[4:5], v[8:9], -v[48:49]
	v_fmac_f64_e32 v[50:51], v[6:7], v[8:9]
	v_add_f64 v[60:61], v[60:61], v[48:49]
	v_add_f64 v[62:63], v[50:51], v[62:63]
	ds_read_b128 v[48:51], v18 offset:2304
	s_waitcnt lgkmcnt(0)
	v_mul_f64 v[80:81], v[6:7], v[50:51]
	v_fma_f64 v[80:81], v[4:5], v[48:49], -v[80:81]
	v_mul_f64 v[4:5], v[4:5], v[50:51]
	v_fmac_f64_e32 v[4:5], v[6:7], v[48:49]
	v_add_f64 v[78:79], v[4:5], v[78:79]
	ds_read_b128 v[4:7], v64 offset:8256
	v_add_f64 v[76:77], v[76:77], v[80:81]
	s_waitcnt lgkmcnt(0)
	v_mul_f64 v[80:81], v[6:7], v[10:11]
	v_fma_f64 v[80:81], v[4:5], v[8:9], -v[80:81]
	v_mul_f64 v[10:11], v[4:5], v[10:11]
	v_fmac_f64_e32 v[10:11], v[6:7], v[8:9]
	v_add_f64 v[8:9], v[52:53], v[80:81]
	v_mul_f64 v[52:53], v[6:7], v[50:51]
	v_mul_f64 v[50:51], v[4:5], v[50:51]
	v_fma_f64 v[52:53], v[4:5], v[48:49], -v[52:53]
	v_fmac_f64_e32 v[50:51], v[6:7], v[48:49]
	v_add_f64 v[10:11], v[10:11], v[54:55]
	v_add_f64 v[4:5], v[56:57], v[52:53]
	v_add_f64 v[6:7], v[50:51], v[58:59]
	ds_read_b128 v[48:51], v64 offset:80
	ds_read_b128 v[52:55], v18 offset:2560
	s_waitcnt lgkmcnt(0)
	v_mul_f64 v[56:57], v[50:51], v[54:55]
	v_mul_f64 v[58:59], v[48:49], v[54:55]
	v_fma_f64 v[56:57], v[48:49], v[52:53], -v[56:57]
	v_fmac_f64_e32 v[58:59], v[50:51], v[52:53]
	v_add_f64 v[60:61], v[60:61], v[56:57]
	v_add_f64 v[62:63], v[58:59], v[62:63]
	ds_read_b128 v[56:59], v18 offset:2816
	s_waitcnt lgkmcnt(0)
	v_mul_f64 v[80:81], v[50:51], v[58:59]
	v_fma_f64 v[80:81], v[48:49], v[56:57], -v[80:81]
	v_mul_f64 v[48:49], v[48:49], v[58:59]
	v_fmac_f64_e32 v[48:49], v[50:51], v[56:57]
	v_add_f64 v[78:79], v[48:49], v[78:79]
	ds_read_b128 v[48:51], v64 offset:8272
	v_add_f64 v[76:77], v[76:77], v[80:81]
	s_waitcnt lgkmcnt(0)
	v_mul_f64 v[80:81], v[50:51], v[54:55]
	v_mul_f64 v[54:55], v[48:49], v[54:55]
	v_fma_f64 v[80:81], v[48:49], v[52:53], -v[80:81]
	v_fmac_f64_e32 v[54:55], v[50:51], v[52:53]
	v_add_f64 v[52:53], v[8:9], v[80:81]
	v_add_f64 v[54:55], v[54:55], v[10:11]
	v_mul_f64 v[8:9], v[50:51], v[58:59]
	v_mul_f64 v[10:11], v[48:49], v[58:59]
	v_fma_f64 v[8:9], v[48:49], v[56:57], -v[8:9]
	v_fmac_f64_e32 v[10:11], v[50:51], v[56:57]
	v_add_f64 v[56:57], v[4:5], v[8:9]
	v_add_f64 v[58:59], v[10:11], v[6:7]
	ds_read_b128 v[4:7], v64 offset:96
	ds_read_b128 v[8:11], v18 offset:3072
	s_waitcnt lgkmcnt(0)
	v_mul_f64 v[48:49], v[6:7], v[10:11]
	v_mul_f64 v[50:51], v[4:5], v[10:11]
	v_fma_f64 v[48:49], v[4:5], v[8:9], -v[48:49]
	v_fmac_f64_e32 v[50:51], v[6:7], v[8:9]
	v_add_f64 v[60:61], v[60:61], v[48:49]
	v_add_f64 v[62:63], v[50:51], v[62:63]
	ds_read_b128 v[48:51], v18 offset:3328
	s_waitcnt lgkmcnt(0)
	v_mul_f64 v[80:81], v[6:7], v[50:51]
	v_fma_f64 v[80:81], v[4:5], v[48:49], -v[80:81]
	v_mul_f64 v[4:5], v[4:5], v[50:51]
	v_fmac_f64_e32 v[4:5], v[6:7], v[48:49]
	v_add_f64 v[78:79], v[4:5], v[78:79]
	ds_read_b128 v[4:7], v64 offset:8288
	v_add_f64 v[76:77], v[76:77], v[80:81]
	s_waitcnt lgkmcnt(0)
	v_mul_f64 v[80:81], v[6:7], v[10:11]
	v_fma_f64 v[80:81], v[4:5], v[8:9], -v[80:81]
	v_mul_f64 v[10:11], v[4:5], v[10:11]
	v_fmac_f64_e32 v[10:11], v[6:7], v[8:9]
	v_add_f64 v[8:9], v[52:53], v[80:81]
	v_mul_f64 v[52:53], v[6:7], v[50:51]
	v_mul_f64 v[50:51], v[4:5], v[50:51]
	v_fma_f64 v[52:53], v[4:5], v[48:49], -v[52:53]
	v_fmac_f64_e32 v[50:51], v[6:7], v[48:49]
	v_add_f64 v[10:11], v[10:11], v[54:55]
	v_add_f64 v[4:5], v[56:57], v[52:53]
	v_add_f64 v[6:7], v[50:51], v[58:59]
	ds_read_b128 v[48:51], v64 offset:112
	ds_read_b128 v[52:55], v18 offset:3584
	s_waitcnt lgkmcnt(0)
	v_mul_f64 v[56:57], v[50:51], v[54:55]
	v_mul_f64 v[58:59], v[48:49], v[54:55]
	v_fma_f64 v[56:57], v[48:49], v[52:53], -v[56:57]
	v_fmac_f64_e32 v[58:59], v[50:51], v[52:53]
	v_add_f64 v[60:61], v[60:61], v[56:57]
	v_add_f64 v[62:63], v[58:59], v[62:63]
	ds_read_b128 v[56:59], v18 offset:3840
	s_waitcnt lgkmcnt(0)
	v_mul_f64 v[80:81], v[50:51], v[58:59]
	v_fma_f64 v[80:81], v[48:49], v[56:57], -v[80:81]
	v_mul_f64 v[48:49], v[48:49], v[58:59]
	v_fmac_f64_e32 v[48:49], v[50:51], v[56:57]
	v_add_f64 v[78:79], v[48:49], v[78:79]
	ds_read_b128 v[48:51], v64 offset:8304
	v_add_f64 v[76:77], v[76:77], v[80:81]
	s_waitcnt lgkmcnt(0)
	v_mul_f64 v[80:81], v[50:51], v[54:55]
	v_mul_f64 v[54:55], v[48:49], v[54:55]
	v_fma_f64 v[80:81], v[48:49], v[52:53], -v[80:81]
	v_fmac_f64_e32 v[54:55], v[50:51], v[52:53]
	v_add_f64 v[52:53], v[8:9], v[80:81]
	v_add_f64 v[54:55], v[54:55], v[10:11]
	v_mul_f64 v[8:9], v[50:51], v[58:59]
	v_mul_f64 v[10:11], v[48:49], v[58:59]
	v_fma_f64 v[8:9], v[48:49], v[56:57], -v[8:9]
	v_fmac_f64_e32 v[10:11], v[50:51], v[56:57]
	v_add_f64 v[56:57], v[4:5], v[8:9]
	v_add_f64 v[58:59], v[10:11], v[6:7]
	ds_read_b128 v[4:7], v64 offset:128
	ds_read_b128 v[8:11], v18 offset:4096
	;; [unrolled: 62-line block ×13, first 2 shown]
	s_waitcnt lgkmcnt(0)
	v_mul_f64 v[48:49], v[6:7], v[10:11]
	v_mul_f64 v[50:51], v[4:5], v[10:11]
	v_fma_f64 v[48:49], v[4:5], v[8:9], -v[48:49]
	v_fmac_f64_e32 v[50:51], v[6:7], v[8:9]
	v_add_f64 v[60:61], v[60:61], v[48:49]
	v_add_f64 v[62:63], v[50:51], v[62:63]
	ds_read_b128 v[48:51], v18 offset:15616
	s_waitcnt lgkmcnt(0)
	v_mul_f64 v[80:81], v[6:7], v[50:51]
	v_fma_f64 v[80:81], v[4:5], v[48:49], -v[80:81]
	v_mul_f64 v[4:5], v[4:5], v[50:51]
	v_fmac_f64_e32 v[4:5], v[6:7], v[48:49]
	v_add_f64 v[82:83], v[4:5], v[78:79]
	ds_read_b128 v[4:7], v64 offset:8672
	v_add_f64 v[80:81], v[76:77], v[80:81]
	s_waitcnt lgkmcnt(0)
	v_mul_f64 v[76:77], v[6:7], v[10:11]
	v_fma_f64 v[76:77], v[4:5], v[8:9], -v[76:77]
	v_mul_f64 v[10:11], v[4:5], v[10:11]
	v_fmac_f64_e32 v[10:11], v[6:7], v[8:9]
	v_add_f64 v[8:9], v[52:53], v[76:77]
	v_mul_f64 v[52:53], v[6:7], v[50:51]
	v_mul_f64 v[50:51], v[4:5], v[50:51]
	v_fma_f64 v[52:53], v[4:5], v[48:49], -v[52:53]
	v_fmac_f64_e32 v[50:51], v[6:7], v[48:49]
	v_add_f64 v[4:5], v[56:57], v[52:53]
	v_add_f64 v[6:7], v[50:51], v[58:59]
	ds_read_b128 v[48:51], v64 offset:496
	ds_read_b128 v[56:59], v18 offset:15872
	;; [unrolled: 1-line block ×3, first 2 shown]
	v_add_f64 v[10:11], v[10:11], v[54:55]
	s_waitcnt lgkmcnt(1)
	v_mul_f64 v[52:53], v[50:51], v[58:59]
	v_fma_f64 v[52:53], v[48:49], v[56:57], -v[52:53]
	v_add_f64 v[60:61], v[60:61], v[52:53]
	s_waitcnt lgkmcnt(0)
	v_mul_f64 v[52:53], v[50:51], v[78:79]
	v_mul_f64 v[54:55], v[48:49], v[58:59]
	v_fma_f64 v[52:53], v[48:49], v[76:77], -v[52:53]
	v_mul_f64 v[48:49], v[48:49], v[78:79]
	v_fmac_f64_e32 v[54:55], v[50:51], v[56:57]
	v_fmac_f64_e32 v[48:49], v[50:51], v[76:77]
	v_add_f64 v[62:63], v[54:55], v[62:63]
	v_add_f64 v[54:55], v[48:49], v[82:83]
	ds_read_b128 v[48:51], v64 offset:8688
	v_add_f64 v[52:53], v[80:81], v[52:53]
	s_waitcnt lgkmcnt(0)
	s_barrier
	v_mul_f64 v[80:81], v[50:51], v[58:59]
	v_mul_f64 v[58:59], v[48:49], v[58:59]
	v_fma_f64 v[80:81], v[48:49], v[56:57], -v[80:81]
	v_fmac_f64_e32 v[58:59], v[50:51], v[56:57]
	v_add_f64 v[56:57], v[8:9], v[80:81]
	v_add_f64 v[58:59], v[58:59], v[10:11]
	v_mul_f64 v[8:9], v[50:51], v[78:79]
	v_mul_f64 v[10:11], v[48:49], v[78:79]
	v_fma_f64 v[8:9], v[48:49], v[76:77], -v[8:9]
	v_fmac_f64_e32 v[10:11], v[50:51], v[76:77]
	v_add_f64 v[50:51], v[4:5], v[8:9]
	v_add_f64 v[48:49], v[10:11], v[6:7]
	s_cbranch_scc1 .LBB114_55
.LBB114_7:                              ;   Parent Loop BB114_4 Depth=1
                                        ; =>  This Inner Loop Header: Depth=2
	v_lshl_add_u64 v[8:9], v[12:13], 0, s[22:23]
	v_cmp_le_i64_e64 s[12:13], s[42:43], v[8:9]
	v_cmp_eq_u64_e64 s[4:5], s[22:23], v[24:25]
	v_cmp_gt_i64_e64 s[10:11], v[8:9], v[16:17]
	s_and_b64 s[26:27], s[40:41], s[4:5]
	s_or_b64 s[4:5], s[12:13], s[10:11]
	s_or_b64 s[4:5], s[4:5], s[26:27]
	v_lshl_add_u64 v[4:5], v[36:37], 0, s[20:21]
	s_nor_b64 s[4:5], s[0:1], s[4:5]
	s_and_saveexec_b64 s[24:25], s[4:5]
	s_xor_b64 s[4:5], exec, s[24:25]
	s_cbranch_execz .LBB114_9
; %bb.8:                                ;   in Loop: Header=BB114_7 Depth=2
	global_load_dwordx4 v[76:79], v[4:5], off offset:-256
	s_waitcnt vmcnt(0)
	ds_write2_b64 v43, v[76:77], v[78:79] offset1:1
.LBB114_9:                              ;   in Loop: Header=BB114_7 Depth=2
	s_or_saveexec_b64 s[4:5], s[4:5]
	s_xor_b64 s[24:25], s[26:27], -1
	s_xor_b64 exec, exec, s[4:5]
	s_cbranch_execz .LBB114_15
; %bb.10:                               ;   in Loop: Header=BB114_7 Depth=2
	s_and_saveexec_b64 s[30:31], s[24:25]
	s_xor_b64 s[30:31], exec, s[30:31]
; %bb.11:                               ;   in Loop: Header=BB114_7 Depth=2
	ds_write_b128 v43, v[72:75]
; %bb.12:                               ;   in Loop: Header=BB114_7 Depth=2
	s_andn2_saveexec_b64 s[30:31], s[30:31]
; %bb.13:                               ;   in Loop: Header=BB114_7 Depth=2
	ds_write_b128 v43, v[0:3]
; %bb.14:                               ;   in Loop: Header=BB114_7 Depth=2
	s_or_b64 exec, exec, s[30:31]
.LBB114_15:                             ;   in Loop: Header=BB114_7 Depth=2
	s_or_b64 exec, exec, s[4:5]
	v_cmp_eq_u64_e64 s[4:5], s[22:23], v[26:27]
	s_and_b64 s[30:31], s[40:41], s[4:5]
	v_cmp_lt_i64_e64 s[4:5], v[20:21], v[8:9]
	s_or_b64 s[4:5], s[12:13], s[4:5]
	s_or_b64 s[4:5], s[4:5], s[30:31]
	s_nor_b64 s[4:5], s[14:15], s[4:5]
	v_lshl_add_u64 v[6:7], v[40:41], 0, s[20:21]
	s_and_saveexec_b64 s[12:13], s[4:5]
	s_xor_b64 s[4:5], exec, s[12:13]
	s_cbranch_execz .LBB114_17
; %bb.16:                               ;   in Loop: Header=BB114_7 Depth=2
	global_load_dwordx4 v[76:79], v[6:7], off
	s_waitcnt vmcnt(0)
	ds_write2_b64 v66, v[76:77], v[78:79] offset1:1
.LBB114_17:                             ;   in Loop: Header=BB114_7 Depth=2
	s_andn2_saveexec_b64 s[4:5], s[4:5]
	s_cbranch_execz .LBB114_23
; %bb.18:                               ;   in Loop: Header=BB114_7 Depth=2
	s_xor_b64 s[12:13], s[30:31], -1
	s_and_saveexec_b64 s[30:31], s[12:13]
	s_xor_b64 s[12:13], exec, s[30:31]
; %bb.19:                               ;   in Loop: Header=BB114_7 Depth=2
	ds_write_b128 v43, v[72:75] offset:256
; %bb.20:                               ;   in Loop: Header=BB114_7 Depth=2
	s_andn2_saveexec_b64 s[12:13], s[12:13]
; %bb.21:                               ;   in Loop: Header=BB114_7 Depth=2
	ds_write_b128 v43, v[0:3] offset:256
; %bb.22:                               ;   in Loop: Header=BB114_7 Depth=2
	s_or_b64 exec, exec, s[12:13]
.LBB114_23:                             ;   in Loop: Header=BB114_7 Depth=2
	s_or_b64 exec, exec, s[4:5]
	v_lshl_add_u64 v[8:9], v[8:9], 0, 16
	v_cmp_eq_u64_e64 s[4:5], s[22:23], v[28:29]
	v_cmp_le_i64_e64 s[12:13], s[42:43], v[8:9]
	s_and_b64 s[30:31], s[40:41], s[4:5]
	v_cmp_gt_i64_e64 s[4:5], v[8:9], v[16:17]
	s_or_b64 s[4:5], s[12:13], s[4:5]
	s_or_b64 s[4:5], s[4:5], s[30:31]
	s_nor_b64 s[4:5], s[0:1], s[4:5]
	s_and_saveexec_b64 s[48:49], s[4:5]
	s_xor_b64 s[4:5], exec, s[48:49]
	s_cbranch_execz .LBB114_25
; %bb.24:                               ;   in Loop: Header=BB114_7 Depth=2
	global_load_dwordx4 v[8:11], v[4:5], off
	s_waitcnt vmcnt(0)
	ds_write2_b64 v67, v[8:9], v[10:11] offset1:1
.LBB114_25:                             ;   in Loop: Header=BB114_7 Depth=2
	s_andn2_saveexec_b64 s[4:5], s[4:5]
	s_cbranch_execz .LBB114_31
; %bb.26:                               ;   in Loop: Header=BB114_7 Depth=2
	s_xor_b64 s[30:31], s[30:31], -1
	s_and_saveexec_b64 s[48:49], s[30:31]
	s_xor_b64 s[30:31], exec, s[48:49]
; %bb.27:                               ;   in Loop: Header=BB114_7 Depth=2
	ds_write_b128 v43, v[72:75] offset:8192
; %bb.28:                               ;   in Loop: Header=BB114_7 Depth=2
	s_andn2_saveexec_b64 s[30:31], s[30:31]
; %bb.29:                               ;   in Loop: Header=BB114_7 Depth=2
	ds_write_b128 v43, v[0:3] offset:8192
; %bb.30:                               ;   in Loop: Header=BB114_7 Depth=2
	s_or_b64 exec, exec, s[30:31]
.LBB114_31:                             ;   in Loop: Header=BB114_7 Depth=2
	s_or_b64 exec, exec, s[4:5]
	s_or_b64 s[4:5], s[12:13], s[10:11]
	s_or_b64 s[4:5], s[4:5], s[26:27]
	s_nor_b64 s[4:5], s[14:15], s[4:5]
	s_and_saveexec_b64 s[10:11], s[4:5]
	s_xor_b64 s[4:5], exec, s[10:11]
	s_cbranch_execz .LBB114_33
; %bb.32:                               ;   in Loop: Header=BB114_7 Depth=2
	global_load_dwordx4 v[4:7], v[6:7], off offset:256
	s_waitcnt vmcnt(0)
	ds_write2_b64 v68, v[4:5], v[6:7] offset1:1
.LBB114_33:                             ;   in Loop: Header=BB114_7 Depth=2
	s_andn2_saveexec_b64 s[4:5], s[4:5]
	s_cbranch_execz .LBB114_39
; %bb.34:                               ;   in Loop: Header=BB114_7 Depth=2
	s_and_saveexec_b64 s[10:11], s[24:25]
	s_xor_b64 s[10:11], exec, s[10:11]
; %bb.35:                               ;   in Loop: Header=BB114_7 Depth=2
	ds_write_b128 v43, v[72:75] offset:8448
; %bb.36:                               ;   in Loop: Header=BB114_7 Depth=2
	s_andn2_saveexec_b64 s[10:11], s[10:11]
; %bb.37:                               ;   in Loop: Header=BB114_7 Depth=2
	ds_write_b128 v43, v[0:3] offset:8448
; %bb.38:                               ;   in Loop: Header=BB114_7 Depth=2
	s_or_b64 exec, exec, s[10:11]
.LBB114_39:                             ;   in Loop: Header=BB114_7 Depth=2
	s_or_b64 exec, exec, s[4:5]
	v_lshl_add_u64 v[6:7], v[14:15], 0, s[22:23]
	v_cmp_gt_i64_e64 s[10:11], s[42:43], v[6:7]
	s_and_b64 s[4:5], vcc, s[10:11]
	s_xor_b64 s[4:5], s[4:5], -1
	s_and_saveexec_b64 s[12:13], s[4:5]
	s_xor_b64 s[4:5], exec, s[12:13]
; %bb.40:                               ;   in Loop: Header=BB114_7 Depth=2
	ds_write_b128 v65, v[72:75]
; %bb.41:                               ;   in Loop: Header=BB114_7 Depth=2
	s_or_saveexec_b64 s[4:5], s[4:5]
	v_lshl_add_u64 v[4:5], v[44:45], 0, s[20:21]
	s_xor_b64 exec, exec, s[4:5]
	s_cbranch_execz .LBB114_43
; %bb.42:                               ;   in Loop: Header=BB114_7 Depth=2
	global_load_dwordx4 v[8:11], v[4:5], off offset:-256
	s_waitcnt vmcnt(0)
	ds_write2_b64 v65, v[8:9], v[10:11] offset1:1
.LBB114_43:                             ;   in Loop: Header=BB114_7 Depth=2
	s_or_b64 exec, exec, s[4:5]
	v_cmp_gt_i64_e64 s[12:13], s[54:55], v[6:7]
	s_and_b64 s[4:5], vcc, s[12:13]
	s_xor_b64 s[4:5], s[4:5], -1
	s_and_saveexec_b64 s[24:25], s[4:5]
	s_xor_b64 s[4:5], exec, s[24:25]
; %bb.44:                               ;   in Loop: Header=BB114_7 Depth=2
	ds_write_b128 v65, v[72:75] offset:256
                                        ; implicit-def: $vgpr4_vgpr5
; %bb.45:                               ;   in Loop: Header=BB114_7 Depth=2
	s_andn2_saveexec_b64 s[4:5], s[4:5]
	s_cbranch_execz .LBB114_47
; %bb.46:                               ;   in Loop: Header=BB114_7 Depth=2
	global_load_dwordx4 v[4:7], v[4:5], off
	s_waitcnt vmcnt(0)
	ds_write2_b64 v69, v[4:5], v[6:7] offset1:1
.LBB114_47:                             ;   in Loop: Header=BB114_7 Depth=2
	s_or_b64 exec, exec, s[4:5]
	s_and_b64 s[4:5], s[8:9], s[10:11]
	s_xor_b64 s[4:5], s[4:5], -1
	s_and_saveexec_b64 s[10:11], s[4:5]
	s_xor_b64 s[4:5], exec, s[10:11]
; %bb.48:                               ;   in Loop: Header=BB114_7 Depth=2
	ds_write_b128 v65, v[72:75] offset:8192
; %bb.49:                               ;   in Loop: Header=BB114_7 Depth=2
	s_or_saveexec_b64 s[4:5], s[4:5]
	v_lshl_add_u64 v[4:5], v[46:47], 0, s[20:21]
	s_xor_b64 exec, exec, s[4:5]
	s_cbranch_execz .LBB114_51
; %bb.50:                               ;   in Loop: Header=BB114_7 Depth=2
	global_load_dwordx4 v[6:9], v[4:5], off
	s_waitcnt vmcnt(0)
	ds_write2_b64 v70, v[6:7], v[8:9] offset1:1
.LBB114_51:                             ;   in Loop: Header=BB114_7 Depth=2
	s_or_b64 exec, exec, s[4:5]
	s_and_b64 s[4:5], s[8:9], s[12:13]
	s_xor_b64 s[4:5], s[4:5], -1
	s_and_saveexec_b64 s[10:11], s[4:5]
	s_xor_b64 s[4:5], exec, s[10:11]
; %bb.52:                               ;   in Loop: Header=BB114_7 Depth=2
	ds_write_b128 v65, v[72:75] offset:8448
                                        ; implicit-def: $vgpr4_vgpr5
; %bb.53:                               ;   in Loop: Header=BB114_7 Depth=2
	s_andn2_saveexec_b64 s[4:5], s[4:5]
	s_cbranch_execz .LBB114_6
; %bb.54:                               ;   in Loop: Header=BB114_7 Depth=2
	global_load_dwordx4 v[4:7], v[4:5], off offset:256
	s_waitcnt vmcnt(0)
	ds_write2_b64 v71, v[4:5], v[6:7] offset1:1
	s_branch .LBB114_6
.LBB114_55:                             ;   in Loop: Header=BB114_4 Depth=1
	v_mul_lo_u32 v6, s53, v42
	v_mul_lo_u32 v7, s52, v19
	v_mad_u64_u32 v[4:5], s[4:5], s52, v42, 0
	v_cmp_gt_i32_e32 vcc, s50, v42
	v_add3_u32 v5, v5, v7, v6
	v_lshl_add_u64 v[4:5], v[4:5], 4, s[18:19]
	s_and_b64 s[8:9], s[16:17], vcc
	s_and_saveexec_b64 s[4:5], s[8:9]
	s_cbranch_execz .LBB114_57
; %bb.56:                               ;   in Loop: Header=BB114_4 Depth=1
	v_lshl_add_u64 v[10:11], v[16:17], 4, v[4:5]
	global_load_dwordx4 v[6:9], v[10:11], off
	v_mul_f64 v[44:45], s[46:47], v[62:63]
	v_mul_f64 v[46:47], s[44:45], v[62:63]
	v_fma_f64 v[44:45], s[44:45], v[60:61], -v[44:45]
	v_fmac_f64_e32 v[46:47], s[46:47], v[60:61]
	s_waitcnt vmcnt(0)
	v_add_f64 v[6:7], v[6:7], v[44:45]
	v_add_f64 v[8:9], v[46:47], v[8:9]
	global_store_dwordx4 v[10:11], v[6:9], off
.LBB114_57:                             ;   in Loop: Header=BB114_4 Depth=1
	s_or_b64 exec, exec, s[4:5]
	s_and_b64 s[8:9], s[6:7], vcc
	s_and_saveexec_b64 s[4:5], s[8:9]
	s_cbranch_execz .LBB114_59
; %bb.58:                               ;   in Loop: Header=BB114_4 Depth=1
	v_lshl_add_u64 v[8:9], v[22:23], 4, v[4:5]
	global_load_dwordx4 v[4:7], v[8:9], off
	v_mul_f64 v[10:11], s[46:47], v[54:55]
	v_mul_f64 v[44:45], s[44:45], v[54:55]
	v_fma_f64 v[10:11], s[44:45], v[52:53], -v[10:11]
	v_fmac_f64_e32 v[44:45], s[46:47], v[52:53]
	s_waitcnt vmcnt(0)
	v_add_f64 v[4:5], v[4:5], v[10:11]
	v_add_f64 v[6:7], v[44:45], v[6:7]
	global_store_dwordx4 v[8:9], v[4:7], off
.LBB114_59:                             ;   in Loop: Header=BB114_4 Depth=1
	s_or_b64 exec, exec, s[4:5]
	s_nop 0
	v_add_u32_e32 v4, 16, v42
	v_ashrrev_i32_e32 v5, 31, v4
	v_cmp_gt_i32_e32 vcc, s50, v4
	v_mul_lo_u32 v6, s52, v5
	v_mul_lo_u32 v7, s53, v4
	v_mad_u64_u32 v[4:5], s[4:5], s52, v4, 0
	v_add3_u32 v5, v5, v6, v7
	v_lshl_add_u64 v[4:5], v[4:5], 4, s[18:19]
	s_and_b64 s[8:9], s[16:17], vcc
	s_and_saveexec_b64 s[4:5], s[8:9]
	s_cbranch_execz .LBB114_61
; %bb.60:                               ;   in Loop: Header=BB114_4 Depth=1
	v_lshl_add_u64 v[10:11], v[16:17], 4, v[4:5]
	global_load_dwordx4 v[6:9], v[10:11], off
	v_mul_f64 v[44:45], s[46:47], v[58:59]
	v_mul_f64 v[46:47], s[44:45], v[58:59]
	v_fma_f64 v[44:45], s[44:45], v[56:57], -v[44:45]
	v_fmac_f64_e32 v[46:47], s[46:47], v[56:57]
	s_waitcnt vmcnt(0)
	v_add_f64 v[6:7], v[6:7], v[44:45]
	v_add_f64 v[8:9], v[46:47], v[8:9]
	global_store_dwordx4 v[10:11], v[6:9], off
.LBB114_61:                             ;   in Loop: Header=BB114_4 Depth=1
	s_or_b64 exec, exec, s[4:5]
	s_and_b64 s[8:9], s[6:7], vcc
	s_and_saveexec_b64 s[4:5], s[8:9]
	s_cbranch_execz .LBB114_3
; %bb.62:                               ;   in Loop: Header=BB114_4 Depth=1
	v_lshl_add_u64 v[8:9], v[22:23], 4, v[4:5]
	global_load_dwordx4 v[4:7], v[8:9], off
	v_mul_f64 v[10:11], s[46:47], v[48:49]
	v_mul_f64 v[44:45], s[44:45], v[48:49]
	v_fma_f64 v[10:11], s[44:45], v[50:51], -v[10:11]
	v_fmac_f64_e32 v[44:45], s[46:47], v[50:51]
	s_waitcnt vmcnt(0)
	v_add_f64 v[4:5], v[4:5], v[10:11]
	v_add_f64 v[6:7], v[44:45], v[6:7]
	global_store_dwordx4 v[8:9], v[4:7], off
	s_branch .LBB114_3
.LBB114_63:
	s_endpgm
	.section	.rodata,"a",@progbits
	.p2align	6, 0x0
	.amdhsa_kernel _ZL30rocblas_trmm_outofplace_kernelI19rocblas_complex_numIdELi32ELi2ELb1ELb1ELb1ELb0EPKS1_S2_S1_Ev17rocblas_diagonal_iiT6_lPT7_lllS7_lllPT8_llli
		.amdhsa_group_segment_fixed_size 32768
		.amdhsa_private_segment_fixed_size 0
		.amdhsa_kernarg_size 392
		.amdhsa_user_sgpr_count 2
		.amdhsa_user_sgpr_dispatch_ptr 0
		.amdhsa_user_sgpr_queue_ptr 0
		.amdhsa_user_sgpr_kernarg_segment_ptr 1
		.amdhsa_user_sgpr_dispatch_id 0
		.amdhsa_user_sgpr_kernarg_preload_length 0
		.amdhsa_user_sgpr_kernarg_preload_offset 0
		.amdhsa_user_sgpr_private_segment_size 0
		.amdhsa_uses_dynamic_stack 0
		.amdhsa_enable_private_segment 0
		.amdhsa_system_sgpr_workgroup_id_x 1
		.amdhsa_system_sgpr_workgroup_id_y 1
		.amdhsa_system_sgpr_workgroup_id_z 1
		.amdhsa_system_sgpr_workgroup_info 0
		.amdhsa_system_vgpr_workitem_id 1
		.amdhsa_next_free_vgpr 96
		.amdhsa_next_free_sgpr 57
		.amdhsa_accum_offset 96
		.amdhsa_reserve_vcc 1
		.amdhsa_float_round_mode_32 0
		.amdhsa_float_round_mode_16_64 0
		.amdhsa_float_denorm_mode_32 3
		.amdhsa_float_denorm_mode_16_64 3
		.amdhsa_dx10_clamp 1
		.amdhsa_ieee_mode 1
		.amdhsa_fp16_overflow 0
		.amdhsa_tg_split 0
		.amdhsa_exception_fp_ieee_invalid_op 0
		.amdhsa_exception_fp_denorm_src 0
		.amdhsa_exception_fp_ieee_div_zero 0
		.amdhsa_exception_fp_ieee_overflow 0
		.amdhsa_exception_fp_ieee_underflow 0
		.amdhsa_exception_fp_ieee_inexact 0
		.amdhsa_exception_int_div_zero 0
	.end_amdhsa_kernel
	.section	.text._ZL30rocblas_trmm_outofplace_kernelI19rocblas_complex_numIdELi32ELi2ELb1ELb1ELb1ELb0EPKS1_S2_S1_Ev17rocblas_diagonal_iiT6_lPT7_lllS7_lllPT8_llli,"axG",@progbits,_ZL30rocblas_trmm_outofplace_kernelI19rocblas_complex_numIdELi32ELi2ELb1ELb1ELb1ELb0EPKS1_S2_S1_Ev17rocblas_diagonal_iiT6_lPT7_lllS7_lllPT8_llli,comdat
.Lfunc_end114:
	.size	_ZL30rocblas_trmm_outofplace_kernelI19rocblas_complex_numIdELi32ELi2ELb1ELb1ELb1ELb0EPKS1_S2_S1_Ev17rocblas_diagonal_iiT6_lPT7_lllS7_lllPT8_llli, .Lfunc_end114-_ZL30rocblas_trmm_outofplace_kernelI19rocblas_complex_numIdELi32ELi2ELb1ELb1ELb1ELb0EPKS1_S2_S1_Ev17rocblas_diagonal_iiT6_lPT7_lllS7_lllPT8_llli
                                        ; -- End function
	.set _ZL30rocblas_trmm_outofplace_kernelI19rocblas_complex_numIdELi32ELi2ELb1ELb1ELb1ELb0EPKS1_S2_S1_Ev17rocblas_diagonal_iiT6_lPT7_lllS7_lllPT8_llli.num_vgpr, 96
	.set _ZL30rocblas_trmm_outofplace_kernelI19rocblas_complex_numIdELi32ELi2ELb1ELb1ELb1ELb0EPKS1_S2_S1_Ev17rocblas_diagonal_iiT6_lPT7_lllS7_lllPT8_llli.num_agpr, 0
	.set _ZL30rocblas_trmm_outofplace_kernelI19rocblas_complex_numIdELi32ELi2ELb1ELb1ELb1ELb0EPKS1_S2_S1_Ev17rocblas_diagonal_iiT6_lPT7_lllS7_lllPT8_llli.numbered_sgpr, 57
	.set _ZL30rocblas_trmm_outofplace_kernelI19rocblas_complex_numIdELi32ELi2ELb1ELb1ELb1ELb0EPKS1_S2_S1_Ev17rocblas_diagonal_iiT6_lPT7_lllS7_lllPT8_llli.num_named_barrier, 0
	.set _ZL30rocblas_trmm_outofplace_kernelI19rocblas_complex_numIdELi32ELi2ELb1ELb1ELb1ELb0EPKS1_S2_S1_Ev17rocblas_diagonal_iiT6_lPT7_lllS7_lllPT8_llli.private_seg_size, 0
	.set _ZL30rocblas_trmm_outofplace_kernelI19rocblas_complex_numIdELi32ELi2ELb1ELb1ELb1ELb0EPKS1_S2_S1_Ev17rocblas_diagonal_iiT6_lPT7_lllS7_lllPT8_llli.uses_vcc, 1
	.set _ZL30rocblas_trmm_outofplace_kernelI19rocblas_complex_numIdELi32ELi2ELb1ELb1ELb1ELb0EPKS1_S2_S1_Ev17rocblas_diagonal_iiT6_lPT7_lllS7_lllPT8_llli.uses_flat_scratch, 0
	.set _ZL30rocblas_trmm_outofplace_kernelI19rocblas_complex_numIdELi32ELi2ELb1ELb1ELb1ELb0EPKS1_S2_S1_Ev17rocblas_diagonal_iiT6_lPT7_lllS7_lllPT8_llli.has_dyn_sized_stack, 0
	.set _ZL30rocblas_trmm_outofplace_kernelI19rocblas_complex_numIdELi32ELi2ELb1ELb1ELb1ELb0EPKS1_S2_S1_Ev17rocblas_diagonal_iiT6_lPT7_lllS7_lllPT8_llli.has_recursion, 0
	.set _ZL30rocblas_trmm_outofplace_kernelI19rocblas_complex_numIdELi32ELi2ELb1ELb1ELb1ELb0EPKS1_S2_S1_Ev17rocblas_diagonal_iiT6_lPT7_lllS7_lllPT8_llli.has_indirect_call, 0
	.section	.AMDGPU.csdata,"",@progbits
; Kernel info:
; codeLenInByte = 9212
; TotalNumSgprs: 63
; NumVgprs: 96
; NumAgprs: 0
; TotalNumVgprs: 96
; ScratchSize: 0
; MemoryBound: 0
; FloatMode: 240
; IeeeMode: 1
; LDSByteSize: 32768 bytes/workgroup (compile time only)
; SGPRBlocks: 7
; VGPRBlocks: 11
; NumSGPRsForWavesPerEU: 63
; NumVGPRsForWavesPerEU: 96
; AccumOffset: 96
; Occupancy: 5
; WaveLimiterHint : 0
; COMPUTE_PGM_RSRC2:SCRATCH_EN: 0
; COMPUTE_PGM_RSRC2:USER_SGPR: 2
; COMPUTE_PGM_RSRC2:TRAP_HANDLER: 0
; COMPUTE_PGM_RSRC2:TGID_X_EN: 1
; COMPUTE_PGM_RSRC2:TGID_Y_EN: 1
; COMPUTE_PGM_RSRC2:TGID_Z_EN: 1
; COMPUTE_PGM_RSRC2:TIDIG_COMP_CNT: 1
; COMPUTE_PGM_RSRC3_GFX90A:ACCUM_OFFSET: 23
; COMPUTE_PGM_RSRC3_GFX90A:TG_SPLIT: 0
	.section	.text._ZL30rocblas_trmm_outofplace_kernelI19rocblas_complex_numIdELi32ELi2ELb1ELb1ELb1ELb0ES1_KS1_S1_Ev17rocblas_diagonal_iiT6_lPT7_lllS6_lllPT8_llli,"axG",@progbits,_ZL30rocblas_trmm_outofplace_kernelI19rocblas_complex_numIdELi32ELi2ELb1ELb1ELb1ELb0ES1_KS1_S1_Ev17rocblas_diagonal_iiT6_lPT7_lllS6_lllPT8_llli,comdat
	.globl	_ZL30rocblas_trmm_outofplace_kernelI19rocblas_complex_numIdELi32ELi2ELb1ELb1ELb1ELb0ES1_KS1_S1_Ev17rocblas_diagonal_iiT6_lPT7_lllS6_lllPT8_llli ; -- Begin function _ZL30rocblas_trmm_outofplace_kernelI19rocblas_complex_numIdELi32ELi2ELb1ELb1ELb1ELb0ES1_KS1_S1_Ev17rocblas_diagonal_iiT6_lPT7_lllS6_lllPT8_llli
	.p2align	8
	.type	_ZL30rocblas_trmm_outofplace_kernelI19rocblas_complex_numIdELi32ELi2ELb1ELb1ELb1ELb0ES1_KS1_S1_Ev17rocblas_diagonal_iiT6_lPT7_lllS6_lllPT8_llli,@function
_ZL30rocblas_trmm_outofplace_kernelI19rocblas_complex_numIdELi32ELi2ELb1ELb1ELb1ELb0ES1_KS1_S1_Ev17rocblas_diagonal_iiT6_lPT7_lllS6_lllPT8_llli: ; @_ZL30rocblas_trmm_outofplace_kernelI19rocblas_complex_numIdELi32ELi2ELb1ELb1ELb1ELb0ES1_KS1_S1_Ev17rocblas_diagonal_iiT6_lPT7_lllS6_lllPT8_llli
; %bb.0:
	s_load_dwordx4 s[24:27], s[0:1], 0x10
	s_waitcnt lgkmcnt(0)
	v_cmp_eq_f64_e64 s[6:7], s[24:25], 0
	v_cmp_eq_f64_e64 s[8:9], s[26:27], 0
	s_and_b64 s[6:7], s[6:7], s[8:9]
	s_and_b64 vcc, exec, s[6:7]
	s_cbranch_vccnz .LBB115_63
; %bb.1:
	s_load_dwordx4 s[28:31], s[0:1], 0x0
	s_waitcnt lgkmcnt(0)
	s_add_i32 s5, s30, -1
	s_ashr_i32 s6, s5, 31
	s_lshr_b32 s6, s6, 27
	s_add_i32 s5, s5, s6
	s_ashr_i32 s31, s5, 5
	s_cmp_gt_i32 s3, s31
	s_cbranch_scc1 .LBB115_63
; %bb.2:
	s_load_dwordx8 s[16:23], s[0:1], 0x68
	s_load_dwordx16 s[36:51], s[0:1], 0x28
	v_bfe_u32 v12, v0, 10, 10
	v_and_b32_e32 v14, 0x3ff, v0
	s_load_dword s56, s[0:1], 0x94
	s_waitcnt lgkmcnt(0)
	s_mul_i32 s5, s23, s4
	s_mul_hi_u32 s7, s22, s4
	s_mul_i32 s6, s22, s4
	s_add_i32 s7, s7, s5
	s_lshl_b64 s[6:7], s[6:7], 4
	s_add_u32 s5, s16, s6
	s_addc_u32 s8, s17, s7
	s_lshl_b64 s[6:7], s[18:19], 4
	s_add_u32 s22, s5, s6
	s_addc_u32 s23, s8, s7
	s_lshl_b32 s33, s2, 5
	s_cmp_gt_i32 s2, -1
	s_cselect_b64 s[8:9], -1, 0
	s_cmpk_eq_i32 s28, 0x84
	s_cselect_b64 s[34:35], -1, 0
	s_ashr_i32 s53, s29, 31
	s_ashr_i32 s2, s30, 31
	s_add_u32 s54, s29, -16
	s_mul_i32 s5, s51, s4
	s_mul_hi_u32 s10, s50, s4
	s_addc_u32 s55, s53, -1
	s_add_i32 s11, s10, s5
	s_mul_i32 s10, s50, s4
	s_lshl_b64 s[10:11], s[10:11], 4
	s_lshl_b64 s[12:13], s[46:47], 4
	v_add_u32_e32 v16, s33, v14
	v_lshlrev_b32_e32 v0, 9, v12
	v_lshlrev_b32_e32 v18, 4, v14
	s_add_u32 s5, s10, s12
	v_add_u32_e32 v43, v18, v0
	v_add_u32_e32 v64, 0x4000, v0
	s_addc_u32 s11, s11, s13
	v_mad_u64_u32 v[0:1], s[12:13], s40, v16, 0
	s_add_u32 s10, s44, s5
	s_mul_i32 s5, s43, s4
	s_mul_hi_u32 s12, s42, s4
	v_add_u32_e32 v22, 16, v16
	s_addc_u32 s11, s45, s11
	s_add_i32 s5, s12, s5
	s_mul_i32 s4, s42, s4
	v_ashrrev_i32_e32 v17, 31, v16
	s_mov_b32 s52, s29
	v_cmp_le_i32_e64 s[0:1], s29, v16
	v_cmp_gt_i32_e64 s[18:19], s29, v16
	v_cmp_gt_i32_e64 s[6:7], s29, v22
	s_lshl_b64 s[28:29], s[48:49], 4
	s_lshl_b32 s46, s56, 5
	s_lshl_b64 s[4:5], s[4:5], 4
	s_lshl_b64 s[12:13], s[38:39], 4
	v_mul_lo_u32 v2, s40, v17
	v_mul_lo_u32 v3, s41, v16
	s_add_u32 s4, s12, s4
	v_mov_b32_e32 v13, 0
	v_add3_u32 v1, v1, v2, v3
	s_addc_u32 s5, s13, s5
	v_lshl_add_u64 v[0:1], v[0:1], 4, s[4:5]
	v_lshlrev_b32_e32 v4, 4, v12
	v_mov_b32_e32 v5, v13
	v_mov_b32_e32 v19, v13
	v_lshl_add_u64 v[0:1], v[0:1], 0, v[4:5]
	v_lshl_add_u64 v[30:31], s[10:11], 0, v[18:19]
	s_mov_b64 s[10:11], 0x100
	v_lshl_add_u64 v[0:1], s[36:37], 0, v[0:1]
	v_mov_b64_e32 v[38:39], 0x100
	v_mov_b64_e32 v[2:3], s[4:5]
	v_lshl_add_u64 v[36:37], v[0:1], 0, s[10:11]
	v_lshl_add_u64 v[0:1], v[16:17], 4, v[38:39]
	v_mul_lo_u32 v6, s40, v1
	v_mul_lo_u32 v7, s41, v0
	v_mad_u64_u32 v[0:1], s[4:5], s40, v0, v[2:3]
	v_add3_u32 v1, v7, v1, v6
	v_sub_co_u32_e32 v24, vcc, v16, v12
	v_lshl_add_u64 v[0:1], v[0:1], 0, v[4:5]
	v_add_u32_e32 v65, v64, v18
	v_lshl_add_u64 v[20:21], v[16:17], 0, 16
	v_subbrev_co_u32_e32 v25, vcc, 0, v17, vcc
	v_lshl_add_u64 v[40:41], s[36:37], 0, v[0:1]
	v_cndmask_b32_e64 v0, 0, 1, s[8:9]
	v_mov_b32_e32 v15, v13
	v_cmp_le_i64_e64 s[16:17], s[52:53], v[20:21]
	v_add_u32_e32 v66, 0x100, v43
	v_add_u32_e32 v67, 0x2000, v43
	;; [unrolled: 1-line block ×6, first 2 shown]
	v_ashrrev_i32_e32 v23, 31, v22
	v_lshl_add_u64 v[26:27], v[24:25], 0, 16
	v_lshl_add_u64 v[28:29], v[24:25], 0, -16
	v_lshl_add_u64 v[32:33], v[30:31], 0, s[10:11]
	v_lshl_add_u32 v34, s3, 5, v12
	v_cmp_ne_u32_e64 s[8:9], 1, v0
	v_mov_b32_e32 v72, v13
	v_mov_b32_e32 v73, v13
	;; [unrolled: 1-line block ×8, first 2 shown]
	s_branch .LBB115_4
.LBB115_3:                              ;   in Loop: Header=BB115_4 Depth=1
	s_or_b64 exec, exec, s[4:5]
	s_add_i32 s3, s56, s3
	s_cmp_le_i32 s3, s31
	v_add_u32_e32 v34, s46, v34
	s_cbranch_scc0 .LBB115_63
.LBB115_4:                              ; =>This Loop Header: Depth=1
                                        ;     Child Loop BB115_7 Depth 2
	v_lshl_add_u32 v42, s3, 5, v12
	v_ashrrev_i32_e32 v19, 31, v42
	v_mov_b64_e32 v[60:61], 0
	s_and_b64 vcc, exec, s[8:9]
	v_mov_b64_e32 v[62:63], 0
	v_mov_b64_e32 v[52:53], 0
	;; [unrolled: 1-line block ×7, first 2 shown]
	s_cbranch_vccnz .LBB115_55
; %bb.5:                                ;   in Loop: Header=BB115_4 Depth=1
	v_ashrrev_i32_e32 v35, 31, v34
	v_mad_u64_u32 v[44:45], s[4:5], s28, v34, v[32:33]
	v_mul_lo_u32 v4, s29, v34
	v_mul_lo_u32 v5, s28, v35
	v_add3_u32 v45, v4, v45, v5
	v_lshl_add_u64 v[4:5], v[34:35], 4, v[38:39]
	v_mul_lo_u32 v5, s48, v5
	v_mul_lo_u32 v6, s49, v4
	v_mad_u64_u32 v[46:47], s[4:5], s48, v4, v[30:31]
	v_add3_u32 v47, v6, v47, v5
	v_mov_b32_e32 v5, s2
	v_sub_co_u32_e32 v4, vcc, s30, v42
	s_mov_b64 s[36:37], 0
	s_nop 0
	v_subb_co_u32_e32 v5, vcc, v5, v19, vcc
	v_cmp_lt_i64_e32 vcc, 0, v[4:5]
	v_cmp_lt_i64_e64 s[10:11], 16, v[4:5]
	v_mov_b64_e32 v[48:49], 0
	s_mov_b64 s[38:39], 0
	v_mov_b64_e32 v[50:51], 0
	v_mov_b64_e32 v[58:59], 0
	;; [unrolled: 1-line block ×7, first 2 shown]
	s_branch .LBB115_7
.LBB115_6:                              ;   in Loop: Header=BB115_7 Depth=2
	s_or_b64 exec, exec, s[4:5]
	s_waitcnt lgkmcnt(0)
	s_barrier
	ds_read_b128 v[76:79], v64
	ds_read_b128 v[80:83], v64 offset:16
	ds_read_b128 v[8:11], v64 offset:32
	;; [unrolled: 1-line block ×3, first 2 shown]
	ds_read_b128 v[84:87], v18
	s_add_u32 s38, s38, 32
	s_addc_u32 s39, s39, 0
	s_sub_i32 s4, s38, 32
	s_add_u32 s36, s36, 0x200
	s_waitcnt lgkmcnt(0)
	v_mul_f64 v[88:89], v[78:79], v[86:87]
	v_mul_f64 v[90:91], v[76:77], v[86:87]
	v_fma_f64 v[88:89], v[76:77], v[84:85], -v[88:89]
	v_fmac_f64_e32 v[90:91], v[78:79], v[84:85]
	v_add_f64 v[88:89], v[60:61], v[88:89]
	v_add_f64 v[90:91], v[90:91], v[62:63]
	ds_read_b128 v[60:63], v18 offset:256
	s_addc_u32 s37, s37, 0
	s_cmp_ge_i32 s4, s33
	s_waitcnt lgkmcnt(0)
	v_mul_f64 v[92:93], v[78:79], v[62:63]
	v_fma_f64 v[92:93], v[76:77], v[60:61], -v[92:93]
	v_mul_f64 v[76:77], v[76:77], v[62:63]
	v_fmac_f64_e32 v[76:77], v[78:79], v[60:61]
	v_add_f64 v[78:79], v[52:53], v[92:93]
	v_add_f64 v[76:77], v[76:77], v[54:55]
	ds_read_b128 v[52:55], v64 offset:8192
	s_waitcnt lgkmcnt(0)
	v_mul_f64 v[92:93], v[54:55], v[86:87]
	v_fma_f64 v[92:93], v[52:53], v[84:85], -v[92:93]
	v_mul_f64 v[86:87], v[52:53], v[86:87]
	v_fmac_f64_e32 v[86:87], v[54:55], v[84:85]
	v_add_f64 v[84:85], v[56:57], v[92:93]
	v_mul_f64 v[56:57], v[54:55], v[62:63]
	v_fma_f64 v[56:57], v[52:53], v[60:61], -v[56:57]
	v_mul_f64 v[52:53], v[52:53], v[62:63]
	v_fmac_f64_e32 v[52:53], v[54:55], v[60:61]
	v_add_f64 v[94:95], v[52:53], v[48:49]
	ds_read_b128 v[52:55], v18 offset:512
	v_add_f64 v[86:87], v[86:87], v[58:59]
	v_add_f64 v[92:93], v[50:51], v[56:57]
	ds_read_b128 v[56:59], v18 offset:768
	ds_read_b128 v[60:63], v64 offset:8208
	s_waitcnt lgkmcnt(2)
	v_mul_f64 v[50:51], v[80:81], v[54:55]
	v_fmac_f64_e32 v[50:51], v[82:83], v[52:53]
	v_mul_f64 v[48:49], v[82:83], v[54:55]
	v_add_f64 v[90:91], v[50:51], v[90:91]
	s_waitcnt lgkmcnt(1)
	v_mul_f64 v[50:51], v[80:81], v[58:59]
	v_fma_f64 v[48:49], v[80:81], v[52:53], -v[48:49]
	v_fmac_f64_e32 v[50:51], v[82:83], v[56:57]
	v_add_f64 v[88:89], v[88:89], v[48:49]
	v_mul_f64 v[48:49], v[82:83], v[58:59]
	v_add_f64 v[50:51], v[50:51], v[76:77]
	s_waitcnt lgkmcnt(0)
	v_mul_f64 v[76:77], v[62:63], v[54:55]
	v_mul_f64 v[54:55], v[60:61], v[54:55]
	v_fma_f64 v[48:49], v[80:81], v[56:57], -v[48:49]
	v_fmac_f64_e32 v[54:55], v[62:63], v[52:53]
	v_add_f64 v[48:49], v[78:79], v[48:49]
	v_fma_f64 v[76:77], v[60:61], v[52:53], -v[76:77]
	v_add_f64 v[78:79], v[54:55], v[86:87]
	v_mul_f64 v[52:53], v[62:63], v[58:59]
	v_mul_f64 v[54:55], v[60:61], v[58:59]
	v_fma_f64 v[52:53], v[60:61], v[56:57], -v[52:53]
	v_fmac_f64_e32 v[54:55], v[62:63], v[56:57]
	v_add_f64 v[60:61], v[92:93], v[52:53]
	v_add_f64 v[62:63], v[54:55], v[94:95]
	ds_read_b128 v[52:55], v18 offset:1024
	v_add_f64 v[76:77], v[84:85], v[76:77]
	s_waitcnt lgkmcnt(0)
	v_mul_f64 v[56:57], v[10:11], v[54:55]
	v_mul_f64 v[58:59], v[8:9], v[54:55]
	v_fma_f64 v[56:57], v[8:9], v[52:53], -v[56:57]
	v_fmac_f64_e32 v[58:59], v[10:11], v[52:53]
	v_add_f64 v[80:81], v[88:89], v[56:57]
	v_add_f64 v[82:83], v[58:59], v[90:91]
	ds_read_b128 v[56:59], v18 offset:1280
	s_waitcnt lgkmcnt(0)
	v_mul_f64 v[84:85], v[10:11], v[58:59]
	v_fma_f64 v[84:85], v[8:9], v[56:57], -v[84:85]
	v_mul_f64 v[8:9], v[8:9], v[58:59]
	v_fmac_f64_e32 v[8:9], v[10:11], v[56:57]
	v_add_f64 v[86:87], v[8:9], v[50:51]
	ds_read_b128 v[8:11], v64 offset:8224
	v_add_f64 v[84:85], v[48:49], v[84:85]
	s_waitcnt lgkmcnt(0)
	v_mul_f64 v[48:49], v[10:11], v[54:55]
	v_fma_f64 v[48:49], v[8:9], v[52:53], -v[48:49]
	v_mul_f64 v[50:51], v[8:9], v[54:55]
	v_fmac_f64_e32 v[50:51], v[10:11], v[52:53]
	v_add_f64 v[52:53], v[76:77], v[48:49]
	v_mul_f64 v[48:49], v[10:11], v[58:59]
	v_fma_f64 v[48:49], v[8:9], v[56:57], -v[48:49]
	v_mul_f64 v[8:9], v[8:9], v[58:59]
	v_fmac_f64_e32 v[8:9], v[10:11], v[56:57]
	v_add_f64 v[58:59], v[8:9], v[62:63]
	ds_read_b128 v[8:11], v18 offset:1536
	v_add_f64 v[54:55], v[50:51], v[78:79]
	v_add_f64 v[56:57], v[60:61], v[48:49]
	s_waitcnt lgkmcnt(0)
	v_mul_f64 v[48:49], v[6:7], v[10:11]
	v_mul_f64 v[50:51], v[4:5], v[10:11]
	v_fma_f64 v[48:49], v[4:5], v[8:9], -v[48:49]
	v_fmac_f64_e32 v[50:51], v[6:7], v[8:9]
	v_add_f64 v[60:61], v[80:81], v[48:49]
	v_add_f64 v[62:63], v[50:51], v[82:83]
	ds_read_b128 v[48:51], v18 offset:1792
	s_waitcnt lgkmcnt(0)
	v_mul_f64 v[76:77], v[6:7], v[50:51]
	v_fma_f64 v[76:77], v[4:5], v[48:49], -v[76:77]
	v_mul_f64 v[4:5], v[4:5], v[50:51]
	v_fmac_f64_e32 v[4:5], v[6:7], v[48:49]
	v_add_f64 v[78:79], v[4:5], v[86:87]
	ds_read_b128 v[4:7], v64 offset:8240
	v_add_f64 v[76:77], v[84:85], v[76:77]
	s_waitcnt lgkmcnt(0)
	v_mul_f64 v[80:81], v[6:7], v[10:11]
	v_mul_f64 v[10:11], v[4:5], v[10:11]
	v_fma_f64 v[80:81], v[4:5], v[8:9], -v[80:81]
	v_fmac_f64_e32 v[10:11], v[6:7], v[8:9]
	v_mul_f64 v[8:9], v[6:7], v[50:51]
	v_fma_f64 v[8:9], v[4:5], v[48:49], -v[8:9]
	v_mul_f64 v[4:5], v[4:5], v[50:51]
	v_fmac_f64_e32 v[4:5], v[6:7], v[48:49]
	v_add_f64 v[54:55], v[10:11], v[54:55]
	v_add_f64 v[56:57], v[56:57], v[8:9]
	;; [unrolled: 1-line block ×3, first 2 shown]
	ds_read_b128 v[4:7], v64 offset:64
	ds_read_b128 v[8:11], v18 offset:2048
	v_add_f64 v[52:53], v[52:53], v[80:81]
	s_waitcnt lgkmcnt(0)
	v_mul_f64 v[48:49], v[6:7], v[10:11]
	v_mul_f64 v[50:51], v[4:5], v[10:11]
	v_fma_f64 v[48:49], v[4:5], v[8:9], -v[48:49]
	v_fmac_f64_e32 v[50:51], v[6:7], v[8:9]
	v_add_f64 v[60:61], v[60:61], v[48:49]
	v_add_f64 v[62:63], v[50:51], v[62:63]
	ds_read_b128 v[48:51], v18 offset:2304
	s_waitcnt lgkmcnt(0)
	v_mul_f64 v[80:81], v[6:7], v[50:51]
	v_fma_f64 v[80:81], v[4:5], v[48:49], -v[80:81]
	v_mul_f64 v[4:5], v[4:5], v[50:51]
	v_fmac_f64_e32 v[4:5], v[6:7], v[48:49]
	v_add_f64 v[78:79], v[4:5], v[78:79]
	ds_read_b128 v[4:7], v64 offset:8256
	v_add_f64 v[76:77], v[76:77], v[80:81]
	s_waitcnt lgkmcnt(0)
	v_mul_f64 v[80:81], v[6:7], v[10:11]
	v_fma_f64 v[80:81], v[4:5], v[8:9], -v[80:81]
	v_mul_f64 v[10:11], v[4:5], v[10:11]
	v_fmac_f64_e32 v[10:11], v[6:7], v[8:9]
	v_add_f64 v[8:9], v[52:53], v[80:81]
	v_mul_f64 v[52:53], v[6:7], v[50:51]
	v_mul_f64 v[50:51], v[4:5], v[50:51]
	v_fma_f64 v[52:53], v[4:5], v[48:49], -v[52:53]
	v_fmac_f64_e32 v[50:51], v[6:7], v[48:49]
	v_add_f64 v[10:11], v[10:11], v[54:55]
	v_add_f64 v[4:5], v[56:57], v[52:53]
	v_add_f64 v[6:7], v[50:51], v[58:59]
	ds_read_b128 v[48:51], v64 offset:80
	ds_read_b128 v[52:55], v18 offset:2560
	s_waitcnt lgkmcnt(0)
	v_mul_f64 v[56:57], v[50:51], v[54:55]
	v_mul_f64 v[58:59], v[48:49], v[54:55]
	v_fma_f64 v[56:57], v[48:49], v[52:53], -v[56:57]
	v_fmac_f64_e32 v[58:59], v[50:51], v[52:53]
	v_add_f64 v[60:61], v[60:61], v[56:57]
	v_add_f64 v[62:63], v[58:59], v[62:63]
	ds_read_b128 v[56:59], v18 offset:2816
	s_waitcnt lgkmcnt(0)
	v_mul_f64 v[80:81], v[50:51], v[58:59]
	v_fma_f64 v[80:81], v[48:49], v[56:57], -v[80:81]
	v_mul_f64 v[48:49], v[48:49], v[58:59]
	v_fmac_f64_e32 v[48:49], v[50:51], v[56:57]
	v_add_f64 v[78:79], v[48:49], v[78:79]
	ds_read_b128 v[48:51], v64 offset:8272
	v_add_f64 v[76:77], v[76:77], v[80:81]
	s_waitcnt lgkmcnt(0)
	v_mul_f64 v[80:81], v[50:51], v[54:55]
	v_mul_f64 v[54:55], v[48:49], v[54:55]
	v_fma_f64 v[80:81], v[48:49], v[52:53], -v[80:81]
	v_fmac_f64_e32 v[54:55], v[50:51], v[52:53]
	v_add_f64 v[52:53], v[8:9], v[80:81]
	v_add_f64 v[54:55], v[54:55], v[10:11]
	v_mul_f64 v[8:9], v[50:51], v[58:59]
	v_mul_f64 v[10:11], v[48:49], v[58:59]
	v_fma_f64 v[8:9], v[48:49], v[56:57], -v[8:9]
	v_fmac_f64_e32 v[10:11], v[50:51], v[56:57]
	v_add_f64 v[56:57], v[4:5], v[8:9]
	v_add_f64 v[58:59], v[10:11], v[6:7]
	ds_read_b128 v[4:7], v64 offset:96
	ds_read_b128 v[8:11], v18 offset:3072
	s_waitcnt lgkmcnt(0)
	v_mul_f64 v[48:49], v[6:7], v[10:11]
	v_mul_f64 v[50:51], v[4:5], v[10:11]
	v_fma_f64 v[48:49], v[4:5], v[8:9], -v[48:49]
	v_fmac_f64_e32 v[50:51], v[6:7], v[8:9]
	v_add_f64 v[60:61], v[60:61], v[48:49]
	v_add_f64 v[62:63], v[50:51], v[62:63]
	ds_read_b128 v[48:51], v18 offset:3328
	s_waitcnt lgkmcnt(0)
	v_mul_f64 v[80:81], v[6:7], v[50:51]
	v_fma_f64 v[80:81], v[4:5], v[48:49], -v[80:81]
	v_mul_f64 v[4:5], v[4:5], v[50:51]
	v_fmac_f64_e32 v[4:5], v[6:7], v[48:49]
	v_add_f64 v[78:79], v[4:5], v[78:79]
	ds_read_b128 v[4:7], v64 offset:8288
	v_add_f64 v[76:77], v[76:77], v[80:81]
	s_waitcnt lgkmcnt(0)
	v_mul_f64 v[80:81], v[6:7], v[10:11]
	v_fma_f64 v[80:81], v[4:5], v[8:9], -v[80:81]
	v_mul_f64 v[10:11], v[4:5], v[10:11]
	v_fmac_f64_e32 v[10:11], v[6:7], v[8:9]
	v_add_f64 v[8:9], v[52:53], v[80:81]
	v_mul_f64 v[52:53], v[6:7], v[50:51]
	v_mul_f64 v[50:51], v[4:5], v[50:51]
	v_fma_f64 v[52:53], v[4:5], v[48:49], -v[52:53]
	v_fmac_f64_e32 v[50:51], v[6:7], v[48:49]
	v_add_f64 v[10:11], v[10:11], v[54:55]
	v_add_f64 v[4:5], v[56:57], v[52:53]
	v_add_f64 v[6:7], v[50:51], v[58:59]
	ds_read_b128 v[48:51], v64 offset:112
	ds_read_b128 v[52:55], v18 offset:3584
	s_waitcnt lgkmcnt(0)
	v_mul_f64 v[56:57], v[50:51], v[54:55]
	v_mul_f64 v[58:59], v[48:49], v[54:55]
	v_fma_f64 v[56:57], v[48:49], v[52:53], -v[56:57]
	v_fmac_f64_e32 v[58:59], v[50:51], v[52:53]
	v_add_f64 v[60:61], v[60:61], v[56:57]
	v_add_f64 v[62:63], v[58:59], v[62:63]
	ds_read_b128 v[56:59], v18 offset:3840
	s_waitcnt lgkmcnt(0)
	v_mul_f64 v[80:81], v[50:51], v[58:59]
	v_fma_f64 v[80:81], v[48:49], v[56:57], -v[80:81]
	v_mul_f64 v[48:49], v[48:49], v[58:59]
	v_fmac_f64_e32 v[48:49], v[50:51], v[56:57]
	v_add_f64 v[78:79], v[48:49], v[78:79]
	ds_read_b128 v[48:51], v64 offset:8304
	v_add_f64 v[76:77], v[76:77], v[80:81]
	s_waitcnt lgkmcnt(0)
	v_mul_f64 v[80:81], v[50:51], v[54:55]
	v_mul_f64 v[54:55], v[48:49], v[54:55]
	v_fma_f64 v[80:81], v[48:49], v[52:53], -v[80:81]
	v_fmac_f64_e32 v[54:55], v[50:51], v[52:53]
	v_add_f64 v[52:53], v[8:9], v[80:81]
	v_add_f64 v[54:55], v[54:55], v[10:11]
	v_mul_f64 v[8:9], v[50:51], v[58:59]
	v_mul_f64 v[10:11], v[48:49], v[58:59]
	v_fma_f64 v[8:9], v[48:49], v[56:57], -v[8:9]
	v_fmac_f64_e32 v[10:11], v[50:51], v[56:57]
	v_add_f64 v[56:57], v[4:5], v[8:9]
	v_add_f64 v[58:59], v[10:11], v[6:7]
	ds_read_b128 v[4:7], v64 offset:128
	ds_read_b128 v[8:11], v18 offset:4096
	;; [unrolled: 62-line block ×13, first 2 shown]
	s_waitcnt lgkmcnt(0)
	v_mul_f64 v[48:49], v[6:7], v[10:11]
	v_mul_f64 v[50:51], v[4:5], v[10:11]
	v_fma_f64 v[48:49], v[4:5], v[8:9], -v[48:49]
	v_fmac_f64_e32 v[50:51], v[6:7], v[8:9]
	v_add_f64 v[60:61], v[60:61], v[48:49]
	v_add_f64 v[62:63], v[50:51], v[62:63]
	ds_read_b128 v[48:51], v18 offset:15616
	s_waitcnt lgkmcnt(0)
	v_mul_f64 v[80:81], v[6:7], v[50:51]
	v_fma_f64 v[80:81], v[4:5], v[48:49], -v[80:81]
	v_mul_f64 v[4:5], v[4:5], v[50:51]
	v_fmac_f64_e32 v[4:5], v[6:7], v[48:49]
	v_add_f64 v[82:83], v[4:5], v[78:79]
	ds_read_b128 v[4:7], v64 offset:8672
	v_add_f64 v[80:81], v[76:77], v[80:81]
	s_waitcnt lgkmcnt(0)
	v_mul_f64 v[76:77], v[6:7], v[10:11]
	v_fma_f64 v[76:77], v[4:5], v[8:9], -v[76:77]
	v_mul_f64 v[10:11], v[4:5], v[10:11]
	v_fmac_f64_e32 v[10:11], v[6:7], v[8:9]
	v_add_f64 v[8:9], v[52:53], v[76:77]
	v_mul_f64 v[52:53], v[6:7], v[50:51]
	v_mul_f64 v[50:51], v[4:5], v[50:51]
	v_fma_f64 v[52:53], v[4:5], v[48:49], -v[52:53]
	v_fmac_f64_e32 v[50:51], v[6:7], v[48:49]
	v_add_f64 v[4:5], v[56:57], v[52:53]
	v_add_f64 v[6:7], v[50:51], v[58:59]
	ds_read_b128 v[48:51], v64 offset:496
	ds_read_b128 v[56:59], v18 offset:15872
	;; [unrolled: 1-line block ×3, first 2 shown]
	v_add_f64 v[10:11], v[10:11], v[54:55]
	s_waitcnt lgkmcnt(1)
	v_mul_f64 v[52:53], v[50:51], v[58:59]
	v_fma_f64 v[52:53], v[48:49], v[56:57], -v[52:53]
	v_add_f64 v[60:61], v[60:61], v[52:53]
	s_waitcnt lgkmcnt(0)
	v_mul_f64 v[52:53], v[50:51], v[78:79]
	v_mul_f64 v[54:55], v[48:49], v[58:59]
	v_fma_f64 v[52:53], v[48:49], v[76:77], -v[52:53]
	v_mul_f64 v[48:49], v[48:49], v[78:79]
	v_fmac_f64_e32 v[54:55], v[50:51], v[56:57]
	v_fmac_f64_e32 v[48:49], v[50:51], v[76:77]
	v_add_f64 v[62:63], v[54:55], v[62:63]
	v_add_f64 v[54:55], v[48:49], v[82:83]
	ds_read_b128 v[48:51], v64 offset:8688
	v_add_f64 v[52:53], v[80:81], v[52:53]
	s_waitcnt lgkmcnt(0)
	s_barrier
	v_mul_f64 v[80:81], v[50:51], v[58:59]
	v_mul_f64 v[58:59], v[48:49], v[58:59]
	v_fma_f64 v[80:81], v[48:49], v[56:57], -v[80:81]
	v_fmac_f64_e32 v[58:59], v[50:51], v[56:57]
	v_add_f64 v[56:57], v[8:9], v[80:81]
	v_add_f64 v[58:59], v[58:59], v[10:11]
	v_mul_f64 v[8:9], v[50:51], v[78:79]
	v_mul_f64 v[10:11], v[48:49], v[78:79]
	v_fma_f64 v[8:9], v[48:49], v[76:77], -v[8:9]
	v_fmac_f64_e32 v[10:11], v[50:51], v[76:77]
	v_add_f64 v[50:51], v[4:5], v[8:9]
	v_add_f64 v[48:49], v[10:11], v[6:7]
	s_cbranch_scc1 .LBB115_55
.LBB115_7:                              ;   Parent Loop BB115_4 Depth=1
                                        ; =>  This Inner Loop Header: Depth=2
	v_lshl_add_u64 v[8:9], v[12:13], 0, s[38:39]
	v_cmp_le_i64_e64 s[14:15], s[52:53], v[8:9]
	v_cmp_eq_u64_e64 s[4:5], s[38:39], v[24:25]
	v_cmp_gt_i64_e64 s[12:13], v[8:9], v[16:17]
	s_and_b64 s[42:43], s[34:35], s[4:5]
	s_or_b64 s[4:5], s[14:15], s[12:13]
	s_or_b64 s[4:5], s[4:5], s[42:43]
	v_lshl_add_u64 v[4:5], v[36:37], 0, s[36:37]
	s_nor_b64 s[4:5], s[0:1], s[4:5]
	s_and_saveexec_b64 s[40:41], s[4:5]
	s_xor_b64 s[4:5], exec, s[40:41]
	s_cbranch_execz .LBB115_9
; %bb.8:                                ;   in Loop: Header=BB115_7 Depth=2
	global_load_dwordx4 v[76:79], v[4:5], off offset:-256
	s_waitcnt vmcnt(0)
	ds_write2_b64 v43, v[76:77], v[78:79] offset1:1
.LBB115_9:                              ;   in Loop: Header=BB115_7 Depth=2
	s_or_saveexec_b64 s[4:5], s[4:5]
	s_xor_b64 s[40:41], s[42:43], -1
	s_xor_b64 exec, exec, s[4:5]
	s_cbranch_execz .LBB115_15
; %bb.10:                               ;   in Loop: Header=BB115_7 Depth=2
	s_and_saveexec_b64 s[44:45], s[40:41]
	s_xor_b64 s[44:45], exec, s[44:45]
; %bb.11:                               ;   in Loop: Header=BB115_7 Depth=2
	ds_write_b128 v43, v[72:75]
; %bb.12:                               ;   in Loop: Header=BB115_7 Depth=2
	s_andn2_saveexec_b64 s[44:45], s[44:45]
; %bb.13:                               ;   in Loop: Header=BB115_7 Depth=2
	ds_write_b128 v43, v[0:3]
; %bb.14:                               ;   in Loop: Header=BB115_7 Depth=2
	s_or_b64 exec, exec, s[44:45]
.LBB115_15:                             ;   in Loop: Header=BB115_7 Depth=2
	s_or_b64 exec, exec, s[4:5]
	v_cmp_eq_u64_e64 s[4:5], s[38:39], v[26:27]
	s_and_b64 s[44:45], s[34:35], s[4:5]
	v_cmp_lt_i64_e64 s[4:5], v[20:21], v[8:9]
	s_or_b64 s[4:5], s[14:15], s[4:5]
	s_or_b64 s[4:5], s[4:5], s[44:45]
	s_nor_b64 s[4:5], s[16:17], s[4:5]
	v_lshl_add_u64 v[6:7], v[40:41], 0, s[36:37]
	s_and_saveexec_b64 s[14:15], s[4:5]
	s_xor_b64 s[4:5], exec, s[14:15]
	s_cbranch_execz .LBB115_17
; %bb.16:                               ;   in Loop: Header=BB115_7 Depth=2
	global_load_dwordx4 v[76:79], v[6:7], off
	s_waitcnt vmcnt(0)
	ds_write2_b64 v66, v[76:77], v[78:79] offset1:1
.LBB115_17:                             ;   in Loop: Header=BB115_7 Depth=2
	s_andn2_saveexec_b64 s[4:5], s[4:5]
	s_cbranch_execz .LBB115_23
; %bb.18:                               ;   in Loop: Header=BB115_7 Depth=2
	s_xor_b64 s[14:15], s[44:45], -1
	s_and_saveexec_b64 s[44:45], s[14:15]
	s_xor_b64 s[14:15], exec, s[44:45]
; %bb.19:                               ;   in Loop: Header=BB115_7 Depth=2
	ds_write_b128 v43, v[72:75] offset:256
; %bb.20:                               ;   in Loop: Header=BB115_7 Depth=2
	s_andn2_saveexec_b64 s[14:15], s[14:15]
; %bb.21:                               ;   in Loop: Header=BB115_7 Depth=2
	ds_write_b128 v43, v[0:3] offset:256
; %bb.22:                               ;   in Loop: Header=BB115_7 Depth=2
	s_or_b64 exec, exec, s[14:15]
.LBB115_23:                             ;   in Loop: Header=BB115_7 Depth=2
	s_or_b64 exec, exec, s[4:5]
	v_lshl_add_u64 v[8:9], v[8:9], 0, 16
	v_cmp_eq_u64_e64 s[4:5], s[38:39], v[28:29]
	v_cmp_le_i64_e64 s[14:15], s[52:53], v[8:9]
	s_and_b64 s[44:45], s[34:35], s[4:5]
	v_cmp_gt_i64_e64 s[4:5], v[8:9], v[16:17]
	s_or_b64 s[4:5], s[14:15], s[4:5]
	s_or_b64 s[4:5], s[4:5], s[44:45]
	s_nor_b64 s[4:5], s[0:1], s[4:5]
	s_and_saveexec_b64 s[50:51], s[4:5]
	s_xor_b64 s[4:5], exec, s[50:51]
	s_cbranch_execz .LBB115_25
; %bb.24:                               ;   in Loop: Header=BB115_7 Depth=2
	global_load_dwordx4 v[8:11], v[4:5], off
	s_waitcnt vmcnt(0)
	ds_write2_b64 v67, v[8:9], v[10:11] offset1:1
.LBB115_25:                             ;   in Loop: Header=BB115_7 Depth=2
	s_andn2_saveexec_b64 s[4:5], s[4:5]
	s_cbranch_execz .LBB115_31
; %bb.26:                               ;   in Loop: Header=BB115_7 Depth=2
	s_xor_b64 s[44:45], s[44:45], -1
	s_and_saveexec_b64 s[50:51], s[44:45]
	s_xor_b64 s[44:45], exec, s[50:51]
; %bb.27:                               ;   in Loop: Header=BB115_7 Depth=2
	ds_write_b128 v43, v[72:75] offset:8192
; %bb.28:                               ;   in Loop: Header=BB115_7 Depth=2
	s_andn2_saveexec_b64 s[44:45], s[44:45]
; %bb.29:                               ;   in Loop: Header=BB115_7 Depth=2
	ds_write_b128 v43, v[0:3] offset:8192
; %bb.30:                               ;   in Loop: Header=BB115_7 Depth=2
	s_or_b64 exec, exec, s[44:45]
.LBB115_31:                             ;   in Loop: Header=BB115_7 Depth=2
	s_or_b64 exec, exec, s[4:5]
	s_or_b64 s[4:5], s[14:15], s[12:13]
	s_or_b64 s[4:5], s[4:5], s[42:43]
	s_nor_b64 s[4:5], s[16:17], s[4:5]
	s_and_saveexec_b64 s[12:13], s[4:5]
	s_xor_b64 s[4:5], exec, s[12:13]
	s_cbranch_execz .LBB115_33
; %bb.32:                               ;   in Loop: Header=BB115_7 Depth=2
	global_load_dwordx4 v[4:7], v[6:7], off offset:256
	s_waitcnt vmcnt(0)
	ds_write2_b64 v68, v[4:5], v[6:7] offset1:1
.LBB115_33:                             ;   in Loop: Header=BB115_7 Depth=2
	s_andn2_saveexec_b64 s[4:5], s[4:5]
	s_cbranch_execz .LBB115_39
; %bb.34:                               ;   in Loop: Header=BB115_7 Depth=2
	s_and_saveexec_b64 s[12:13], s[40:41]
	s_xor_b64 s[12:13], exec, s[12:13]
; %bb.35:                               ;   in Loop: Header=BB115_7 Depth=2
	ds_write_b128 v43, v[72:75] offset:8448
; %bb.36:                               ;   in Loop: Header=BB115_7 Depth=2
	s_andn2_saveexec_b64 s[12:13], s[12:13]
; %bb.37:                               ;   in Loop: Header=BB115_7 Depth=2
	ds_write_b128 v43, v[0:3] offset:8448
; %bb.38:                               ;   in Loop: Header=BB115_7 Depth=2
	s_or_b64 exec, exec, s[12:13]
.LBB115_39:                             ;   in Loop: Header=BB115_7 Depth=2
	s_or_b64 exec, exec, s[4:5]
	v_lshl_add_u64 v[6:7], v[14:15], 0, s[38:39]
	v_cmp_gt_i64_e64 s[12:13], s[52:53], v[6:7]
	s_and_b64 s[4:5], vcc, s[12:13]
	s_xor_b64 s[4:5], s[4:5], -1
	s_and_saveexec_b64 s[14:15], s[4:5]
	s_xor_b64 s[4:5], exec, s[14:15]
; %bb.40:                               ;   in Loop: Header=BB115_7 Depth=2
	ds_write_b128 v65, v[72:75]
; %bb.41:                               ;   in Loop: Header=BB115_7 Depth=2
	s_or_saveexec_b64 s[4:5], s[4:5]
	v_lshl_add_u64 v[4:5], v[44:45], 0, s[36:37]
	s_xor_b64 exec, exec, s[4:5]
	s_cbranch_execz .LBB115_43
; %bb.42:                               ;   in Loop: Header=BB115_7 Depth=2
	global_load_dwordx4 v[8:11], v[4:5], off offset:-256
	s_waitcnt vmcnt(0)
	ds_write2_b64 v65, v[8:9], v[10:11] offset1:1
.LBB115_43:                             ;   in Loop: Header=BB115_7 Depth=2
	s_or_b64 exec, exec, s[4:5]
	v_cmp_gt_i64_e64 s[14:15], s[54:55], v[6:7]
	s_and_b64 s[4:5], vcc, s[14:15]
	s_xor_b64 s[4:5], s[4:5], -1
	s_and_saveexec_b64 s[40:41], s[4:5]
	s_xor_b64 s[4:5], exec, s[40:41]
; %bb.44:                               ;   in Loop: Header=BB115_7 Depth=2
	ds_write_b128 v65, v[72:75] offset:256
                                        ; implicit-def: $vgpr4_vgpr5
; %bb.45:                               ;   in Loop: Header=BB115_7 Depth=2
	s_andn2_saveexec_b64 s[4:5], s[4:5]
	s_cbranch_execz .LBB115_47
; %bb.46:                               ;   in Loop: Header=BB115_7 Depth=2
	global_load_dwordx4 v[4:7], v[4:5], off
	s_waitcnt vmcnt(0)
	ds_write2_b64 v69, v[4:5], v[6:7] offset1:1
.LBB115_47:                             ;   in Loop: Header=BB115_7 Depth=2
	s_or_b64 exec, exec, s[4:5]
	s_and_b64 s[4:5], s[10:11], s[12:13]
	s_xor_b64 s[4:5], s[4:5], -1
	s_and_saveexec_b64 s[12:13], s[4:5]
	s_xor_b64 s[4:5], exec, s[12:13]
; %bb.48:                               ;   in Loop: Header=BB115_7 Depth=2
	ds_write_b128 v65, v[72:75] offset:8192
; %bb.49:                               ;   in Loop: Header=BB115_7 Depth=2
	s_or_saveexec_b64 s[4:5], s[4:5]
	v_lshl_add_u64 v[4:5], v[46:47], 0, s[36:37]
	s_xor_b64 exec, exec, s[4:5]
	s_cbranch_execz .LBB115_51
; %bb.50:                               ;   in Loop: Header=BB115_7 Depth=2
	global_load_dwordx4 v[6:9], v[4:5], off
	s_waitcnt vmcnt(0)
	ds_write2_b64 v70, v[6:7], v[8:9] offset1:1
.LBB115_51:                             ;   in Loop: Header=BB115_7 Depth=2
	s_or_b64 exec, exec, s[4:5]
	s_and_b64 s[4:5], s[10:11], s[14:15]
	s_xor_b64 s[4:5], s[4:5], -1
	s_and_saveexec_b64 s[12:13], s[4:5]
	s_xor_b64 s[4:5], exec, s[12:13]
; %bb.52:                               ;   in Loop: Header=BB115_7 Depth=2
	ds_write_b128 v65, v[72:75] offset:8448
                                        ; implicit-def: $vgpr4_vgpr5
; %bb.53:                               ;   in Loop: Header=BB115_7 Depth=2
	s_andn2_saveexec_b64 s[4:5], s[4:5]
	s_cbranch_execz .LBB115_6
; %bb.54:                               ;   in Loop: Header=BB115_7 Depth=2
	global_load_dwordx4 v[4:7], v[4:5], off offset:256
	s_waitcnt vmcnt(0)
	ds_write2_b64 v71, v[4:5], v[6:7] offset1:1
	s_branch .LBB115_6
.LBB115_55:                             ;   in Loop: Header=BB115_4 Depth=1
	v_mul_lo_u32 v6, s21, v42
	v_mul_lo_u32 v7, s20, v19
	v_mad_u64_u32 v[4:5], s[4:5], s20, v42, 0
	v_cmp_gt_i32_e32 vcc, s30, v42
	v_add3_u32 v5, v5, v7, v6
	v_lshl_add_u64 v[4:5], v[4:5], 4, s[22:23]
	s_and_b64 s[10:11], s[18:19], vcc
	s_and_saveexec_b64 s[4:5], s[10:11]
	s_cbranch_execz .LBB115_57
; %bb.56:                               ;   in Loop: Header=BB115_4 Depth=1
	v_lshl_add_u64 v[10:11], v[16:17], 4, v[4:5]
	global_load_dwordx4 v[6:9], v[10:11], off
	v_mul_f64 v[44:45], s[26:27], v[62:63]
	v_mul_f64 v[46:47], s[24:25], v[62:63]
	v_fma_f64 v[44:45], s[24:25], v[60:61], -v[44:45]
	v_fmac_f64_e32 v[46:47], s[26:27], v[60:61]
	s_waitcnt vmcnt(0)
	v_add_f64 v[6:7], v[6:7], v[44:45]
	v_add_f64 v[8:9], v[46:47], v[8:9]
	global_store_dwordx4 v[10:11], v[6:9], off
.LBB115_57:                             ;   in Loop: Header=BB115_4 Depth=1
	s_or_b64 exec, exec, s[4:5]
	s_and_b64 s[10:11], s[6:7], vcc
	s_and_saveexec_b64 s[4:5], s[10:11]
	s_cbranch_execz .LBB115_59
; %bb.58:                               ;   in Loop: Header=BB115_4 Depth=1
	v_lshl_add_u64 v[8:9], v[22:23], 4, v[4:5]
	global_load_dwordx4 v[4:7], v[8:9], off
	v_mul_f64 v[10:11], s[26:27], v[54:55]
	v_mul_f64 v[44:45], s[24:25], v[54:55]
	v_fma_f64 v[10:11], s[24:25], v[52:53], -v[10:11]
	v_fmac_f64_e32 v[44:45], s[26:27], v[52:53]
	s_waitcnt vmcnt(0)
	v_add_f64 v[4:5], v[4:5], v[10:11]
	v_add_f64 v[6:7], v[44:45], v[6:7]
	global_store_dwordx4 v[8:9], v[4:7], off
.LBB115_59:                             ;   in Loop: Header=BB115_4 Depth=1
	s_or_b64 exec, exec, s[4:5]
	s_nop 0
	v_add_u32_e32 v4, 16, v42
	v_ashrrev_i32_e32 v5, 31, v4
	v_cmp_gt_i32_e32 vcc, s30, v4
	v_mul_lo_u32 v6, s20, v5
	v_mul_lo_u32 v7, s21, v4
	v_mad_u64_u32 v[4:5], s[4:5], s20, v4, 0
	v_add3_u32 v5, v5, v6, v7
	v_lshl_add_u64 v[4:5], v[4:5], 4, s[22:23]
	s_and_b64 s[10:11], s[18:19], vcc
	s_and_saveexec_b64 s[4:5], s[10:11]
	s_cbranch_execz .LBB115_61
; %bb.60:                               ;   in Loop: Header=BB115_4 Depth=1
	v_lshl_add_u64 v[10:11], v[16:17], 4, v[4:5]
	global_load_dwordx4 v[6:9], v[10:11], off
	v_mul_f64 v[44:45], s[26:27], v[58:59]
	v_mul_f64 v[46:47], s[24:25], v[58:59]
	v_fma_f64 v[44:45], s[24:25], v[56:57], -v[44:45]
	v_fmac_f64_e32 v[46:47], s[26:27], v[56:57]
	s_waitcnt vmcnt(0)
	v_add_f64 v[6:7], v[6:7], v[44:45]
	v_add_f64 v[8:9], v[46:47], v[8:9]
	global_store_dwordx4 v[10:11], v[6:9], off
.LBB115_61:                             ;   in Loop: Header=BB115_4 Depth=1
	s_or_b64 exec, exec, s[4:5]
	s_and_b64 s[10:11], s[6:7], vcc
	s_and_saveexec_b64 s[4:5], s[10:11]
	s_cbranch_execz .LBB115_3
; %bb.62:                               ;   in Loop: Header=BB115_4 Depth=1
	v_lshl_add_u64 v[8:9], v[22:23], 4, v[4:5]
	global_load_dwordx4 v[4:7], v[8:9], off
	v_mul_f64 v[10:11], s[26:27], v[48:49]
	v_mul_f64 v[44:45], s[24:25], v[48:49]
	v_fma_f64 v[10:11], s[24:25], v[50:51], -v[10:11]
	v_fmac_f64_e32 v[44:45], s[26:27], v[50:51]
	s_waitcnt vmcnt(0)
	v_add_f64 v[4:5], v[4:5], v[10:11]
	v_add_f64 v[6:7], v[44:45], v[6:7]
	global_store_dwordx4 v[8:9], v[4:7], off
	s_branch .LBB115_3
.LBB115_63:
	s_endpgm
	.section	.rodata,"a",@progbits
	.p2align	6, 0x0
	.amdhsa_kernel _ZL30rocblas_trmm_outofplace_kernelI19rocblas_complex_numIdELi32ELi2ELb1ELb1ELb1ELb0ES1_KS1_S1_Ev17rocblas_diagonal_iiT6_lPT7_lllS6_lllPT8_llli
		.amdhsa_group_segment_fixed_size 32768
		.amdhsa_private_segment_fixed_size 0
		.amdhsa_kernarg_size 400
		.amdhsa_user_sgpr_count 2
		.amdhsa_user_sgpr_dispatch_ptr 0
		.amdhsa_user_sgpr_queue_ptr 0
		.amdhsa_user_sgpr_kernarg_segment_ptr 1
		.amdhsa_user_sgpr_dispatch_id 0
		.amdhsa_user_sgpr_kernarg_preload_length 0
		.amdhsa_user_sgpr_kernarg_preload_offset 0
		.amdhsa_user_sgpr_private_segment_size 0
		.amdhsa_uses_dynamic_stack 0
		.amdhsa_enable_private_segment 0
		.amdhsa_system_sgpr_workgroup_id_x 1
		.amdhsa_system_sgpr_workgroup_id_y 1
		.amdhsa_system_sgpr_workgroup_id_z 1
		.amdhsa_system_sgpr_workgroup_info 0
		.amdhsa_system_vgpr_workitem_id 1
		.amdhsa_next_free_vgpr 96
		.amdhsa_next_free_sgpr 57
		.amdhsa_accum_offset 96
		.amdhsa_reserve_vcc 1
		.amdhsa_float_round_mode_32 0
		.amdhsa_float_round_mode_16_64 0
		.amdhsa_float_denorm_mode_32 3
		.amdhsa_float_denorm_mode_16_64 3
		.amdhsa_dx10_clamp 1
		.amdhsa_ieee_mode 1
		.amdhsa_fp16_overflow 0
		.amdhsa_tg_split 0
		.amdhsa_exception_fp_ieee_invalid_op 0
		.amdhsa_exception_fp_denorm_src 0
		.amdhsa_exception_fp_ieee_div_zero 0
		.amdhsa_exception_fp_ieee_overflow 0
		.amdhsa_exception_fp_ieee_underflow 0
		.amdhsa_exception_fp_ieee_inexact 0
		.amdhsa_exception_int_div_zero 0
	.end_amdhsa_kernel
	.section	.text._ZL30rocblas_trmm_outofplace_kernelI19rocblas_complex_numIdELi32ELi2ELb1ELb1ELb1ELb0ES1_KS1_S1_Ev17rocblas_diagonal_iiT6_lPT7_lllS6_lllPT8_llli,"axG",@progbits,_ZL30rocblas_trmm_outofplace_kernelI19rocblas_complex_numIdELi32ELi2ELb1ELb1ELb1ELb0ES1_KS1_S1_Ev17rocblas_diagonal_iiT6_lPT7_lllS6_lllPT8_llli,comdat
.Lfunc_end115:
	.size	_ZL30rocblas_trmm_outofplace_kernelI19rocblas_complex_numIdELi32ELi2ELb1ELb1ELb1ELb0ES1_KS1_S1_Ev17rocblas_diagonal_iiT6_lPT7_lllS6_lllPT8_llli, .Lfunc_end115-_ZL30rocblas_trmm_outofplace_kernelI19rocblas_complex_numIdELi32ELi2ELb1ELb1ELb1ELb0ES1_KS1_S1_Ev17rocblas_diagonal_iiT6_lPT7_lllS6_lllPT8_llli
                                        ; -- End function
	.set _ZL30rocblas_trmm_outofplace_kernelI19rocblas_complex_numIdELi32ELi2ELb1ELb1ELb1ELb0ES1_KS1_S1_Ev17rocblas_diagonal_iiT6_lPT7_lllS6_lllPT8_llli.num_vgpr, 96
	.set _ZL30rocblas_trmm_outofplace_kernelI19rocblas_complex_numIdELi32ELi2ELb1ELb1ELb1ELb0ES1_KS1_S1_Ev17rocblas_diagonal_iiT6_lPT7_lllS6_lllPT8_llli.num_agpr, 0
	.set _ZL30rocblas_trmm_outofplace_kernelI19rocblas_complex_numIdELi32ELi2ELb1ELb1ELb1ELb0ES1_KS1_S1_Ev17rocblas_diagonal_iiT6_lPT7_lllS6_lllPT8_llli.numbered_sgpr, 57
	.set _ZL30rocblas_trmm_outofplace_kernelI19rocblas_complex_numIdELi32ELi2ELb1ELb1ELb1ELb0ES1_KS1_S1_Ev17rocblas_diagonal_iiT6_lPT7_lllS6_lllPT8_llli.num_named_barrier, 0
	.set _ZL30rocblas_trmm_outofplace_kernelI19rocblas_complex_numIdELi32ELi2ELb1ELb1ELb1ELb0ES1_KS1_S1_Ev17rocblas_diagonal_iiT6_lPT7_lllS6_lllPT8_llli.private_seg_size, 0
	.set _ZL30rocblas_trmm_outofplace_kernelI19rocblas_complex_numIdELi32ELi2ELb1ELb1ELb1ELb0ES1_KS1_S1_Ev17rocblas_diagonal_iiT6_lPT7_lllS6_lllPT8_llli.uses_vcc, 1
	.set _ZL30rocblas_trmm_outofplace_kernelI19rocblas_complex_numIdELi32ELi2ELb1ELb1ELb1ELb0ES1_KS1_S1_Ev17rocblas_diagonal_iiT6_lPT7_lllS6_lllPT8_llli.uses_flat_scratch, 0
	.set _ZL30rocblas_trmm_outofplace_kernelI19rocblas_complex_numIdELi32ELi2ELb1ELb1ELb1ELb0ES1_KS1_S1_Ev17rocblas_diagonal_iiT6_lPT7_lllS6_lllPT8_llli.has_dyn_sized_stack, 0
	.set _ZL30rocblas_trmm_outofplace_kernelI19rocblas_complex_numIdELi32ELi2ELb1ELb1ELb1ELb0ES1_KS1_S1_Ev17rocblas_diagonal_iiT6_lPT7_lllS6_lllPT8_llli.has_recursion, 0
	.set _ZL30rocblas_trmm_outofplace_kernelI19rocblas_complex_numIdELi32ELi2ELb1ELb1ELb1ELb0ES1_KS1_S1_Ev17rocblas_diagonal_iiT6_lPT7_lllS6_lllPT8_llli.has_indirect_call, 0
	.section	.AMDGPU.csdata,"",@progbits
; Kernel info:
; codeLenInByte = 9188
; TotalNumSgprs: 63
; NumVgprs: 96
; NumAgprs: 0
; TotalNumVgprs: 96
; ScratchSize: 0
; MemoryBound: 0
; FloatMode: 240
; IeeeMode: 1
; LDSByteSize: 32768 bytes/workgroup (compile time only)
; SGPRBlocks: 7
; VGPRBlocks: 11
; NumSGPRsForWavesPerEU: 63
; NumVGPRsForWavesPerEU: 96
; AccumOffset: 96
; Occupancy: 5
; WaveLimiterHint : 0
; COMPUTE_PGM_RSRC2:SCRATCH_EN: 0
; COMPUTE_PGM_RSRC2:USER_SGPR: 2
; COMPUTE_PGM_RSRC2:TRAP_HANDLER: 0
; COMPUTE_PGM_RSRC2:TGID_X_EN: 1
; COMPUTE_PGM_RSRC2:TGID_Y_EN: 1
; COMPUTE_PGM_RSRC2:TGID_Z_EN: 1
; COMPUTE_PGM_RSRC2:TIDIG_COMP_CNT: 1
; COMPUTE_PGM_RSRC3_GFX90A:ACCUM_OFFSET: 23
; COMPUTE_PGM_RSRC3_GFX90A:TG_SPLIT: 0
	.section	.text._ZL30rocblas_trmm_outofplace_kernelI19rocblas_complex_numIdELi32ELi2ELb1ELb0ELb1ELb1EPKS1_S2_S1_Ev17rocblas_diagonal_iiT6_lPT7_lllS7_lllPT8_llli,"axG",@progbits,_ZL30rocblas_trmm_outofplace_kernelI19rocblas_complex_numIdELi32ELi2ELb1ELb0ELb1ELb1EPKS1_S2_S1_Ev17rocblas_diagonal_iiT6_lPT7_lllS7_lllPT8_llli,comdat
	.globl	_ZL30rocblas_trmm_outofplace_kernelI19rocblas_complex_numIdELi32ELi2ELb1ELb0ELb1ELb1EPKS1_S2_S1_Ev17rocblas_diagonal_iiT6_lPT7_lllS7_lllPT8_llli ; -- Begin function _ZL30rocblas_trmm_outofplace_kernelI19rocblas_complex_numIdELi32ELi2ELb1ELb0ELb1ELb1EPKS1_S2_S1_Ev17rocblas_diagonal_iiT6_lPT7_lllS7_lllPT8_llli
	.p2align	8
	.type	_ZL30rocblas_trmm_outofplace_kernelI19rocblas_complex_numIdELi32ELi2ELb1ELb0ELb1ELb1EPKS1_S2_S1_Ev17rocblas_diagonal_iiT6_lPT7_lllS7_lllPT8_llli,@function
_ZL30rocblas_trmm_outofplace_kernelI19rocblas_complex_numIdELi32ELi2ELb1ELb0ELb1ELb1EPKS1_S2_S1_Ev17rocblas_diagonal_iiT6_lPT7_lllS7_lllPT8_llli: ; @_ZL30rocblas_trmm_outofplace_kernelI19rocblas_complex_numIdELi32ELi2ELb1ELb0ELb1ELb1EPKS1_S2_S1_Ev17rocblas_diagonal_iiT6_lPT7_lllS7_lllPT8_llli
; %bb.0:
	s_load_dwordx16 s[16:31], s[0:1], 0x10
	s_waitcnt lgkmcnt(0)
	s_mul_i32 s5, s19, s4
	s_mul_hi_u32 s6, s18, s4
	s_add_i32 s7, s6, s5
	s_mul_i32 s6, s18, s4
	s_lshl_b64 s[6:7], s[6:7], 4
	s_add_u32 s6, s16, s6
	s_addc_u32 s7, s17, s7
	s_load_dwordx4 s[44:47], s[6:7], 0x0
	s_waitcnt lgkmcnt(0)
	v_cmp_eq_f64_e64 s[6:7], s[44:45], 0
	v_cmp_eq_f64_e64 s[8:9], s[46:47], 0
	s_and_b64 s[6:7], s[6:7], s[8:9]
	s_and_b64 vcc, exec, s[6:7]
	s_cbranch_vccnz .LBB116_64
; %bb.1:
	s_load_dwordx4 s[48:51], s[0:1], 0x0
	s_waitcnt lgkmcnt(0)
	s_add_i32 s5, s50, -1
	s_ashr_i32 s6, s5, 31
	s_lshr_b32 s6, s6, 27
	s_add_i32 s5, s5, s6
	s_ashr_i32 s33, s5, 5
	s_cmp_gt_i32 s3, s33
	s_cbranch_scc1 .LBB116_64
; %bb.2:
	s_load_dwordx8 s[36:43], s[0:1], 0x50
	s_load_dwordx4 s[52:55], s[0:1], 0x70
	s_mul_i32 s5, s27, s4
	s_mul_hi_u32 s6, s26, s4
	s_add_i32 s7, s6, s5
	s_mul_i32 s6, s26, s4
	s_lshl_b64 s[8:9], s[6:7], 4
	s_add_u32 s5, s20, s8
	s_addc_u32 s7, s21, s9
	s_lshl_b64 s[10:11], s[22:23], 4
	s_add_u32 s6, s5, s10
	s_load_dword s51, s[0:1], 0x8c
	s_waitcnt lgkmcnt(0)
	s_mul_i32 s0, s55, s4
	s_mul_hi_u32 s1, s54, s4
	s_addc_u32 s7, s7, s11
	s_add_i32 s1, s1, s0
	s_mul_i32 s0, s54, s4
	s_lshl_b64 s[0:1], s[0:1], 4
	s_add_u32 s5, s40, s0
	s_addc_u32 s12, s41, s1
	s_lshl_b64 s[0:1], s[42:43], 4
	s_add_u32 s18, s5, s0
	v_bfe_u32 v62, v0, 10, 10
	s_addc_u32 s19, s12, s1
	s_lshl_b32 s2, s2, 5
	v_and_b32_e32 v4, 0x3ff, v0
	v_add_u32_e32 v16, s2, v62
	v_add_u32_e32 v18, s2, v4
	s_sub_i32 s2, s49, s2
	s_cmp_gt_i32 s2, 0
	s_cselect_b64 s[22:23], -1, 0
	s_cmpk_eq_i32 s48, 0x84
	s_cselect_b64 s[26:27], -1, 0
	s_ashr_i32 s35, s49, 31
	s_ashr_i32 s48, s50, 31
	s_add_u32 s40, s49, -16
	s_mul_i32 s5, s39, s4
	s_mul_hi_u32 s12, s38, s4
	v_ashrrev_i32_e32 v19, 31, v18
	s_addc_u32 s41, s35, -1
	s_add_i32 s5, s12, s5
	s_mul_i32 s4, s38, s4
	v_mul_lo_u32 v2, s24, v19
	v_mul_lo_u32 v3, s25, v18
	v_mad_u64_u32 v[0:1], s[0:1], s24, v18, 0
	s_lshl_b64 s[4:5], s[4:5], 4
	s_lshl_b64 s[12:13], s[30:31], 4
	v_ashrrev_i32_e32 v17, 31, v16
	v_add3_u32 v1, v1, v2, v3
	s_add_u32 s4, s4, s12
	v_lshl_add_u64 v[0:1], v[0:1], 4, s[6:7]
	v_lshlrev_b64 v[2:3], 4, v[16:17]
	s_addc_u32 s5, s5, s13
	v_lshl_add_u64 v[20:21], v[0:1], 0, v[2:3]
	v_lshlrev_b32_e32 v0, 9, v62
	v_lshlrev_b32_e32 v63, 4, v4
	s_add_u32 s4, s28, s4
	v_add_u32_e32 v64, v63, v0
	v_add_u32_e32 v65, 0x4000, v0
	;; [unrolled: 1-line block ×3, first 2 shown]
	v_lshlrev_b64 v[0:1], 4, v[18:19]
	s_addc_u32 s5, s29, s5
	s_mov_b32 s34, s49
	v_cmp_le_i32_e64 s[0:1], s49, v18
	v_cmp_gt_i32_e64 s[16:17], s49, v18
	v_cmp_gt_i32_e64 s[6:7], s49, v24
	v_lshl_add_u64 v[4:5], s[4:5], 0, v[0:1]
	s_mov_b64 s[4:5], 0x100
	s_lshl_b64 s[28:29], s[36:37], 4
	s_lshl_b32 s49, s51, 5
	v_lshl_add_u64 v[32:33], v[4:5], 0, s[4:5]
	v_lshl_add_u64 v[0:1], v[0:1], 0, s[4:5]
	s_add_u32 s4, s10, s8
	s_addc_u32 s5, s11, s9
	v_mov_b64_e32 v[4:5], s[4:5]
	v_mul_lo_u32 v6, s24, v1
	v_mul_lo_u32 v7, s25, v0
	v_mad_u64_u32 v[0:1], s[4:5], s24, v0, v[4:5]
	v_add3_u32 v1, v7, v1, v6
	v_sub_co_u32_e32 v26, vcc, v18, v16
	v_lshl_add_u64 v[0:1], v[0:1], 0, v[2:3]
	v_add_u32_e32 v66, v65, v63
	v_lshl_add_u64 v[22:23], v[18:19], 0, 16
	v_subb_co_u32_e32 v27, vcc, v19, v17, vcc
	v_lshl_add_u64 v[36:37], s[20:21], 0, v[0:1]
	v_mov_b32_e32 v0, 0
	v_cmp_le_i64_e64 s[14:15], s[34:35], v[22:23]
	v_add_u32_e32 v67, 0x100, v66
	v_add_u32_e32 v68, 0x2000, v66
	v_add_u32_e32 v69, 0x2100, v66
	v_ashrrev_i32_e32 v25, 31, v24
	v_lshl_add_u64 v[28:29], v[26:27], 0, 16
	v_lshl_add_u64 v[30:31], v[26:27], 0, -16
	v_lshl_add_u32 v34, s3, 5, v62
	v_mov_b64_e32 v[38:39], 0x100
	v_mov_b32_e32 v1, v0
	v_mov_b32_e32 v2, v0
	;; [unrolled: 1-line block ×7, first 2 shown]
	s_branch .LBB116_4
.LBB116_3:                              ;   in Loop: Header=BB116_4 Depth=1
	s_or_b64 exec, exec, s[4:5]
	s_add_i32 s3, s51, s3
	s_cmp_le_i32 s3, s33
	v_add_u32_e32 v34, s49, v34
	s_cbranch_scc0 .LBB116_64
.LBB116_4:                              ; =>This Loop Header: Depth=1
                                        ;     Child Loop BB116_7 Depth 2
	v_lshl_add_u32 v40, s3, 5, v62
	s_andn2_b64 vcc, exec, s[22:23]
	v_ashrrev_i32_e32 v41, 31, v40
	s_cbranch_vccnz .LBB116_55
; %bb.5:                                ;   in Loop: Header=BB116_4 Depth=1
	v_ashrrev_i32_e32 v35, 31, v34
	v_mad_u64_u32 v[42:43], s[4:5], s28, v34, v[32:33]
	v_mul_lo_u32 v8, s29, v34
	v_mul_lo_u32 v9, s28, v35
	v_add3_u32 v43, v8, v43, v9
	v_lshl_add_u64 v[8:9], v[34:35], 4, v[38:39]
	v_mul_lo_u32 v9, s36, v9
	v_mul_lo_u32 v10, s37, v8
	v_mad_u64_u32 v[44:45], s[4:5], s36, v8, v[32:33]
	v_add3_u32 v45, v10, v45, v9
	v_mov_b32_e32 v9, s48
	v_sub_co_u32_e32 v8, vcc, s50, v40
	s_mov_b64 s[20:21], 0
	s_nop 0
	v_subb_co_u32_e32 v9, vcc, v9, v41, vcc
	v_cmp_lt_i64_e32 vcc, 0, v[8:9]
	v_cmp_lt_i64_e64 s[8:9], 16, v[8:9]
	v_mov_b64_e32 v[46:47], 0
	s_mov_b64 s[24:25], 0
	v_mov_b64_e32 v[48:49], 0
	v_mov_b64_e32 v[52:53], 0
	;; [unrolled: 1-line block ×7, first 2 shown]
	s_branch .LBB116_7
.LBB116_6:                              ;   in Loop: Header=BB116_7 Depth=2
	s_or_b64 exec, exec, s[4:5]
	s_waitcnt lgkmcnt(0)
	s_barrier
	ds_read_b128 v[70:73], v63
	ds_read_b128 v[74:77], v65
	ds_read_b128 v[78:81], v65 offset:16
	ds_read_b128 v[12:15], v65 offset:32
	;; [unrolled: 1-line block ×4, first 2 shown]
	s_waitcnt lgkmcnt(4)
	v_mul_f64 v[86:87], v[76:77], v[72:73]
	v_fma_f64 v[86:87], v[74:75], v[70:71], -v[86:87]
	v_mul_f64 v[88:89], v[74:75], v[72:73]
	v_fmac_f64_e32 v[88:89], v[76:77], v[70:71]
	v_add_f64 v[86:87], v[58:59], v[86:87]
	s_waitcnt lgkmcnt(0)
	v_mul_f64 v[58:59], v[76:77], v[84:85]
	v_add_f64 v[88:89], v[88:89], v[60:61]
	v_fma_f64 v[90:91], v[74:75], v[82:83], -v[58:59]
	ds_read_b128 v[58:61], v65 offset:8192
	v_mul_f64 v[74:75], v[74:75], v[84:85]
	v_fmac_f64_e32 v[74:75], v[76:77], v[82:83]
	v_add_f64 v[76:77], v[54:55], v[90:91]
	v_add_f64 v[74:75], v[74:75], v[56:57]
	ds_read_b128 v[54:57], v65 offset:8208
	s_waitcnt lgkmcnt(1)
	v_mul_f64 v[90:91], v[60:61], v[72:73]
	v_fma_f64 v[90:91], v[58:59], v[70:71], -v[90:91]
	v_mul_f64 v[72:73], v[58:59], v[72:73]
	v_fmac_f64_e32 v[72:73], v[60:61], v[70:71]
	v_add_f64 v[70:71], v[50:51], v[90:91]
	v_mul_f64 v[50:51], v[60:61], v[84:85]
	v_add_f64 v[72:73], v[72:73], v[52:53]
	v_fma_f64 v[90:91], v[58:59], v[82:83], -v[50:51]
	v_mul_f64 v[58:59], v[58:59], v[84:85]
	ds_read_b128 v[50:53], v63 offset:512
	v_fmac_f64_e32 v[58:59], v[60:61], v[82:83]
	v_add_f64 v[60:61], v[48:49], v[90:91]
	v_add_f64 v[58:59], v[58:59], v[46:47]
	ds_read_b128 v[46:49], v63 offset:768
	s_waitcnt lgkmcnt(1)
	v_mul_f64 v[82:83], v[80:81], v[52:53]
	v_fma_f64 v[82:83], v[78:79], v[50:51], -v[82:83]
	v_add_f64 v[82:83], v[86:87], v[82:83]
	v_mul_f64 v[84:85], v[78:79], v[52:53]
	s_waitcnt lgkmcnt(0)
	v_mul_f64 v[86:87], v[80:81], v[48:49]
	v_fma_f64 v[86:87], v[78:79], v[46:47], -v[86:87]
	v_mul_f64 v[78:79], v[78:79], v[48:49]
	v_fmac_f64_e32 v[78:79], v[80:81], v[46:47]
	v_add_f64 v[74:75], v[78:79], v[74:75]
	v_mul_f64 v[78:79], v[56:57], v[52:53]
	v_mul_f64 v[52:53], v[54:55], v[52:53]
	v_fmac_f64_e32 v[84:85], v[80:81], v[50:51]
	v_fma_f64 v[78:79], v[54:55], v[50:51], -v[78:79]
	v_fmac_f64_e32 v[52:53], v[56:57], v[50:51]
	v_mul_f64 v[50:51], v[56:57], v[48:49]
	v_add_f64 v[72:73], v[52:53], v[72:73]
	v_fma_f64 v[52:53], v[54:55], v[46:47], -v[50:51]
	v_mul_f64 v[54:55], v[54:55], v[48:49]
	ds_read_b128 v[48:51], v63 offset:1024
	v_fmac_f64_e32 v[54:55], v[56:57], v[46:47]
	v_add_f64 v[70:71], v[70:71], v[78:79]
	v_add_f64 v[60:61], v[60:61], v[52:53]
	v_add_f64 v[78:79], v[54:55], v[58:59]
	ds_read_b128 v[52:55], v63 offset:1280
	s_waitcnt lgkmcnt(1)
	v_mul_f64 v[46:47], v[14:15], v[50:51]
	v_mul_f64 v[56:57], v[12:13], v[50:51]
	v_add_f64 v[84:85], v[84:85], v[88:89]
	v_fma_f64 v[46:47], v[12:13], v[48:49], -v[46:47]
	v_fmac_f64_e32 v[56:57], v[14:15], v[48:49]
	v_add_f64 v[80:81], v[82:83], v[46:47]
	v_add_f64 v[82:83], v[56:57], v[84:85]
	ds_read_b128 v[56:59], v65 offset:8224
	s_waitcnt lgkmcnt(1)
	v_mul_f64 v[46:47], v[14:15], v[54:55]
	v_fma_f64 v[46:47], v[12:13], v[52:53], -v[46:47]
	v_mul_f64 v[12:13], v[12:13], v[54:55]
	v_add_f64 v[76:77], v[76:77], v[86:87]
	v_fmac_f64_e32 v[12:13], v[14:15], v[52:53]
	v_add_f64 v[76:77], v[76:77], v[46:47]
	v_add_f64 v[74:75], v[12:13], v[74:75]
	ds_read_b128 v[12:15], v65 offset:8240
	s_waitcnt lgkmcnt(1)
	v_mul_f64 v[46:47], v[58:59], v[50:51]
	v_fma_f64 v[46:47], v[56:57], v[48:49], -v[46:47]
	v_mul_f64 v[50:51], v[56:57], v[50:51]
	v_fmac_f64_e32 v[50:51], v[58:59], v[48:49]
	v_add_f64 v[70:71], v[70:71], v[46:47]
	v_mul_f64 v[46:47], v[58:59], v[54:55]
	v_add_f64 v[72:73], v[50:51], v[72:73]
	v_fma_f64 v[50:51], v[56:57], v[52:53], -v[46:47]
	v_mul_f64 v[54:55], v[56:57], v[54:55]
	ds_read_b128 v[46:49], v63 offset:1536
	v_fmac_f64_e32 v[54:55], v[58:59], v[52:53]
	v_add_f64 v[56:57], v[60:61], v[50:51]
	ds_read_b128 v[50:53], v63 offset:1792
	v_add_f64 v[54:55], v[54:55], v[78:79]
	s_waitcnt lgkmcnt(1)
	v_mul_f64 v[58:59], v[10:11], v[48:49]
	v_fma_f64 v[58:59], v[8:9], v[46:47], -v[58:59]
	v_mul_f64 v[60:61], v[8:9], v[48:49]
	s_waitcnt lgkmcnt(0)
	v_mul_f64 v[78:79], v[10:11], v[52:53]
	v_fma_f64 v[78:79], v[8:9], v[50:51], -v[78:79]
	v_mul_f64 v[8:9], v[8:9], v[52:53]
	v_fmac_f64_e32 v[8:9], v[10:11], v[50:51]
	v_add_f64 v[74:75], v[8:9], v[74:75]
	v_mul_f64 v[8:9], v[14:15], v[48:49]
	v_fmac_f64_e32 v[60:61], v[10:11], v[46:47]
	v_fma_f64 v[8:9], v[12:13], v[46:47], -v[8:9]
	v_mul_f64 v[10:11], v[12:13], v[48:49]
	v_fmac_f64_e32 v[10:11], v[14:15], v[46:47]
	v_add_f64 v[70:71], v[70:71], v[8:9]
	v_mul_f64 v[8:9], v[14:15], v[52:53]
	v_mul_f64 v[48:49], v[12:13], v[52:53]
	v_add_f64 v[72:73], v[10:11], v[72:73]
	v_fma_f64 v[46:47], v[12:13], v[50:51], -v[8:9]
	v_fmac_f64_e32 v[48:49], v[14:15], v[50:51]
	ds_read_b128 v[8:11], v65 offset:64
	ds_read_b128 v[12:15], v63 offset:2048
	v_add_f64 v[58:59], v[80:81], v[58:59]
	v_add_f64 v[76:77], v[76:77], v[78:79]
	;; [unrolled: 1-line block ×4, first 2 shown]
	ds_read_b128 v[46:49], v63 offset:2304
	ds_read_b128 v[50:53], v65 offset:80
	s_waitcnt lgkmcnt(2)
	v_mul_f64 v[54:55], v[10:11], v[14:15]
	v_fma_f64 v[54:55], v[8:9], v[12:13], -v[54:55]
	v_mul_f64 v[56:57], v[8:9], v[14:15]
	v_add_f64 v[60:61], v[60:61], v[82:83]
	v_fmac_f64_e32 v[56:57], v[10:11], v[12:13]
	v_add_f64 v[58:59], v[58:59], v[54:55]
	s_waitcnt lgkmcnt(1)
	v_mul_f64 v[54:55], v[10:11], v[48:49]
	v_add_f64 v[60:61], v[56:57], v[60:61]
	v_fma_f64 v[82:83], v[8:9], v[46:47], -v[54:55]
	ds_read_b128 v[54:57], v65 offset:8256
	v_mul_f64 v[8:9], v[8:9], v[48:49]
	v_fmac_f64_e32 v[8:9], v[10:11], v[46:47]
	v_add_f64 v[76:77], v[76:77], v[82:83]
	v_add_f64 v[74:75], v[8:9], v[74:75]
	ds_read_b128 v[8:11], v65 offset:8272
	s_waitcnt lgkmcnt(1)
	v_mul_f64 v[82:83], v[56:57], v[14:15]
	v_mul_f64 v[14:15], v[54:55], v[14:15]
	v_fma_f64 v[82:83], v[54:55], v[12:13], -v[82:83]
	v_fmac_f64_e32 v[14:15], v[56:57], v[12:13]
	v_mul_f64 v[12:13], v[56:57], v[48:49]
	v_add_f64 v[70:71], v[70:71], v[82:83]
	v_add_f64 v[72:73], v[14:15], v[72:73]
	v_fma_f64 v[82:83], v[54:55], v[46:47], -v[12:13]
	v_mul_f64 v[48:49], v[54:55], v[48:49]
	ds_read_b128 v[12:15], v63 offset:2560
	v_fmac_f64_e32 v[48:49], v[56:57], v[46:47]
	v_add_f64 v[56:57], v[48:49], v[80:81]
	ds_read_b128 v[46:49], v63 offset:2816
	v_add_f64 v[54:55], v[78:79], v[82:83]
	s_waitcnt lgkmcnt(1)
	v_mul_f64 v[78:79], v[52:53], v[14:15]
	v_fma_f64 v[78:79], v[50:51], v[12:13], -v[78:79]
	v_add_f64 v[58:59], v[58:59], v[78:79]
	s_waitcnt lgkmcnt(0)
	v_mul_f64 v[78:79], v[52:53], v[48:49]
	v_mul_f64 v[80:81], v[50:51], v[14:15]
	v_fma_f64 v[78:79], v[50:51], v[46:47], -v[78:79]
	v_mul_f64 v[50:51], v[50:51], v[48:49]
	v_fmac_f64_e32 v[50:51], v[52:53], v[46:47]
	v_add_f64 v[74:75], v[50:51], v[74:75]
	v_mul_f64 v[50:51], v[10:11], v[14:15]
	v_mul_f64 v[14:15], v[8:9], v[14:15]
	v_fmac_f64_e32 v[80:81], v[52:53], v[12:13]
	v_fma_f64 v[50:51], v[8:9], v[12:13], -v[50:51]
	v_fmac_f64_e32 v[14:15], v[10:11], v[12:13]
	v_mul_f64 v[12:13], v[10:11], v[48:49]
	v_mul_f64 v[48:49], v[8:9], v[48:49]
	v_add_f64 v[70:71], v[70:71], v[50:51]
	v_add_f64 v[72:73], v[14:15], v[72:73]
	v_fma_f64 v[50:51], v[8:9], v[46:47], -v[12:13]
	v_fmac_f64_e32 v[48:49], v[10:11], v[46:47]
	ds_read_b128 v[8:11], v65 offset:96
	ds_read_b128 v[12:15], v63 offset:3072
	v_add_f64 v[60:61], v[80:81], v[60:61]
	v_add_f64 v[76:77], v[76:77], v[78:79]
	v_add_f64 v[78:79], v[54:55], v[50:51]
	v_add_f64 v[80:81], v[48:49], v[56:57]
	ds_read_b128 v[46:49], v63 offset:3328
	ds_read_b128 v[50:53], v65 offset:112
	s_waitcnt lgkmcnt(2)
	v_mul_f64 v[54:55], v[10:11], v[14:15]
	v_fma_f64 v[54:55], v[8:9], v[12:13], -v[54:55]
	v_mul_f64 v[56:57], v[8:9], v[14:15]
	v_fmac_f64_e32 v[56:57], v[10:11], v[12:13]
	v_add_f64 v[58:59], v[58:59], v[54:55]
	s_waitcnt lgkmcnt(1)
	v_mul_f64 v[54:55], v[10:11], v[48:49]
	v_add_f64 v[60:61], v[56:57], v[60:61]
	v_fma_f64 v[82:83], v[8:9], v[46:47], -v[54:55]
	ds_read_b128 v[54:57], v65 offset:8288
	v_mul_f64 v[8:9], v[8:9], v[48:49]
	v_fmac_f64_e32 v[8:9], v[10:11], v[46:47]
	v_add_f64 v[76:77], v[76:77], v[82:83]
	v_add_f64 v[74:75], v[8:9], v[74:75]
	ds_read_b128 v[8:11], v65 offset:8304
	s_waitcnt lgkmcnt(1)
	v_mul_f64 v[82:83], v[56:57], v[14:15]
	v_mul_f64 v[14:15], v[54:55], v[14:15]
	v_fma_f64 v[82:83], v[54:55], v[12:13], -v[82:83]
	v_fmac_f64_e32 v[14:15], v[56:57], v[12:13]
	v_mul_f64 v[12:13], v[56:57], v[48:49]
	v_add_f64 v[70:71], v[70:71], v[82:83]
	v_add_f64 v[72:73], v[14:15], v[72:73]
	v_fma_f64 v[82:83], v[54:55], v[46:47], -v[12:13]
	v_mul_f64 v[48:49], v[54:55], v[48:49]
	ds_read_b128 v[12:15], v63 offset:3584
	v_fmac_f64_e32 v[48:49], v[56:57], v[46:47]
	v_add_f64 v[56:57], v[48:49], v[80:81]
	ds_read_b128 v[46:49], v63 offset:3840
	v_add_f64 v[54:55], v[78:79], v[82:83]
	s_waitcnt lgkmcnt(1)
	v_mul_f64 v[78:79], v[52:53], v[14:15]
	v_fma_f64 v[78:79], v[50:51], v[12:13], -v[78:79]
	v_add_f64 v[58:59], v[58:59], v[78:79]
	s_waitcnt lgkmcnt(0)
	v_mul_f64 v[78:79], v[52:53], v[48:49]
	v_mul_f64 v[80:81], v[50:51], v[14:15]
	v_fma_f64 v[78:79], v[50:51], v[46:47], -v[78:79]
	v_mul_f64 v[50:51], v[50:51], v[48:49]
	v_fmac_f64_e32 v[50:51], v[52:53], v[46:47]
	v_add_f64 v[74:75], v[50:51], v[74:75]
	v_mul_f64 v[50:51], v[10:11], v[14:15]
	v_mul_f64 v[14:15], v[8:9], v[14:15]
	v_fmac_f64_e32 v[80:81], v[52:53], v[12:13]
	v_fma_f64 v[50:51], v[8:9], v[12:13], -v[50:51]
	v_fmac_f64_e32 v[14:15], v[10:11], v[12:13]
	v_mul_f64 v[12:13], v[10:11], v[48:49]
	v_mul_f64 v[48:49], v[8:9], v[48:49]
	v_add_f64 v[70:71], v[70:71], v[50:51]
	v_add_f64 v[72:73], v[14:15], v[72:73]
	v_fma_f64 v[50:51], v[8:9], v[46:47], -v[12:13]
	v_fmac_f64_e32 v[48:49], v[10:11], v[46:47]
	ds_read_b128 v[8:11], v65 offset:128
	ds_read_b128 v[12:15], v63 offset:4096
	v_add_f64 v[60:61], v[80:81], v[60:61]
	v_add_f64 v[76:77], v[76:77], v[78:79]
	v_add_f64 v[78:79], v[54:55], v[50:51]
	v_add_f64 v[80:81], v[48:49], v[56:57]
	ds_read_b128 v[46:49], v63 offset:4352
	ds_read_b128 v[50:53], v65 offset:144
	s_waitcnt lgkmcnt(2)
	v_mul_f64 v[54:55], v[10:11], v[14:15]
	v_fma_f64 v[54:55], v[8:9], v[12:13], -v[54:55]
	v_mul_f64 v[56:57], v[8:9], v[14:15]
	;; [unrolled: 61-line block ×13, first 2 shown]
	v_fmac_f64_e32 v[56:57], v[10:11], v[12:13]
	v_add_f64 v[58:59], v[58:59], v[54:55]
	s_waitcnt lgkmcnt(1)
	v_mul_f64 v[54:55], v[10:11], v[48:49]
	v_add_f64 v[60:61], v[56:57], v[60:61]
	v_fma_f64 v[82:83], v[8:9], v[46:47], -v[54:55]
	ds_read_b128 v[54:57], v65 offset:8672
	v_mul_f64 v[8:9], v[8:9], v[48:49]
	v_fmac_f64_e32 v[8:9], v[10:11], v[46:47]
	v_add_f64 v[76:77], v[76:77], v[82:83]
	v_add_f64 v[74:75], v[8:9], v[74:75]
	ds_read_b128 v[8:11], v65 offset:8688
	s_waitcnt lgkmcnt(1)
	v_mul_f64 v[82:83], v[56:57], v[14:15]
	v_mul_f64 v[14:15], v[54:55], v[14:15]
	v_fma_f64 v[82:83], v[54:55], v[12:13], -v[82:83]
	v_fmac_f64_e32 v[14:15], v[56:57], v[12:13]
	v_mul_f64 v[12:13], v[56:57], v[48:49]
	v_add_f64 v[70:71], v[70:71], v[82:83]
	v_add_f64 v[72:73], v[14:15], v[72:73]
	v_fma_f64 v[82:83], v[54:55], v[46:47], -v[12:13]
	v_mul_f64 v[48:49], v[54:55], v[48:49]
	ds_read_b128 v[12:15], v63 offset:15872
	v_fmac_f64_e32 v[48:49], v[56:57], v[46:47]
	v_add_f64 v[80:81], v[48:49], v[80:81]
	ds_read_b128 v[46:49], v63 offset:16128
	s_add_u32 s24, s24, 32
	s_waitcnt lgkmcnt(1)
	v_mul_f64 v[54:55], v[52:53], v[14:15]
	v_fma_f64 v[54:55], v[50:51], v[12:13], -v[54:55]
	v_add_f64 v[58:59], v[58:59], v[54:55]
	s_waitcnt lgkmcnt(0)
	v_mul_f64 v[54:55], v[52:53], v[48:49]
	v_mul_f64 v[56:57], v[50:51], v[14:15]
	v_fma_f64 v[54:55], v[50:51], v[46:47], -v[54:55]
	v_mul_f64 v[50:51], v[50:51], v[48:49]
	v_fmac_f64_e32 v[56:57], v[52:53], v[12:13]
	v_fmac_f64_e32 v[50:51], v[52:53], v[46:47]
	v_add_f64 v[60:61], v[56:57], v[60:61]
	v_add_f64 v[56:57], v[50:51], v[74:75]
	v_mul_f64 v[50:51], v[10:11], v[14:15]
	v_mul_f64 v[14:15], v[8:9], v[14:15]
	v_fma_f64 v[50:51], v[8:9], v[12:13], -v[50:51]
	v_fmac_f64_e32 v[14:15], v[10:11], v[12:13]
	v_mul_f64 v[12:13], v[10:11], v[48:49]
	s_addc_u32 s25, s25, 0
	v_fma_f64 v[12:13], v[8:9], v[46:47], -v[12:13]
	v_mul_f64 v[8:9], v[8:9], v[48:49]
	s_add_u32 s20, s20, 0x200
	v_add_f64 v[78:79], v[78:79], v[82:83]
	v_fmac_f64_e32 v[8:9], v[10:11], v[46:47]
	s_addc_u32 s21, s21, 0
	v_add_f64 v[54:55], v[76:77], v[54:55]
	v_add_f64 v[50:51], v[70:71], v[50:51]
	v_add_f64 v[52:53], v[14:15], v[72:73]
	v_add_f64 v[48:49], v[78:79], v[12:13]
	v_add_f64 v[46:47], v[8:9], v[80:81]
	s_cmp_ge_i32 s24, s2
	s_barrier
	s_cbranch_scc1 .LBB116_56
.LBB116_7:                              ;   Parent Loop BB116_4 Depth=1
                                        ; =>  This Inner Loop Header: Depth=2
	v_lshl_add_u64 v[12:13], v[16:17], 0, s[24:25]
	v_cmp_le_i64_e64 s[12:13], s[34:35], v[12:13]
	v_cmp_eq_u64_e64 s[4:5], s[24:25], v[26:27]
	v_cmp_lt_i64_e64 s[10:11], v[12:13], v[18:19]
	s_and_b64 s[38:39], s[26:27], s[4:5]
	s_or_b64 s[4:5], s[12:13], s[10:11]
	s_or_b64 s[4:5], s[4:5], s[38:39]
	v_lshl_add_u64 v[8:9], v[20:21], 0, s[20:21]
	s_nor_b64 s[4:5], s[0:1], s[4:5]
	s_and_saveexec_b64 s[30:31], s[4:5]
	s_xor_b64 s[4:5], exec, s[30:31]
	s_cbranch_execz .LBB116_9
; %bb.8:                                ;   in Loop: Header=BB116_7 Depth=2
	global_load_dwordx4 v[70:73], v[8:9], off
	s_waitcnt vmcnt(0)
	v_xor_b32_e32 v73, 0x80000000, v73
	ds_write_b128 v64, v[70:73]
.LBB116_9:                              ;   in Loop: Header=BB116_7 Depth=2
	s_or_saveexec_b64 s[4:5], s[4:5]
	s_xor_b64 s[30:31], s[38:39], -1
	s_xor_b64 exec, exec, s[4:5]
	s_cbranch_execz .LBB116_15
; %bb.10:                               ;   in Loop: Header=BB116_7 Depth=2
	s_and_saveexec_b64 s[42:43], s[30:31]
	s_xor_b64 s[42:43], exec, s[42:43]
; %bb.11:                               ;   in Loop: Header=BB116_7 Depth=2
	ds_write_b128 v64, v[0:3]
; %bb.12:                               ;   in Loop: Header=BB116_7 Depth=2
	s_andn2_saveexec_b64 s[42:43], s[42:43]
; %bb.13:                               ;   in Loop: Header=BB116_7 Depth=2
	ds_write_b128 v64, v[4:7]
; %bb.14:                               ;   in Loop: Header=BB116_7 Depth=2
	s_or_b64 exec, exec, s[42:43]
.LBB116_15:                             ;   in Loop: Header=BB116_7 Depth=2
	s_or_b64 exec, exec, s[4:5]
	v_cmp_eq_u64_e64 s[4:5], s[24:25], v[28:29]
	s_and_b64 s[42:43], s[26:27], s[4:5]
	v_cmp_gt_i64_e64 s[4:5], v[22:23], v[12:13]
	s_or_b64 s[4:5], s[12:13], s[4:5]
	s_or_b64 s[4:5], s[4:5], s[42:43]
	s_nor_b64 s[4:5], s[14:15], s[4:5]
	v_lshl_add_u64 v[10:11], v[36:37], 0, s[20:21]
	s_and_saveexec_b64 s[12:13], s[4:5]
	s_xor_b64 s[4:5], exec, s[12:13]
	s_cbranch_execz .LBB116_17
; %bb.16:                               ;   in Loop: Header=BB116_7 Depth=2
	global_load_dwordx4 v[70:73], v[10:11], off
	s_waitcnt vmcnt(0)
	v_xor_b32_e32 v73, 0x80000000, v73
	ds_write_b128 v64, v[70:73] offset:256
.LBB116_17:                             ;   in Loop: Header=BB116_7 Depth=2
	s_andn2_saveexec_b64 s[4:5], s[4:5]
	s_cbranch_execz .LBB116_23
; %bb.18:                               ;   in Loop: Header=BB116_7 Depth=2
	s_xor_b64 s[12:13], s[42:43], -1
	s_and_saveexec_b64 s[42:43], s[12:13]
	s_xor_b64 s[12:13], exec, s[42:43]
; %bb.19:                               ;   in Loop: Header=BB116_7 Depth=2
	ds_write_b128 v64, v[0:3] offset:256
; %bb.20:                               ;   in Loop: Header=BB116_7 Depth=2
	s_andn2_saveexec_b64 s[12:13], s[12:13]
; %bb.21:                               ;   in Loop: Header=BB116_7 Depth=2
	ds_write_b128 v64, v[4:7] offset:256
; %bb.22:                               ;   in Loop: Header=BB116_7 Depth=2
	s_or_b64 exec, exec, s[12:13]
.LBB116_23:                             ;   in Loop: Header=BB116_7 Depth=2
	s_or_b64 exec, exec, s[4:5]
	v_lshl_add_u64 v[12:13], v[12:13], 0, 16
	v_cmp_eq_u64_e64 s[4:5], s[24:25], v[30:31]
	v_cmp_le_i64_e64 s[12:13], s[34:35], v[12:13]
	s_and_b64 s[42:43], s[26:27], s[4:5]
	v_cmp_lt_i64_e64 s[4:5], v[12:13], v[18:19]
	s_or_b64 s[4:5], s[12:13], s[4:5]
	s_or_b64 s[4:5], s[4:5], s[42:43]
	s_nor_b64 s[4:5], s[0:1], s[4:5]
	s_and_saveexec_b64 s[54:55], s[4:5]
	s_xor_b64 s[4:5], exec, s[54:55]
	s_cbranch_execz .LBB116_25
; %bb.24:                               ;   in Loop: Header=BB116_7 Depth=2
	global_load_dwordx4 v[12:15], v[8:9], off offset:256
	s_waitcnt vmcnt(0)
	v_xor_b32_e32 v15, 0x80000000, v15
	ds_write_b128 v64, v[12:15] offset:8192
.LBB116_25:                             ;   in Loop: Header=BB116_7 Depth=2
	s_andn2_saveexec_b64 s[4:5], s[4:5]
	s_cbranch_execz .LBB116_31
; %bb.26:                               ;   in Loop: Header=BB116_7 Depth=2
	s_xor_b64 s[42:43], s[42:43], -1
	s_and_saveexec_b64 s[54:55], s[42:43]
	s_xor_b64 s[42:43], exec, s[54:55]
; %bb.27:                               ;   in Loop: Header=BB116_7 Depth=2
	ds_write_b128 v64, v[0:3] offset:8192
; %bb.28:                               ;   in Loop: Header=BB116_7 Depth=2
	s_andn2_saveexec_b64 s[42:43], s[42:43]
; %bb.29:                               ;   in Loop: Header=BB116_7 Depth=2
	ds_write_b128 v64, v[4:7] offset:8192
; %bb.30:                               ;   in Loop: Header=BB116_7 Depth=2
	s_or_b64 exec, exec, s[42:43]
.LBB116_31:                             ;   in Loop: Header=BB116_7 Depth=2
	s_or_b64 exec, exec, s[4:5]
	s_or_b64 s[4:5], s[12:13], s[10:11]
	s_or_b64 s[4:5], s[4:5], s[38:39]
	s_nor_b64 s[4:5], s[14:15], s[4:5]
	s_and_saveexec_b64 s[10:11], s[4:5]
	s_xor_b64 s[4:5], exec, s[10:11]
	s_cbranch_execz .LBB116_33
; %bb.32:                               ;   in Loop: Header=BB116_7 Depth=2
	global_load_dwordx4 v[8:11], v[10:11], off offset:256
	s_waitcnt vmcnt(0)
	v_xor_b32_e32 v11, 0x80000000, v11
	ds_write_b128 v64, v[8:11] offset:8448
.LBB116_33:                             ;   in Loop: Header=BB116_7 Depth=2
	s_andn2_saveexec_b64 s[4:5], s[4:5]
	s_cbranch_execz .LBB116_39
; %bb.34:                               ;   in Loop: Header=BB116_7 Depth=2
	s_and_saveexec_b64 s[10:11], s[30:31]
	s_xor_b64 s[10:11], exec, s[10:11]
; %bb.35:                               ;   in Loop: Header=BB116_7 Depth=2
	ds_write_b128 v64, v[0:3] offset:8448
; %bb.36:                               ;   in Loop: Header=BB116_7 Depth=2
	s_andn2_saveexec_b64 s[10:11], s[10:11]
; %bb.37:                               ;   in Loop: Header=BB116_7 Depth=2
	ds_write_b128 v64, v[4:7] offset:8448
; %bb.38:                               ;   in Loop: Header=BB116_7 Depth=2
	s_or_b64 exec, exec, s[10:11]
.LBB116_39:                             ;   in Loop: Header=BB116_7 Depth=2
	s_or_b64 exec, exec, s[4:5]
	v_lshl_add_u64 v[10:11], v[18:19], 0, s[24:25]
	v_cmp_gt_i64_e64 s[10:11], s[34:35], v[10:11]
	s_and_b64 s[4:5], vcc, s[10:11]
	s_xor_b64 s[4:5], s[4:5], -1
	s_and_saveexec_b64 s[12:13], s[4:5]
	s_xor_b64 s[4:5], exec, s[12:13]
; %bb.40:                               ;   in Loop: Header=BB116_7 Depth=2
	ds_write_b128 v66, v[0:3]
; %bb.41:                               ;   in Loop: Header=BB116_7 Depth=2
	s_or_saveexec_b64 s[4:5], s[4:5]
	v_lshl_add_u64 v[8:9], v[42:43], 0, s[20:21]
	s_xor_b64 exec, exec, s[4:5]
	s_cbranch_execz .LBB116_43
; %bb.42:                               ;   in Loop: Header=BB116_7 Depth=2
	global_load_dwordx4 v[12:15], v[8:9], off offset:-256
	s_waitcnt vmcnt(0)
	ds_write2_b64 v66, v[12:13], v[14:15] offset1:1
.LBB116_43:                             ;   in Loop: Header=BB116_7 Depth=2
	s_or_b64 exec, exec, s[4:5]
	v_cmp_gt_i64_e64 s[12:13], s[40:41], v[10:11]
	s_and_b64 s[4:5], vcc, s[12:13]
	s_xor_b64 s[4:5], s[4:5], -1
	s_and_saveexec_b64 s[30:31], s[4:5]
	s_xor_b64 s[4:5], exec, s[30:31]
; %bb.44:                               ;   in Loop: Header=BB116_7 Depth=2
	ds_write_b128 v66, v[0:3] offset:256
                                        ; implicit-def: $vgpr8_vgpr9
; %bb.45:                               ;   in Loop: Header=BB116_7 Depth=2
	s_andn2_saveexec_b64 s[4:5], s[4:5]
	s_cbranch_execz .LBB116_47
; %bb.46:                               ;   in Loop: Header=BB116_7 Depth=2
	global_load_dwordx4 v[8:11], v[8:9], off
	s_waitcnt vmcnt(0)
	ds_write2_b64 v67, v[8:9], v[10:11] offset1:1
.LBB116_47:                             ;   in Loop: Header=BB116_7 Depth=2
	s_or_b64 exec, exec, s[4:5]
	s_and_b64 s[4:5], s[8:9], s[10:11]
	s_xor_b64 s[4:5], s[4:5], -1
	s_and_saveexec_b64 s[10:11], s[4:5]
	s_xor_b64 s[4:5], exec, s[10:11]
; %bb.48:                               ;   in Loop: Header=BB116_7 Depth=2
	ds_write_b128 v66, v[0:3] offset:8192
; %bb.49:                               ;   in Loop: Header=BB116_7 Depth=2
	s_or_saveexec_b64 s[4:5], s[4:5]
	v_lshl_add_u64 v[8:9], v[44:45], 0, s[20:21]
	s_xor_b64 exec, exec, s[4:5]
	s_cbranch_execz .LBB116_51
; %bb.50:                               ;   in Loop: Header=BB116_7 Depth=2
	global_load_dwordx4 v[10:13], v[8:9], off offset:-256
	s_waitcnt vmcnt(0)
	ds_write2_b64 v68, v[10:11], v[12:13] offset1:1
.LBB116_51:                             ;   in Loop: Header=BB116_7 Depth=2
	s_or_b64 exec, exec, s[4:5]
	s_and_b64 s[4:5], s[8:9], s[12:13]
	s_xor_b64 s[4:5], s[4:5], -1
	s_and_saveexec_b64 s[10:11], s[4:5]
	s_xor_b64 s[4:5], exec, s[10:11]
; %bb.52:                               ;   in Loop: Header=BB116_7 Depth=2
	ds_write_b128 v66, v[0:3] offset:8448
                                        ; implicit-def: $vgpr8_vgpr9
; %bb.53:                               ;   in Loop: Header=BB116_7 Depth=2
	s_andn2_saveexec_b64 s[4:5], s[4:5]
	s_cbranch_execz .LBB116_6
; %bb.54:                               ;   in Loop: Header=BB116_7 Depth=2
	global_load_dwordx4 v[8:11], v[8:9], off
	s_waitcnt vmcnt(0)
	ds_write2_b64 v69, v[8:9], v[10:11] offset1:1
	s_branch .LBB116_6
.LBB116_55:                             ;   in Loop: Header=BB116_4 Depth=1
	v_mov_b64_e32 v[58:59], 0
	v_mov_b64_e32 v[60:61], 0
	;; [unrolled: 1-line block ×8, first 2 shown]
.LBB116_56:                             ;   in Loop: Header=BB116_4 Depth=1
	v_mul_lo_u32 v10, s53, v40
	v_mul_lo_u32 v11, s52, v41
	v_mad_u64_u32 v[8:9], s[4:5], s52, v40, 0
	v_cmp_gt_i32_e32 vcc, s50, v40
	v_add3_u32 v9, v9, v11, v10
	v_lshl_add_u64 v[8:9], v[8:9], 4, s[18:19]
	s_and_b64 s[8:9], s[16:17], vcc
	s_and_saveexec_b64 s[4:5], s[8:9]
	s_cbranch_execz .LBB116_58
; %bb.57:                               ;   in Loop: Header=BB116_4 Depth=1
	v_lshl_add_u64 v[14:15], v[18:19], 4, v[8:9]
	global_load_dwordx4 v[10:13], v[14:15], off
	v_mul_f64 v[42:43], s[46:47], v[60:61]
	v_mul_f64 v[44:45], s[44:45], v[60:61]
	v_fma_f64 v[42:43], s[44:45], v[58:59], -v[42:43]
	v_fmac_f64_e32 v[44:45], s[46:47], v[58:59]
	s_waitcnt vmcnt(0)
	v_add_f64 v[10:11], v[10:11], v[42:43]
	v_add_f64 v[12:13], v[44:45], v[12:13]
	global_store_dwordx4 v[14:15], v[10:13], off
.LBB116_58:                             ;   in Loop: Header=BB116_4 Depth=1
	s_or_b64 exec, exec, s[4:5]
	s_and_b64 s[8:9], s[6:7], vcc
	s_and_saveexec_b64 s[4:5], s[8:9]
	s_cbranch_execz .LBB116_60
; %bb.59:                               ;   in Loop: Header=BB116_4 Depth=1
	v_lshl_add_u64 v[12:13], v[24:25], 4, v[8:9]
	global_load_dwordx4 v[8:11], v[12:13], off
	v_mul_f64 v[14:15], s[46:47], v[56:57]
	v_mul_f64 v[42:43], s[44:45], v[56:57]
	v_fma_f64 v[14:15], s[44:45], v[54:55], -v[14:15]
	v_fmac_f64_e32 v[42:43], s[46:47], v[54:55]
	s_waitcnt vmcnt(0)
	v_add_f64 v[8:9], v[8:9], v[14:15]
	v_add_f64 v[10:11], v[42:43], v[10:11]
	global_store_dwordx4 v[12:13], v[8:11], off
.LBB116_60:                             ;   in Loop: Header=BB116_4 Depth=1
	s_or_b64 exec, exec, s[4:5]
	s_nop 0
	v_add_u32_e32 v8, 16, v40
	v_ashrrev_i32_e32 v9, 31, v8
	v_cmp_gt_i32_e32 vcc, s50, v8
	v_mul_lo_u32 v10, s52, v9
	v_mul_lo_u32 v11, s53, v8
	v_mad_u64_u32 v[8:9], s[4:5], s52, v8, 0
	v_add3_u32 v9, v9, v10, v11
	v_lshl_add_u64 v[8:9], v[8:9], 4, s[18:19]
	s_and_b64 s[8:9], s[16:17], vcc
	s_and_saveexec_b64 s[4:5], s[8:9]
	s_cbranch_execz .LBB116_62
; %bb.61:                               ;   in Loop: Header=BB116_4 Depth=1
	v_lshl_add_u64 v[14:15], v[18:19], 4, v[8:9]
	global_load_dwordx4 v[10:13], v[14:15], off
	v_mul_f64 v[40:41], s[46:47], v[52:53]
	v_mul_f64 v[42:43], s[44:45], v[52:53]
	v_fma_f64 v[40:41], s[44:45], v[50:51], -v[40:41]
	v_fmac_f64_e32 v[42:43], s[46:47], v[50:51]
	s_waitcnt vmcnt(0)
	v_add_f64 v[10:11], v[10:11], v[40:41]
	v_add_f64 v[12:13], v[42:43], v[12:13]
	global_store_dwordx4 v[14:15], v[10:13], off
.LBB116_62:                             ;   in Loop: Header=BB116_4 Depth=1
	s_or_b64 exec, exec, s[4:5]
	s_and_b64 s[8:9], s[6:7], vcc
	s_and_saveexec_b64 s[4:5], s[8:9]
	s_cbranch_execz .LBB116_3
; %bb.63:                               ;   in Loop: Header=BB116_4 Depth=1
	v_lshl_add_u64 v[12:13], v[24:25], 4, v[8:9]
	global_load_dwordx4 v[8:11], v[12:13], off
	v_mul_f64 v[14:15], s[46:47], v[46:47]
	v_mul_f64 v[40:41], s[44:45], v[46:47]
	v_fma_f64 v[14:15], s[44:45], v[48:49], -v[14:15]
	v_fmac_f64_e32 v[40:41], s[46:47], v[48:49]
	s_waitcnt vmcnt(0)
	v_add_f64 v[8:9], v[8:9], v[14:15]
	v_add_f64 v[10:11], v[40:41], v[10:11]
	global_store_dwordx4 v[12:13], v[8:11], off
	s_branch .LBB116_3
.LBB116_64:
	s_endpgm
	.section	.rodata,"a",@progbits
	.p2align	6, 0x0
	.amdhsa_kernel _ZL30rocblas_trmm_outofplace_kernelI19rocblas_complex_numIdELi32ELi2ELb1ELb0ELb1ELb1EPKS1_S2_S1_Ev17rocblas_diagonal_iiT6_lPT7_lllS7_lllPT8_llli
		.amdhsa_group_segment_fixed_size 32768
		.amdhsa_private_segment_fixed_size 0
		.amdhsa_kernarg_size 392
		.amdhsa_user_sgpr_count 2
		.amdhsa_user_sgpr_dispatch_ptr 0
		.amdhsa_user_sgpr_queue_ptr 0
		.amdhsa_user_sgpr_kernarg_segment_ptr 1
		.amdhsa_user_sgpr_dispatch_id 0
		.amdhsa_user_sgpr_kernarg_preload_length 0
		.amdhsa_user_sgpr_kernarg_preload_offset 0
		.amdhsa_user_sgpr_private_segment_size 0
		.amdhsa_uses_dynamic_stack 0
		.amdhsa_enable_private_segment 0
		.amdhsa_system_sgpr_workgroup_id_x 1
		.amdhsa_system_sgpr_workgroup_id_y 1
		.amdhsa_system_sgpr_workgroup_id_z 1
		.amdhsa_system_sgpr_workgroup_info 0
		.amdhsa_system_vgpr_workitem_id 1
		.amdhsa_next_free_vgpr 92
		.amdhsa_next_free_sgpr 56
		.amdhsa_accum_offset 92
		.amdhsa_reserve_vcc 1
		.amdhsa_float_round_mode_32 0
		.amdhsa_float_round_mode_16_64 0
		.amdhsa_float_denorm_mode_32 3
		.amdhsa_float_denorm_mode_16_64 3
		.amdhsa_dx10_clamp 1
		.amdhsa_ieee_mode 1
		.amdhsa_fp16_overflow 0
		.amdhsa_tg_split 0
		.amdhsa_exception_fp_ieee_invalid_op 0
		.amdhsa_exception_fp_denorm_src 0
		.amdhsa_exception_fp_ieee_div_zero 0
		.amdhsa_exception_fp_ieee_overflow 0
		.amdhsa_exception_fp_ieee_underflow 0
		.amdhsa_exception_fp_ieee_inexact 0
		.amdhsa_exception_int_div_zero 0
	.end_amdhsa_kernel
	.section	.text._ZL30rocblas_trmm_outofplace_kernelI19rocblas_complex_numIdELi32ELi2ELb1ELb0ELb1ELb1EPKS1_S2_S1_Ev17rocblas_diagonal_iiT6_lPT7_lllS7_lllPT8_llli,"axG",@progbits,_ZL30rocblas_trmm_outofplace_kernelI19rocblas_complex_numIdELi32ELi2ELb1ELb0ELb1ELb1EPKS1_S2_S1_Ev17rocblas_diagonal_iiT6_lPT7_lllS7_lllPT8_llli,comdat
.Lfunc_end116:
	.size	_ZL30rocblas_trmm_outofplace_kernelI19rocblas_complex_numIdELi32ELi2ELb1ELb0ELb1ELb1EPKS1_S2_S1_Ev17rocblas_diagonal_iiT6_lPT7_lllS7_lllPT8_llli, .Lfunc_end116-_ZL30rocblas_trmm_outofplace_kernelI19rocblas_complex_numIdELi32ELi2ELb1ELb0ELb1ELb1EPKS1_S2_S1_Ev17rocblas_diagonal_iiT6_lPT7_lllS7_lllPT8_llli
                                        ; -- End function
	.set _ZL30rocblas_trmm_outofplace_kernelI19rocblas_complex_numIdELi32ELi2ELb1ELb0ELb1ELb1EPKS1_S2_S1_Ev17rocblas_diagonal_iiT6_lPT7_lllS7_lllPT8_llli.num_vgpr, 92
	.set _ZL30rocblas_trmm_outofplace_kernelI19rocblas_complex_numIdELi32ELi2ELb1ELb0ELb1ELb1EPKS1_S2_S1_Ev17rocblas_diagonal_iiT6_lPT7_lllS7_lllPT8_llli.num_agpr, 0
	.set _ZL30rocblas_trmm_outofplace_kernelI19rocblas_complex_numIdELi32ELi2ELb1ELb0ELb1ELb1EPKS1_S2_S1_Ev17rocblas_diagonal_iiT6_lPT7_lllS7_lllPT8_llli.numbered_sgpr, 56
	.set _ZL30rocblas_trmm_outofplace_kernelI19rocblas_complex_numIdELi32ELi2ELb1ELb0ELb1ELb1EPKS1_S2_S1_Ev17rocblas_diagonal_iiT6_lPT7_lllS7_lllPT8_llli.num_named_barrier, 0
	.set _ZL30rocblas_trmm_outofplace_kernelI19rocblas_complex_numIdELi32ELi2ELb1ELb0ELb1ELb1EPKS1_S2_S1_Ev17rocblas_diagonal_iiT6_lPT7_lllS7_lllPT8_llli.private_seg_size, 0
	.set _ZL30rocblas_trmm_outofplace_kernelI19rocblas_complex_numIdELi32ELi2ELb1ELb0ELb1ELb1EPKS1_S2_S1_Ev17rocblas_diagonal_iiT6_lPT7_lllS7_lllPT8_llli.uses_vcc, 1
	.set _ZL30rocblas_trmm_outofplace_kernelI19rocblas_complex_numIdELi32ELi2ELb1ELb0ELb1ELb1EPKS1_S2_S1_Ev17rocblas_diagonal_iiT6_lPT7_lllS7_lllPT8_llli.uses_flat_scratch, 0
	.set _ZL30rocblas_trmm_outofplace_kernelI19rocblas_complex_numIdELi32ELi2ELb1ELb0ELb1ELb1EPKS1_S2_S1_Ev17rocblas_diagonal_iiT6_lPT7_lllS7_lllPT8_llli.has_dyn_sized_stack, 0
	.set _ZL30rocblas_trmm_outofplace_kernelI19rocblas_complex_numIdELi32ELi2ELb1ELb0ELb1ELb1EPKS1_S2_S1_Ev17rocblas_diagonal_iiT6_lPT7_lllS7_lllPT8_llli.has_recursion, 0
	.set _ZL30rocblas_trmm_outofplace_kernelI19rocblas_complex_numIdELi32ELi2ELb1ELb0ELb1ELb1EPKS1_S2_S1_Ev17rocblas_diagonal_iiT6_lPT7_lllS7_lllPT8_llli.has_indirect_call, 0
	.section	.AMDGPU.csdata,"",@progbits
; Kernel info:
; codeLenInByte = 9160
; TotalNumSgprs: 62
; NumVgprs: 92
; NumAgprs: 0
; TotalNumVgprs: 92
; ScratchSize: 0
; MemoryBound: 0
; FloatMode: 240
; IeeeMode: 1
; LDSByteSize: 32768 bytes/workgroup (compile time only)
; SGPRBlocks: 7
; VGPRBlocks: 11
; NumSGPRsForWavesPerEU: 62
; NumVGPRsForWavesPerEU: 92
; AccumOffset: 92
; Occupancy: 5
; WaveLimiterHint : 0
; COMPUTE_PGM_RSRC2:SCRATCH_EN: 0
; COMPUTE_PGM_RSRC2:USER_SGPR: 2
; COMPUTE_PGM_RSRC2:TRAP_HANDLER: 0
; COMPUTE_PGM_RSRC2:TGID_X_EN: 1
; COMPUTE_PGM_RSRC2:TGID_Y_EN: 1
; COMPUTE_PGM_RSRC2:TGID_Z_EN: 1
; COMPUTE_PGM_RSRC2:TIDIG_COMP_CNT: 1
; COMPUTE_PGM_RSRC3_GFX90A:ACCUM_OFFSET: 22
; COMPUTE_PGM_RSRC3_GFX90A:TG_SPLIT: 0
	.section	.text._ZL30rocblas_trmm_outofplace_kernelI19rocblas_complex_numIdELi32ELi2ELb1ELb0ELb1ELb1ES1_KS1_S1_Ev17rocblas_diagonal_iiT6_lPT7_lllS6_lllPT8_llli,"axG",@progbits,_ZL30rocblas_trmm_outofplace_kernelI19rocblas_complex_numIdELi32ELi2ELb1ELb0ELb1ELb1ES1_KS1_S1_Ev17rocblas_diagonal_iiT6_lPT7_lllS6_lllPT8_llli,comdat
	.globl	_ZL30rocblas_trmm_outofplace_kernelI19rocblas_complex_numIdELi32ELi2ELb1ELb0ELb1ELb1ES1_KS1_S1_Ev17rocblas_diagonal_iiT6_lPT7_lllS6_lllPT8_llli ; -- Begin function _ZL30rocblas_trmm_outofplace_kernelI19rocblas_complex_numIdELi32ELi2ELb1ELb0ELb1ELb1ES1_KS1_S1_Ev17rocblas_diagonal_iiT6_lPT7_lllS6_lllPT8_llli
	.p2align	8
	.type	_ZL30rocblas_trmm_outofplace_kernelI19rocblas_complex_numIdELi32ELi2ELb1ELb0ELb1ELb1ES1_KS1_S1_Ev17rocblas_diagonal_iiT6_lPT7_lllS6_lllPT8_llli,@function
_ZL30rocblas_trmm_outofplace_kernelI19rocblas_complex_numIdELi32ELi2ELb1ELb0ELb1ELb1ES1_KS1_S1_Ev17rocblas_diagonal_iiT6_lPT7_lllS6_lllPT8_llli: ; @_ZL30rocblas_trmm_outofplace_kernelI19rocblas_complex_numIdELi32ELi2ELb1ELb0ELb1ELb1ES1_KS1_S1_Ev17rocblas_diagonal_iiT6_lPT7_lllS6_lllPT8_llli
; %bb.0:
	s_load_dwordx4 s[24:27], s[0:1], 0x10
	s_waitcnt lgkmcnt(0)
	v_cmp_eq_f64_e64 s[6:7], s[24:25], 0
	v_cmp_eq_f64_e64 s[8:9], s[26:27], 0
	s_and_b64 s[6:7], s[6:7], s[8:9]
	s_and_b64 vcc, exec, s[6:7]
	s_cbranch_vccnz .LBB117_64
; %bb.1:
	s_load_dwordx4 s[28:31], s[0:1], 0x0
	s_waitcnt lgkmcnt(0)
	s_add_i32 s5, s30, -1
	s_ashr_i32 s6, s5, 31
	s_lshr_b32 s6, s6, 27
	s_add_i32 s5, s5, s6
	s_ashr_i32 s31, s5, 5
	s_cmp_gt_i32 s3, s31
	s_cbranch_scc1 .LBB117_64
; %bb.2:
	s_load_dwordx16 s[36:51], s[0:1], 0x28
	s_load_dwordx8 s[16:23], s[0:1], 0x68
	v_bfe_u32 v62, v0, 10, 10
	v_and_b32_e32 v4, 0x3ff, v0
	s_load_dword s52, s[0:1], 0x94
	s_waitcnt lgkmcnt(0)
	s_mul_i32 s5, s43, s4
	s_mul_hi_u32 s7, s42, s4
	s_mul_i32 s6, s42, s4
	s_add_i32 s7, s7, s5
	s_lshl_b64 s[8:9], s[6:7], 4
	s_add_u32 s5, s36, s8
	s_addc_u32 s7, s37, s9
	s_lshl_b64 s[10:11], s[38:39], 4
	s_add_u32 s6, s5, s10
	s_mul_i32 s5, s23, s4
	s_mul_hi_u32 s12, s22, s4
	s_addc_u32 s7, s7, s11
	s_add_i32 s13, s12, s5
	s_mul_i32 s12, s22, s4
	s_lshl_b64 s[12:13], s[12:13], 4
	s_add_u32 s5, s16, s12
	s_addc_u32 s14, s17, s13
	s_lshl_b64 s[12:13], s[18:19], 4
	s_add_u32 s22, s5, s12
	s_addc_u32 s23, s14, s13
	s_lshl_b32 s2, s2, 5
	v_add_u32_e32 v16, s2, v62
	v_add_u32_e32 v18, s2, v4
	s_sub_i32 s2, s29, s2
	v_mad_u64_u32 v[0:1], s[12:13], s40, v18, 0
	s_cmp_gt_i32 s2, 0
	s_cselect_b64 s[12:13], -1, 0
	s_cmpk_eq_i32 s28, 0x84
	s_cselect_b64 s[34:35], -1, 0
	s_ashr_i32 s39, s29, 31
	s_ashr_i32 s33, s30, 31
	s_add_u32 s42, s29, -16
	s_mul_i32 s5, s51, s4
	s_mul_hi_u32 s14, s50, s4
	v_ashrrev_i32_e32 v19, 31, v18
	s_addc_u32 s43, s39, -1
	s_add_i32 s5, s14, s5
	s_mul_i32 s4, s50, s4
	v_mul_lo_u32 v2, s40, v19
	v_mul_lo_u32 v3, s41, v18
	s_lshl_b64 s[4:5], s[4:5], 4
	s_lshl_b64 s[14:15], s[46:47], 4
	v_ashrrev_i32_e32 v17, 31, v16
	v_add3_u32 v1, v1, v2, v3
	s_add_u32 s4, s4, s14
	v_lshl_add_u64 v[0:1], v[0:1], 4, s[6:7]
	v_lshlrev_b64 v[2:3], 4, v[16:17]
	s_addc_u32 s5, s5, s15
	v_lshl_add_u64 v[20:21], v[0:1], 0, v[2:3]
	v_lshlrev_b32_e32 v0, 9, v62
	v_lshlrev_b32_e32 v63, 4, v4
	s_add_u32 s4, s44, s4
	v_add_u32_e32 v64, v63, v0
	v_add_u32_e32 v65, 0x4000, v0
	;; [unrolled: 1-line block ×3, first 2 shown]
	v_lshlrev_b64 v[0:1], 4, v[18:19]
	s_addc_u32 s5, s45, s5
	s_mov_b32 s38, s29
	v_cmp_le_i32_e64 s[0:1], s29, v18
	v_cmp_gt_i32_e64 s[18:19], s29, v18
	v_cmp_gt_i32_e64 s[6:7], s29, v24
	v_lshl_add_u64 v[4:5], s[4:5], 0, v[0:1]
	s_mov_b64 s[4:5], 0x100
	s_lshl_b64 s[28:29], s[48:49], 4
	s_lshl_b32 s53, s52, 5
	v_lshl_add_u64 v[32:33], v[4:5], 0, s[4:5]
	v_lshl_add_u64 v[0:1], v[0:1], 0, s[4:5]
	s_add_u32 s4, s10, s8
	s_addc_u32 s5, s11, s9
	v_mov_b64_e32 v[4:5], s[4:5]
	v_mul_lo_u32 v6, s40, v1
	v_mul_lo_u32 v7, s41, v0
	v_mad_u64_u32 v[0:1], s[4:5], s40, v0, v[4:5]
	v_add3_u32 v1, v7, v1, v6
	v_lshl_add_u64 v[0:1], v[0:1], 0, v[2:3]
	v_sub_co_u32_e32 v26, vcc, v18, v16
	v_lshl_add_u64 v[36:37], s[36:37], 0, v[0:1]
	v_cndmask_b32_e64 v0, 0, 1, s[12:13]
	v_add_u32_e32 v66, v65, v63
	v_lshl_add_u64 v[22:23], v[18:19], 0, 16
	v_subb_co_u32_e32 v27, vcc, v19, v17, vcc
	v_cmp_ne_u32_e64 s[8:9], 1, v0
	v_mov_b32_e32 v0, 0
	v_cmp_le_i64_e64 s[16:17], s[38:39], v[22:23]
	v_add_u32_e32 v67, 0x100, v66
	v_add_u32_e32 v68, 0x2000, v66
	;; [unrolled: 1-line block ×3, first 2 shown]
	v_ashrrev_i32_e32 v25, 31, v24
	v_lshl_add_u64 v[28:29], v[26:27], 0, 16
	v_lshl_add_u64 v[30:31], v[26:27], 0, -16
	v_lshl_add_u32 v34, s3, 5, v62
	v_mov_b64_e32 v[38:39], 0x100
	v_mov_b32_e32 v1, v0
	v_mov_b32_e32 v2, v0
	;; [unrolled: 1-line block ×7, first 2 shown]
	s_branch .LBB117_4
.LBB117_3:                              ;   in Loop: Header=BB117_4 Depth=1
	s_or_b64 exec, exec, s[4:5]
	s_add_i32 s3, s52, s3
	s_cmp_le_i32 s3, s31
	v_add_u32_e32 v34, s53, v34
	s_cbranch_scc0 .LBB117_64
.LBB117_4:                              ; =>This Loop Header: Depth=1
                                        ;     Child Loop BB117_7 Depth 2
	v_lshl_add_u32 v40, s3, 5, v62
	s_and_b64 vcc, exec, s[8:9]
	v_ashrrev_i32_e32 v41, 31, v40
	s_cbranch_vccnz .LBB117_55
; %bb.5:                                ;   in Loop: Header=BB117_4 Depth=1
	v_ashrrev_i32_e32 v35, 31, v34
	v_mad_u64_u32 v[42:43], s[4:5], s28, v34, v[32:33]
	v_mul_lo_u32 v8, s29, v34
	v_mul_lo_u32 v9, s28, v35
	v_add3_u32 v43, v8, v43, v9
	v_lshl_add_u64 v[8:9], v[34:35], 4, v[38:39]
	v_mul_lo_u32 v9, s48, v9
	v_mul_lo_u32 v10, s49, v8
	v_mad_u64_u32 v[44:45], s[4:5], s48, v8, v[32:33]
	v_add3_u32 v45, v10, v45, v9
	v_mov_b32_e32 v9, s33
	v_sub_co_u32_e32 v8, vcc, s30, v40
	s_mov_b64 s[36:37], 0
	s_nop 0
	v_subb_co_u32_e32 v9, vcc, v9, v41, vcc
	v_cmp_lt_i64_e32 vcc, 0, v[8:9]
	v_cmp_lt_i64_e64 s[10:11], 16, v[8:9]
	v_mov_b64_e32 v[46:47], 0
	s_mov_b64 s[40:41], 0
	v_mov_b64_e32 v[48:49], 0
	v_mov_b64_e32 v[52:53], 0
	;; [unrolled: 1-line block ×7, first 2 shown]
	s_branch .LBB117_7
.LBB117_6:                              ;   in Loop: Header=BB117_7 Depth=2
	s_or_b64 exec, exec, s[4:5]
	s_waitcnt lgkmcnt(0)
	s_barrier
	ds_read_b128 v[70:73], v63
	ds_read_b128 v[74:77], v65
	ds_read_b128 v[78:81], v65 offset:16
	ds_read_b128 v[12:15], v65 offset:32
	;; [unrolled: 1-line block ×4, first 2 shown]
	s_waitcnt lgkmcnt(4)
	v_mul_f64 v[86:87], v[76:77], v[72:73]
	v_fma_f64 v[86:87], v[74:75], v[70:71], -v[86:87]
	v_mul_f64 v[88:89], v[74:75], v[72:73]
	v_fmac_f64_e32 v[88:89], v[76:77], v[70:71]
	v_add_f64 v[86:87], v[58:59], v[86:87]
	s_waitcnt lgkmcnt(0)
	v_mul_f64 v[58:59], v[76:77], v[84:85]
	v_add_f64 v[88:89], v[88:89], v[60:61]
	v_fma_f64 v[90:91], v[74:75], v[82:83], -v[58:59]
	ds_read_b128 v[58:61], v65 offset:8192
	v_mul_f64 v[74:75], v[74:75], v[84:85]
	v_fmac_f64_e32 v[74:75], v[76:77], v[82:83]
	v_add_f64 v[76:77], v[54:55], v[90:91]
	v_add_f64 v[74:75], v[74:75], v[56:57]
	ds_read_b128 v[54:57], v65 offset:8208
	s_waitcnt lgkmcnt(1)
	v_mul_f64 v[90:91], v[60:61], v[72:73]
	v_fma_f64 v[90:91], v[58:59], v[70:71], -v[90:91]
	v_mul_f64 v[72:73], v[58:59], v[72:73]
	v_fmac_f64_e32 v[72:73], v[60:61], v[70:71]
	v_add_f64 v[70:71], v[50:51], v[90:91]
	v_mul_f64 v[50:51], v[60:61], v[84:85]
	v_add_f64 v[72:73], v[72:73], v[52:53]
	v_fma_f64 v[90:91], v[58:59], v[82:83], -v[50:51]
	v_mul_f64 v[58:59], v[58:59], v[84:85]
	ds_read_b128 v[50:53], v63 offset:512
	v_fmac_f64_e32 v[58:59], v[60:61], v[82:83]
	v_add_f64 v[60:61], v[48:49], v[90:91]
	v_add_f64 v[58:59], v[58:59], v[46:47]
	ds_read_b128 v[46:49], v63 offset:768
	s_waitcnt lgkmcnt(1)
	v_mul_f64 v[82:83], v[80:81], v[52:53]
	v_fma_f64 v[82:83], v[78:79], v[50:51], -v[82:83]
	v_add_f64 v[82:83], v[86:87], v[82:83]
	v_mul_f64 v[84:85], v[78:79], v[52:53]
	s_waitcnt lgkmcnt(0)
	v_mul_f64 v[86:87], v[80:81], v[48:49]
	v_fma_f64 v[86:87], v[78:79], v[46:47], -v[86:87]
	v_mul_f64 v[78:79], v[78:79], v[48:49]
	v_fmac_f64_e32 v[78:79], v[80:81], v[46:47]
	v_add_f64 v[74:75], v[78:79], v[74:75]
	v_mul_f64 v[78:79], v[56:57], v[52:53]
	v_mul_f64 v[52:53], v[54:55], v[52:53]
	v_fmac_f64_e32 v[84:85], v[80:81], v[50:51]
	v_fma_f64 v[78:79], v[54:55], v[50:51], -v[78:79]
	v_fmac_f64_e32 v[52:53], v[56:57], v[50:51]
	v_mul_f64 v[50:51], v[56:57], v[48:49]
	v_add_f64 v[72:73], v[52:53], v[72:73]
	v_fma_f64 v[52:53], v[54:55], v[46:47], -v[50:51]
	v_mul_f64 v[54:55], v[54:55], v[48:49]
	ds_read_b128 v[48:51], v63 offset:1024
	v_fmac_f64_e32 v[54:55], v[56:57], v[46:47]
	v_add_f64 v[70:71], v[70:71], v[78:79]
	v_add_f64 v[60:61], v[60:61], v[52:53]
	;; [unrolled: 1-line block ×3, first 2 shown]
	ds_read_b128 v[52:55], v63 offset:1280
	s_waitcnt lgkmcnt(1)
	v_mul_f64 v[46:47], v[14:15], v[50:51]
	v_mul_f64 v[56:57], v[12:13], v[50:51]
	v_add_f64 v[84:85], v[84:85], v[88:89]
	v_fma_f64 v[46:47], v[12:13], v[48:49], -v[46:47]
	v_fmac_f64_e32 v[56:57], v[14:15], v[48:49]
	v_add_f64 v[80:81], v[82:83], v[46:47]
	v_add_f64 v[82:83], v[56:57], v[84:85]
	ds_read_b128 v[56:59], v65 offset:8224
	s_waitcnt lgkmcnt(1)
	v_mul_f64 v[46:47], v[14:15], v[54:55]
	v_fma_f64 v[46:47], v[12:13], v[52:53], -v[46:47]
	v_mul_f64 v[12:13], v[12:13], v[54:55]
	v_add_f64 v[76:77], v[76:77], v[86:87]
	v_fmac_f64_e32 v[12:13], v[14:15], v[52:53]
	v_add_f64 v[76:77], v[76:77], v[46:47]
	v_add_f64 v[74:75], v[12:13], v[74:75]
	ds_read_b128 v[12:15], v65 offset:8240
	s_waitcnt lgkmcnt(1)
	v_mul_f64 v[46:47], v[58:59], v[50:51]
	v_fma_f64 v[46:47], v[56:57], v[48:49], -v[46:47]
	v_mul_f64 v[50:51], v[56:57], v[50:51]
	v_fmac_f64_e32 v[50:51], v[58:59], v[48:49]
	v_add_f64 v[70:71], v[70:71], v[46:47]
	v_mul_f64 v[46:47], v[58:59], v[54:55]
	v_add_f64 v[72:73], v[50:51], v[72:73]
	v_fma_f64 v[50:51], v[56:57], v[52:53], -v[46:47]
	v_mul_f64 v[54:55], v[56:57], v[54:55]
	ds_read_b128 v[46:49], v63 offset:1536
	v_fmac_f64_e32 v[54:55], v[58:59], v[52:53]
	v_add_f64 v[56:57], v[60:61], v[50:51]
	ds_read_b128 v[50:53], v63 offset:1792
	v_add_f64 v[54:55], v[54:55], v[78:79]
	s_waitcnt lgkmcnt(1)
	v_mul_f64 v[58:59], v[10:11], v[48:49]
	v_fma_f64 v[58:59], v[8:9], v[46:47], -v[58:59]
	v_mul_f64 v[60:61], v[8:9], v[48:49]
	s_waitcnt lgkmcnt(0)
	v_mul_f64 v[78:79], v[10:11], v[52:53]
	v_fma_f64 v[78:79], v[8:9], v[50:51], -v[78:79]
	v_mul_f64 v[8:9], v[8:9], v[52:53]
	v_fmac_f64_e32 v[8:9], v[10:11], v[50:51]
	v_add_f64 v[74:75], v[8:9], v[74:75]
	v_mul_f64 v[8:9], v[14:15], v[48:49]
	v_fmac_f64_e32 v[60:61], v[10:11], v[46:47]
	v_fma_f64 v[8:9], v[12:13], v[46:47], -v[8:9]
	v_mul_f64 v[10:11], v[12:13], v[48:49]
	v_fmac_f64_e32 v[10:11], v[14:15], v[46:47]
	v_add_f64 v[70:71], v[70:71], v[8:9]
	v_mul_f64 v[8:9], v[14:15], v[52:53]
	v_mul_f64 v[48:49], v[12:13], v[52:53]
	v_add_f64 v[72:73], v[10:11], v[72:73]
	v_fma_f64 v[46:47], v[12:13], v[50:51], -v[8:9]
	v_fmac_f64_e32 v[48:49], v[14:15], v[50:51]
	ds_read_b128 v[8:11], v65 offset:64
	ds_read_b128 v[12:15], v63 offset:2048
	v_add_f64 v[58:59], v[80:81], v[58:59]
	v_add_f64 v[76:77], v[76:77], v[78:79]
	;; [unrolled: 1-line block ×4, first 2 shown]
	ds_read_b128 v[46:49], v63 offset:2304
	ds_read_b128 v[50:53], v65 offset:80
	s_waitcnt lgkmcnt(2)
	v_mul_f64 v[54:55], v[10:11], v[14:15]
	v_fma_f64 v[54:55], v[8:9], v[12:13], -v[54:55]
	v_mul_f64 v[56:57], v[8:9], v[14:15]
	v_add_f64 v[60:61], v[60:61], v[82:83]
	v_fmac_f64_e32 v[56:57], v[10:11], v[12:13]
	v_add_f64 v[58:59], v[58:59], v[54:55]
	s_waitcnt lgkmcnt(1)
	v_mul_f64 v[54:55], v[10:11], v[48:49]
	v_add_f64 v[60:61], v[56:57], v[60:61]
	v_fma_f64 v[82:83], v[8:9], v[46:47], -v[54:55]
	ds_read_b128 v[54:57], v65 offset:8256
	v_mul_f64 v[8:9], v[8:9], v[48:49]
	v_fmac_f64_e32 v[8:9], v[10:11], v[46:47]
	v_add_f64 v[76:77], v[76:77], v[82:83]
	v_add_f64 v[74:75], v[8:9], v[74:75]
	ds_read_b128 v[8:11], v65 offset:8272
	s_waitcnt lgkmcnt(1)
	v_mul_f64 v[82:83], v[56:57], v[14:15]
	v_mul_f64 v[14:15], v[54:55], v[14:15]
	v_fma_f64 v[82:83], v[54:55], v[12:13], -v[82:83]
	v_fmac_f64_e32 v[14:15], v[56:57], v[12:13]
	v_mul_f64 v[12:13], v[56:57], v[48:49]
	v_add_f64 v[70:71], v[70:71], v[82:83]
	v_add_f64 v[72:73], v[14:15], v[72:73]
	v_fma_f64 v[82:83], v[54:55], v[46:47], -v[12:13]
	v_mul_f64 v[48:49], v[54:55], v[48:49]
	ds_read_b128 v[12:15], v63 offset:2560
	v_fmac_f64_e32 v[48:49], v[56:57], v[46:47]
	v_add_f64 v[56:57], v[48:49], v[80:81]
	ds_read_b128 v[46:49], v63 offset:2816
	v_add_f64 v[54:55], v[78:79], v[82:83]
	s_waitcnt lgkmcnt(1)
	v_mul_f64 v[78:79], v[52:53], v[14:15]
	v_fma_f64 v[78:79], v[50:51], v[12:13], -v[78:79]
	v_add_f64 v[58:59], v[58:59], v[78:79]
	s_waitcnt lgkmcnt(0)
	v_mul_f64 v[78:79], v[52:53], v[48:49]
	v_mul_f64 v[80:81], v[50:51], v[14:15]
	v_fma_f64 v[78:79], v[50:51], v[46:47], -v[78:79]
	v_mul_f64 v[50:51], v[50:51], v[48:49]
	v_fmac_f64_e32 v[50:51], v[52:53], v[46:47]
	v_add_f64 v[74:75], v[50:51], v[74:75]
	v_mul_f64 v[50:51], v[10:11], v[14:15]
	v_mul_f64 v[14:15], v[8:9], v[14:15]
	v_fmac_f64_e32 v[80:81], v[52:53], v[12:13]
	v_fma_f64 v[50:51], v[8:9], v[12:13], -v[50:51]
	v_fmac_f64_e32 v[14:15], v[10:11], v[12:13]
	v_mul_f64 v[12:13], v[10:11], v[48:49]
	v_mul_f64 v[48:49], v[8:9], v[48:49]
	v_add_f64 v[70:71], v[70:71], v[50:51]
	v_add_f64 v[72:73], v[14:15], v[72:73]
	v_fma_f64 v[50:51], v[8:9], v[46:47], -v[12:13]
	v_fmac_f64_e32 v[48:49], v[10:11], v[46:47]
	ds_read_b128 v[8:11], v65 offset:96
	ds_read_b128 v[12:15], v63 offset:3072
	v_add_f64 v[60:61], v[80:81], v[60:61]
	v_add_f64 v[76:77], v[76:77], v[78:79]
	v_add_f64 v[78:79], v[54:55], v[50:51]
	v_add_f64 v[80:81], v[48:49], v[56:57]
	ds_read_b128 v[46:49], v63 offset:3328
	ds_read_b128 v[50:53], v65 offset:112
	s_waitcnt lgkmcnt(2)
	v_mul_f64 v[54:55], v[10:11], v[14:15]
	v_fma_f64 v[54:55], v[8:9], v[12:13], -v[54:55]
	v_mul_f64 v[56:57], v[8:9], v[14:15]
	v_fmac_f64_e32 v[56:57], v[10:11], v[12:13]
	v_add_f64 v[58:59], v[58:59], v[54:55]
	s_waitcnt lgkmcnt(1)
	v_mul_f64 v[54:55], v[10:11], v[48:49]
	v_add_f64 v[60:61], v[56:57], v[60:61]
	v_fma_f64 v[82:83], v[8:9], v[46:47], -v[54:55]
	ds_read_b128 v[54:57], v65 offset:8288
	v_mul_f64 v[8:9], v[8:9], v[48:49]
	v_fmac_f64_e32 v[8:9], v[10:11], v[46:47]
	v_add_f64 v[76:77], v[76:77], v[82:83]
	v_add_f64 v[74:75], v[8:9], v[74:75]
	ds_read_b128 v[8:11], v65 offset:8304
	s_waitcnt lgkmcnt(1)
	v_mul_f64 v[82:83], v[56:57], v[14:15]
	v_mul_f64 v[14:15], v[54:55], v[14:15]
	v_fma_f64 v[82:83], v[54:55], v[12:13], -v[82:83]
	v_fmac_f64_e32 v[14:15], v[56:57], v[12:13]
	v_mul_f64 v[12:13], v[56:57], v[48:49]
	v_add_f64 v[70:71], v[70:71], v[82:83]
	v_add_f64 v[72:73], v[14:15], v[72:73]
	v_fma_f64 v[82:83], v[54:55], v[46:47], -v[12:13]
	v_mul_f64 v[48:49], v[54:55], v[48:49]
	ds_read_b128 v[12:15], v63 offset:3584
	v_fmac_f64_e32 v[48:49], v[56:57], v[46:47]
	v_add_f64 v[56:57], v[48:49], v[80:81]
	ds_read_b128 v[46:49], v63 offset:3840
	v_add_f64 v[54:55], v[78:79], v[82:83]
	s_waitcnt lgkmcnt(1)
	v_mul_f64 v[78:79], v[52:53], v[14:15]
	v_fma_f64 v[78:79], v[50:51], v[12:13], -v[78:79]
	v_add_f64 v[58:59], v[58:59], v[78:79]
	s_waitcnt lgkmcnt(0)
	v_mul_f64 v[78:79], v[52:53], v[48:49]
	v_mul_f64 v[80:81], v[50:51], v[14:15]
	v_fma_f64 v[78:79], v[50:51], v[46:47], -v[78:79]
	v_mul_f64 v[50:51], v[50:51], v[48:49]
	v_fmac_f64_e32 v[50:51], v[52:53], v[46:47]
	v_add_f64 v[74:75], v[50:51], v[74:75]
	v_mul_f64 v[50:51], v[10:11], v[14:15]
	v_mul_f64 v[14:15], v[8:9], v[14:15]
	v_fmac_f64_e32 v[80:81], v[52:53], v[12:13]
	v_fma_f64 v[50:51], v[8:9], v[12:13], -v[50:51]
	v_fmac_f64_e32 v[14:15], v[10:11], v[12:13]
	v_mul_f64 v[12:13], v[10:11], v[48:49]
	v_mul_f64 v[48:49], v[8:9], v[48:49]
	v_add_f64 v[70:71], v[70:71], v[50:51]
	v_add_f64 v[72:73], v[14:15], v[72:73]
	v_fma_f64 v[50:51], v[8:9], v[46:47], -v[12:13]
	v_fmac_f64_e32 v[48:49], v[10:11], v[46:47]
	ds_read_b128 v[8:11], v65 offset:128
	ds_read_b128 v[12:15], v63 offset:4096
	v_add_f64 v[60:61], v[80:81], v[60:61]
	v_add_f64 v[76:77], v[76:77], v[78:79]
	v_add_f64 v[78:79], v[54:55], v[50:51]
	v_add_f64 v[80:81], v[48:49], v[56:57]
	ds_read_b128 v[46:49], v63 offset:4352
	ds_read_b128 v[50:53], v65 offset:144
	s_waitcnt lgkmcnt(2)
	v_mul_f64 v[54:55], v[10:11], v[14:15]
	v_fma_f64 v[54:55], v[8:9], v[12:13], -v[54:55]
	v_mul_f64 v[56:57], v[8:9], v[14:15]
	;; [unrolled: 61-line block ×13, first 2 shown]
	v_fmac_f64_e32 v[56:57], v[10:11], v[12:13]
	v_add_f64 v[58:59], v[58:59], v[54:55]
	s_waitcnt lgkmcnt(1)
	v_mul_f64 v[54:55], v[10:11], v[48:49]
	v_add_f64 v[60:61], v[56:57], v[60:61]
	v_fma_f64 v[82:83], v[8:9], v[46:47], -v[54:55]
	ds_read_b128 v[54:57], v65 offset:8672
	v_mul_f64 v[8:9], v[8:9], v[48:49]
	v_fmac_f64_e32 v[8:9], v[10:11], v[46:47]
	v_add_f64 v[76:77], v[76:77], v[82:83]
	v_add_f64 v[74:75], v[8:9], v[74:75]
	ds_read_b128 v[8:11], v65 offset:8688
	s_waitcnt lgkmcnt(1)
	v_mul_f64 v[82:83], v[56:57], v[14:15]
	v_mul_f64 v[14:15], v[54:55], v[14:15]
	v_fma_f64 v[82:83], v[54:55], v[12:13], -v[82:83]
	v_fmac_f64_e32 v[14:15], v[56:57], v[12:13]
	v_mul_f64 v[12:13], v[56:57], v[48:49]
	v_add_f64 v[70:71], v[70:71], v[82:83]
	v_add_f64 v[72:73], v[14:15], v[72:73]
	v_fma_f64 v[82:83], v[54:55], v[46:47], -v[12:13]
	v_mul_f64 v[48:49], v[54:55], v[48:49]
	ds_read_b128 v[12:15], v63 offset:15872
	v_fmac_f64_e32 v[48:49], v[56:57], v[46:47]
	v_add_f64 v[80:81], v[48:49], v[80:81]
	ds_read_b128 v[46:49], v63 offset:16128
	s_add_u32 s40, s40, 32
	s_waitcnt lgkmcnt(1)
	v_mul_f64 v[54:55], v[52:53], v[14:15]
	v_fma_f64 v[54:55], v[50:51], v[12:13], -v[54:55]
	v_add_f64 v[58:59], v[58:59], v[54:55]
	s_waitcnt lgkmcnt(0)
	v_mul_f64 v[54:55], v[52:53], v[48:49]
	v_mul_f64 v[56:57], v[50:51], v[14:15]
	v_fma_f64 v[54:55], v[50:51], v[46:47], -v[54:55]
	v_mul_f64 v[50:51], v[50:51], v[48:49]
	v_fmac_f64_e32 v[56:57], v[52:53], v[12:13]
	v_fmac_f64_e32 v[50:51], v[52:53], v[46:47]
	v_add_f64 v[60:61], v[56:57], v[60:61]
	v_add_f64 v[56:57], v[50:51], v[74:75]
	v_mul_f64 v[50:51], v[10:11], v[14:15]
	v_mul_f64 v[14:15], v[8:9], v[14:15]
	v_fma_f64 v[50:51], v[8:9], v[12:13], -v[50:51]
	v_fmac_f64_e32 v[14:15], v[10:11], v[12:13]
	v_mul_f64 v[12:13], v[10:11], v[48:49]
	s_addc_u32 s41, s41, 0
	v_fma_f64 v[12:13], v[8:9], v[46:47], -v[12:13]
	v_mul_f64 v[8:9], v[8:9], v[48:49]
	s_add_u32 s36, s36, 0x200
	v_add_f64 v[78:79], v[78:79], v[82:83]
	v_fmac_f64_e32 v[8:9], v[10:11], v[46:47]
	s_addc_u32 s37, s37, 0
	v_add_f64 v[54:55], v[76:77], v[54:55]
	v_add_f64 v[50:51], v[70:71], v[50:51]
	;; [unrolled: 1-line block ×5, first 2 shown]
	s_cmp_ge_i32 s40, s2
	s_barrier
	s_cbranch_scc1 .LBB117_56
.LBB117_7:                              ;   Parent Loop BB117_4 Depth=1
                                        ; =>  This Inner Loop Header: Depth=2
	v_lshl_add_u64 v[12:13], v[16:17], 0, s[40:41]
	v_cmp_le_i64_e64 s[14:15], s[38:39], v[12:13]
	v_cmp_eq_u64_e64 s[4:5], s[40:41], v[26:27]
	v_cmp_lt_i64_e64 s[12:13], v[12:13], v[18:19]
	s_and_b64 s[46:47], s[34:35], s[4:5]
	s_or_b64 s[4:5], s[14:15], s[12:13]
	s_or_b64 s[4:5], s[4:5], s[46:47]
	v_lshl_add_u64 v[8:9], v[20:21], 0, s[36:37]
	s_nor_b64 s[4:5], s[0:1], s[4:5]
	s_and_saveexec_b64 s[44:45], s[4:5]
	s_xor_b64 s[4:5], exec, s[44:45]
	s_cbranch_execz .LBB117_9
; %bb.8:                                ;   in Loop: Header=BB117_7 Depth=2
	global_load_dwordx4 v[70:73], v[8:9], off
	s_waitcnt vmcnt(0)
	v_xor_b32_e32 v73, 0x80000000, v73
	ds_write_b128 v64, v[70:73]
.LBB117_9:                              ;   in Loop: Header=BB117_7 Depth=2
	s_or_saveexec_b64 s[4:5], s[4:5]
	s_xor_b64 s[44:45], s[46:47], -1
	s_xor_b64 exec, exec, s[4:5]
	s_cbranch_execz .LBB117_15
; %bb.10:                               ;   in Loop: Header=BB117_7 Depth=2
	s_and_saveexec_b64 s[50:51], s[44:45]
	s_xor_b64 s[50:51], exec, s[50:51]
; %bb.11:                               ;   in Loop: Header=BB117_7 Depth=2
	ds_write_b128 v64, v[0:3]
; %bb.12:                               ;   in Loop: Header=BB117_7 Depth=2
	s_andn2_saveexec_b64 s[50:51], s[50:51]
; %bb.13:                               ;   in Loop: Header=BB117_7 Depth=2
	ds_write_b128 v64, v[4:7]
; %bb.14:                               ;   in Loop: Header=BB117_7 Depth=2
	s_or_b64 exec, exec, s[50:51]
.LBB117_15:                             ;   in Loop: Header=BB117_7 Depth=2
	s_or_b64 exec, exec, s[4:5]
	v_cmp_eq_u64_e64 s[4:5], s[40:41], v[28:29]
	s_and_b64 s[50:51], s[34:35], s[4:5]
	v_cmp_gt_i64_e64 s[4:5], v[22:23], v[12:13]
	s_or_b64 s[4:5], s[14:15], s[4:5]
	s_or_b64 s[4:5], s[4:5], s[50:51]
	s_nor_b64 s[4:5], s[16:17], s[4:5]
	v_lshl_add_u64 v[10:11], v[36:37], 0, s[36:37]
	s_and_saveexec_b64 s[14:15], s[4:5]
	s_xor_b64 s[4:5], exec, s[14:15]
	s_cbranch_execz .LBB117_17
; %bb.16:                               ;   in Loop: Header=BB117_7 Depth=2
	global_load_dwordx4 v[70:73], v[10:11], off
	s_waitcnt vmcnt(0)
	v_xor_b32_e32 v73, 0x80000000, v73
	ds_write_b128 v64, v[70:73] offset:256
.LBB117_17:                             ;   in Loop: Header=BB117_7 Depth=2
	s_andn2_saveexec_b64 s[4:5], s[4:5]
	s_cbranch_execz .LBB117_23
; %bb.18:                               ;   in Loop: Header=BB117_7 Depth=2
	s_xor_b64 s[14:15], s[50:51], -1
	s_and_saveexec_b64 s[50:51], s[14:15]
	s_xor_b64 s[14:15], exec, s[50:51]
; %bb.19:                               ;   in Loop: Header=BB117_7 Depth=2
	ds_write_b128 v64, v[0:3] offset:256
; %bb.20:                               ;   in Loop: Header=BB117_7 Depth=2
	s_andn2_saveexec_b64 s[14:15], s[14:15]
; %bb.21:                               ;   in Loop: Header=BB117_7 Depth=2
	ds_write_b128 v64, v[4:7] offset:256
; %bb.22:                               ;   in Loop: Header=BB117_7 Depth=2
	s_or_b64 exec, exec, s[14:15]
.LBB117_23:                             ;   in Loop: Header=BB117_7 Depth=2
	s_or_b64 exec, exec, s[4:5]
	v_lshl_add_u64 v[12:13], v[12:13], 0, 16
	v_cmp_eq_u64_e64 s[4:5], s[40:41], v[30:31]
	v_cmp_le_i64_e64 s[14:15], s[38:39], v[12:13]
	s_and_b64 s[50:51], s[34:35], s[4:5]
	v_cmp_lt_i64_e64 s[4:5], v[12:13], v[18:19]
	s_or_b64 s[4:5], s[14:15], s[4:5]
	s_or_b64 s[4:5], s[4:5], s[50:51]
	s_nor_b64 s[4:5], s[0:1], s[4:5]
	s_and_saveexec_b64 s[54:55], s[4:5]
	s_xor_b64 s[4:5], exec, s[54:55]
	s_cbranch_execz .LBB117_25
; %bb.24:                               ;   in Loop: Header=BB117_7 Depth=2
	global_load_dwordx4 v[12:15], v[8:9], off offset:256
	s_waitcnt vmcnt(0)
	v_xor_b32_e32 v15, 0x80000000, v15
	ds_write_b128 v64, v[12:15] offset:8192
.LBB117_25:                             ;   in Loop: Header=BB117_7 Depth=2
	s_andn2_saveexec_b64 s[4:5], s[4:5]
	s_cbranch_execz .LBB117_31
; %bb.26:                               ;   in Loop: Header=BB117_7 Depth=2
	s_xor_b64 s[50:51], s[50:51], -1
	s_and_saveexec_b64 s[54:55], s[50:51]
	s_xor_b64 s[50:51], exec, s[54:55]
; %bb.27:                               ;   in Loop: Header=BB117_7 Depth=2
	ds_write_b128 v64, v[0:3] offset:8192
; %bb.28:                               ;   in Loop: Header=BB117_7 Depth=2
	s_andn2_saveexec_b64 s[50:51], s[50:51]
; %bb.29:                               ;   in Loop: Header=BB117_7 Depth=2
	ds_write_b128 v64, v[4:7] offset:8192
; %bb.30:                               ;   in Loop: Header=BB117_7 Depth=2
	s_or_b64 exec, exec, s[50:51]
.LBB117_31:                             ;   in Loop: Header=BB117_7 Depth=2
	s_or_b64 exec, exec, s[4:5]
	s_or_b64 s[4:5], s[14:15], s[12:13]
	s_or_b64 s[4:5], s[4:5], s[46:47]
	s_nor_b64 s[4:5], s[16:17], s[4:5]
	s_and_saveexec_b64 s[12:13], s[4:5]
	s_xor_b64 s[4:5], exec, s[12:13]
	s_cbranch_execz .LBB117_33
; %bb.32:                               ;   in Loop: Header=BB117_7 Depth=2
	global_load_dwordx4 v[8:11], v[10:11], off offset:256
	s_waitcnt vmcnt(0)
	v_xor_b32_e32 v11, 0x80000000, v11
	ds_write_b128 v64, v[8:11] offset:8448
.LBB117_33:                             ;   in Loop: Header=BB117_7 Depth=2
	s_andn2_saveexec_b64 s[4:5], s[4:5]
	s_cbranch_execz .LBB117_39
; %bb.34:                               ;   in Loop: Header=BB117_7 Depth=2
	s_and_saveexec_b64 s[12:13], s[44:45]
	s_xor_b64 s[12:13], exec, s[12:13]
; %bb.35:                               ;   in Loop: Header=BB117_7 Depth=2
	ds_write_b128 v64, v[0:3] offset:8448
; %bb.36:                               ;   in Loop: Header=BB117_7 Depth=2
	s_andn2_saveexec_b64 s[12:13], s[12:13]
; %bb.37:                               ;   in Loop: Header=BB117_7 Depth=2
	ds_write_b128 v64, v[4:7] offset:8448
; %bb.38:                               ;   in Loop: Header=BB117_7 Depth=2
	s_or_b64 exec, exec, s[12:13]
.LBB117_39:                             ;   in Loop: Header=BB117_7 Depth=2
	s_or_b64 exec, exec, s[4:5]
	v_lshl_add_u64 v[10:11], v[18:19], 0, s[40:41]
	v_cmp_gt_i64_e64 s[12:13], s[38:39], v[10:11]
	s_and_b64 s[4:5], vcc, s[12:13]
	s_xor_b64 s[4:5], s[4:5], -1
	s_and_saveexec_b64 s[14:15], s[4:5]
	s_xor_b64 s[4:5], exec, s[14:15]
; %bb.40:                               ;   in Loop: Header=BB117_7 Depth=2
	ds_write_b128 v66, v[0:3]
; %bb.41:                               ;   in Loop: Header=BB117_7 Depth=2
	s_or_saveexec_b64 s[4:5], s[4:5]
	v_lshl_add_u64 v[8:9], v[42:43], 0, s[36:37]
	s_xor_b64 exec, exec, s[4:5]
	s_cbranch_execz .LBB117_43
; %bb.42:                               ;   in Loop: Header=BB117_7 Depth=2
	global_load_dwordx4 v[12:15], v[8:9], off offset:-256
	s_waitcnt vmcnt(0)
	ds_write2_b64 v66, v[12:13], v[14:15] offset1:1
.LBB117_43:                             ;   in Loop: Header=BB117_7 Depth=2
	s_or_b64 exec, exec, s[4:5]
	v_cmp_gt_i64_e64 s[14:15], s[42:43], v[10:11]
	s_and_b64 s[4:5], vcc, s[14:15]
	s_xor_b64 s[4:5], s[4:5], -1
	s_and_saveexec_b64 s[44:45], s[4:5]
	s_xor_b64 s[4:5], exec, s[44:45]
; %bb.44:                               ;   in Loop: Header=BB117_7 Depth=2
	ds_write_b128 v66, v[0:3] offset:256
                                        ; implicit-def: $vgpr8_vgpr9
; %bb.45:                               ;   in Loop: Header=BB117_7 Depth=2
	s_andn2_saveexec_b64 s[4:5], s[4:5]
	s_cbranch_execz .LBB117_47
; %bb.46:                               ;   in Loop: Header=BB117_7 Depth=2
	global_load_dwordx4 v[8:11], v[8:9], off
	s_waitcnt vmcnt(0)
	ds_write2_b64 v67, v[8:9], v[10:11] offset1:1
.LBB117_47:                             ;   in Loop: Header=BB117_7 Depth=2
	s_or_b64 exec, exec, s[4:5]
	s_and_b64 s[4:5], s[10:11], s[12:13]
	s_xor_b64 s[4:5], s[4:5], -1
	s_and_saveexec_b64 s[12:13], s[4:5]
	s_xor_b64 s[4:5], exec, s[12:13]
; %bb.48:                               ;   in Loop: Header=BB117_7 Depth=2
	ds_write_b128 v66, v[0:3] offset:8192
; %bb.49:                               ;   in Loop: Header=BB117_7 Depth=2
	s_or_saveexec_b64 s[4:5], s[4:5]
	v_lshl_add_u64 v[8:9], v[44:45], 0, s[36:37]
	s_xor_b64 exec, exec, s[4:5]
	s_cbranch_execz .LBB117_51
; %bb.50:                               ;   in Loop: Header=BB117_7 Depth=2
	global_load_dwordx4 v[10:13], v[8:9], off offset:-256
	s_waitcnt vmcnt(0)
	ds_write2_b64 v68, v[10:11], v[12:13] offset1:1
.LBB117_51:                             ;   in Loop: Header=BB117_7 Depth=2
	s_or_b64 exec, exec, s[4:5]
	s_and_b64 s[4:5], s[10:11], s[14:15]
	s_xor_b64 s[4:5], s[4:5], -1
	s_and_saveexec_b64 s[12:13], s[4:5]
	s_xor_b64 s[4:5], exec, s[12:13]
; %bb.52:                               ;   in Loop: Header=BB117_7 Depth=2
	ds_write_b128 v66, v[0:3] offset:8448
                                        ; implicit-def: $vgpr8_vgpr9
; %bb.53:                               ;   in Loop: Header=BB117_7 Depth=2
	s_andn2_saveexec_b64 s[4:5], s[4:5]
	s_cbranch_execz .LBB117_6
; %bb.54:                               ;   in Loop: Header=BB117_7 Depth=2
	global_load_dwordx4 v[8:11], v[8:9], off
	s_waitcnt vmcnt(0)
	ds_write2_b64 v69, v[8:9], v[10:11] offset1:1
	s_branch .LBB117_6
.LBB117_55:                             ;   in Loop: Header=BB117_4 Depth=1
	v_mov_b64_e32 v[58:59], 0
	v_mov_b64_e32 v[60:61], 0
	;; [unrolled: 1-line block ×8, first 2 shown]
.LBB117_56:                             ;   in Loop: Header=BB117_4 Depth=1
	v_mul_lo_u32 v10, s21, v40
	v_mul_lo_u32 v11, s20, v41
	v_mad_u64_u32 v[8:9], s[4:5], s20, v40, 0
	v_cmp_gt_i32_e32 vcc, s30, v40
	v_add3_u32 v9, v9, v11, v10
	v_lshl_add_u64 v[8:9], v[8:9], 4, s[22:23]
	s_and_b64 s[10:11], s[18:19], vcc
	s_and_saveexec_b64 s[4:5], s[10:11]
	s_cbranch_execz .LBB117_58
; %bb.57:                               ;   in Loop: Header=BB117_4 Depth=1
	v_lshl_add_u64 v[14:15], v[18:19], 4, v[8:9]
	global_load_dwordx4 v[10:13], v[14:15], off
	v_mul_f64 v[42:43], s[26:27], v[60:61]
	v_mul_f64 v[44:45], s[24:25], v[60:61]
	v_fma_f64 v[42:43], s[24:25], v[58:59], -v[42:43]
	v_fmac_f64_e32 v[44:45], s[26:27], v[58:59]
	s_waitcnt vmcnt(0)
	v_add_f64 v[10:11], v[10:11], v[42:43]
	v_add_f64 v[12:13], v[44:45], v[12:13]
	global_store_dwordx4 v[14:15], v[10:13], off
.LBB117_58:                             ;   in Loop: Header=BB117_4 Depth=1
	s_or_b64 exec, exec, s[4:5]
	s_and_b64 s[10:11], s[6:7], vcc
	s_and_saveexec_b64 s[4:5], s[10:11]
	s_cbranch_execz .LBB117_60
; %bb.59:                               ;   in Loop: Header=BB117_4 Depth=1
	v_lshl_add_u64 v[12:13], v[24:25], 4, v[8:9]
	global_load_dwordx4 v[8:11], v[12:13], off
	v_mul_f64 v[14:15], s[26:27], v[56:57]
	v_mul_f64 v[42:43], s[24:25], v[56:57]
	v_fma_f64 v[14:15], s[24:25], v[54:55], -v[14:15]
	v_fmac_f64_e32 v[42:43], s[26:27], v[54:55]
	s_waitcnt vmcnt(0)
	v_add_f64 v[8:9], v[8:9], v[14:15]
	v_add_f64 v[10:11], v[42:43], v[10:11]
	global_store_dwordx4 v[12:13], v[8:11], off
.LBB117_60:                             ;   in Loop: Header=BB117_4 Depth=1
	s_or_b64 exec, exec, s[4:5]
	s_nop 0
	v_add_u32_e32 v8, 16, v40
	v_ashrrev_i32_e32 v9, 31, v8
	v_cmp_gt_i32_e32 vcc, s30, v8
	v_mul_lo_u32 v10, s20, v9
	v_mul_lo_u32 v11, s21, v8
	v_mad_u64_u32 v[8:9], s[4:5], s20, v8, 0
	v_add3_u32 v9, v9, v10, v11
	v_lshl_add_u64 v[8:9], v[8:9], 4, s[22:23]
	s_and_b64 s[10:11], s[18:19], vcc
	s_and_saveexec_b64 s[4:5], s[10:11]
	s_cbranch_execz .LBB117_62
; %bb.61:                               ;   in Loop: Header=BB117_4 Depth=1
	v_lshl_add_u64 v[14:15], v[18:19], 4, v[8:9]
	global_load_dwordx4 v[10:13], v[14:15], off
	v_mul_f64 v[40:41], s[26:27], v[52:53]
	v_mul_f64 v[42:43], s[24:25], v[52:53]
	v_fma_f64 v[40:41], s[24:25], v[50:51], -v[40:41]
	v_fmac_f64_e32 v[42:43], s[26:27], v[50:51]
	s_waitcnt vmcnt(0)
	v_add_f64 v[10:11], v[10:11], v[40:41]
	v_add_f64 v[12:13], v[42:43], v[12:13]
	global_store_dwordx4 v[14:15], v[10:13], off
.LBB117_62:                             ;   in Loop: Header=BB117_4 Depth=1
	s_or_b64 exec, exec, s[4:5]
	s_and_b64 s[10:11], s[6:7], vcc
	s_and_saveexec_b64 s[4:5], s[10:11]
	s_cbranch_execz .LBB117_3
; %bb.63:                               ;   in Loop: Header=BB117_4 Depth=1
	v_lshl_add_u64 v[12:13], v[24:25], 4, v[8:9]
	global_load_dwordx4 v[8:11], v[12:13], off
	v_mul_f64 v[14:15], s[26:27], v[46:47]
	v_mul_f64 v[40:41], s[24:25], v[46:47]
	v_fma_f64 v[14:15], s[24:25], v[48:49], -v[14:15]
	v_fmac_f64_e32 v[40:41], s[26:27], v[48:49]
	s_waitcnt vmcnt(0)
	v_add_f64 v[8:9], v[8:9], v[14:15]
	v_add_f64 v[10:11], v[40:41], v[10:11]
	global_store_dwordx4 v[12:13], v[8:11], off
	s_branch .LBB117_3
.LBB117_64:
	s_endpgm
	.section	.rodata,"a",@progbits
	.p2align	6, 0x0
	.amdhsa_kernel _ZL30rocblas_trmm_outofplace_kernelI19rocblas_complex_numIdELi32ELi2ELb1ELb0ELb1ELb1ES1_KS1_S1_Ev17rocblas_diagonal_iiT6_lPT7_lllS6_lllPT8_llli
		.amdhsa_group_segment_fixed_size 32768
		.amdhsa_private_segment_fixed_size 0
		.amdhsa_kernarg_size 400
		.amdhsa_user_sgpr_count 2
		.amdhsa_user_sgpr_dispatch_ptr 0
		.amdhsa_user_sgpr_queue_ptr 0
		.amdhsa_user_sgpr_kernarg_segment_ptr 1
		.amdhsa_user_sgpr_dispatch_id 0
		.amdhsa_user_sgpr_kernarg_preload_length 0
		.amdhsa_user_sgpr_kernarg_preload_offset 0
		.amdhsa_user_sgpr_private_segment_size 0
		.amdhsa_uses_dynamic_stack 0
		.amdhsa_enable_private_segment 0
		.amdhsa_system_sgpr_workgroup_id_x 1
		.amdhsa_system_sgpr_workgroup_id_y 1
		.amdhsa_system_sgpr_workgroup_id_z 1
		.amdhsa_system_sgpr_workgroup_info 0
		.amdhsa_system_vgpr_workitem_id 1
		.amdhsa_next_free_vgpr 92
		.amdhsa_next_free_sgpr 56
		.amdhsa_accum_offset 92
		.amdhsa_reserve_vcc 1
		.amdhsa_float_round_mode_32 0
		.amdhsa_float_round_mode_16_64 0
		.amdhsa_float_denorm_mode_32 3
		.amdhsa_float_denorm_mode_16_64 3
		.amdhsa_dx10_clamp 1
		.amdhsa_ieee_mode 1
		.amdhsa_fp16_overflow 0
		.amdhsa_tg_split 0
		.amdhsa_exception_fp_ieee_invalid_op 0
		.amdhsa_exception_fp_denorm_src 0
		.amdhsa_exception_fp_ieee_div_zero 0
		.amdhsa_exception_fp_ieee_overflow 0
		.amdhsa_exception_fp_ieee_underflow 0
		.amdhsa_exception_fp_ieee_inexact 0
		.amdhsa_exception_int_div_zero 0
	.end_amdhsa_kernel
	.section	.text._ZL30rocblas_trmm_outofplace_kernelI19rocblas_complex_numIdELi32ELi2ELb1ELb0ELb1ELb1ES1_KS1_S1_Ev17rocblas_diagonal_iiT6_lPT7_lllS6_lllPT8_llli,"axG",@progbits,_ZL30rocblas_trmm_outofplace_kernelI19rocblas_complex_numIdELi32ELi2ELb1ELb0ELb1ELb1ES1_KS1_S1_Ev17rocblas_diagonal_iiT6_lPT7_lllS6_lllPT8_llli,comdat
.Lfunc_end117:
	.size	_ZL30rocblas_trmm_outofplace_kernelI19rocblas_complex_numIdELi32ELi2ELb1ELb0ELb1ELb1ES1_KS1_S1_Ev17rocblas_diagonal_iiT6_lPT7_lllS6_lllPT8_llli, .Lfunc_end117-_ZL30rocblas_trmm_outofplace_kernelI19rocblas_complex_numIdELi32ELi2ELb1ELb0ELb1ELb1ES1_KS1_S1_Ev17rocblas_diagonal_iiT6_lPT7_lllS6_lllPT8_llli
                                        ; -- End function
	.set _ZL30rocblas_trmm_outofplace_kernelI19rocblas_complex_numIdELi32ELi2ELb1ELb0ELb1ELb1ES1_KS1_S1_Ev17rocblas_diagonal_iiT6_lPT7_lllS6_lllPT8_llli.num_vgpr, 92
	.set _ZL30rocblas_trmm_outofplace_kernelI19rocblas_complex_numIdELi32ELi2ELb1ELb0ELb1ELb1ES1_KS1_S1_Ev17rocblas_diagonal_iiT6_lPT7_lllS6_lllPT8_llli.num_agpr, 0
	.set _ZL30rocblas_trmm_outofplace_kernelI19rocblas_complex_numIdELi32ELi2ELb1ELb0ELb1ELb1ES1_KS1_S1_Ev17rocblas_diagonal_iiT6_lPT7_lllS6_lllPT8_llli.numbered_sgpr, 56
	.set _ZL30rocblas_trmm_outofplace_kernelI19rocblas_complex_numIdELi32ELi2ELb1ELb0ELb1ELb1ES1_KS1_S1_Ev17rocblas_diagonal_iiT6_lPT7_lllS6_lllPT8_llli.num_named_barrier, 0
	.set _ZL30rocblas_trmm_outofplace_kernelI19rocblas_complex_numIdELi32ELi2ELb1ELb0ELb1ELb1ES1_KS1_S1_Ev17rocblas_diagonal_iiT6_lPT7_lllS6_lllPT8_llli.private_seg_size, 0
	.set _ZL30rocblas_trmm_outofplace_kernelI19rocblas_complex_numIdELi32ELi2ELb1ELb0ELb1ELb1ES1_KS1_S1_Ev17rocblas_diagonal_iiT6_lPT7_lllS6_lllPT8_llli.uses_vcc, 1
	.set _ZL30rocblas_trmm_outofplace_kernelI19rocblas_complex_numIdELi32ELi2ELb1ELb0ELb1ELb1ES1_KS1_S1_Ev17rocblas_diagonal_iiT6_lPT7_lllS6_lllPT8_llli.uses_flat_scratch, 0
	.set _ZL30rocblas_trmm_outofplace_kernelI19rocblas_complex_numIdELi32ELi2ELb1ELb0ELb1ELb1ES1_KS1_S1_Ev17rocblas_diagonal_iiT6_lPT7_lllS6_lllPT8_llli.has_dyn_sized_stack, 0
	.set _ZL30rocblas_trmm_outofplace_kernelI19rocblas_complex_numIdELi32ELi2ELb1ELb0ELb1ELb1ES1_KS1_S1_Ev17rocblas_diagonal_iiT6_lPT7_lllS6_lllPT8_llli.has_recursion, 0
	.set _ZL30rocblas_trmm_outofplace_kernelI19rocblas_complex_numIdELi32ELi2ELb1ELb0ELb1ELb1ES1_KS1_S1_Ev17rocblas_diagonal_iiT6_lPT7_lllS6_lllPT8_llli.has_indirect_call, 0
	.section	.AMDGPU.csdata,"",@progbits
; Kernel info:
; codeLenInByte = 9136
; TotalNumSgprs: 62
; NumVgprs: 92
; NumAgprs: 0
; TotalNumVgprs: 92
; ScratchSize: 0
; MemoryBound: 0
; FloatMode: 240
; IeeeMode: 1
; LDSByteSize: 32768 bytes/workgroup (compile time only)
; SGPRBlocks: 7
; VGPRBlocks: 11
; NumSGPRsForWavesPerEU: 62
; NumVGPRsForWavesPerEU: 92
; AccumOffset: 92
; Occupancy: 5
; WaveLimiterHint : 0
; COMPUTE_PGM_RSRC2:SCRATCH_EN: 0
; COMPUTE_PGM_RSRC2:USER_SGPR: 2
; COMPUTE_PGM_RSRC2:TRAP_HANDLER: 0
; COMPUTE_PGM_RSRC2:TGID_X_EN: 1
; COMPUTE_PGM_RSRC2:TGID_Y_EN: 1
; COMPUTE_PGM_RSRC2:TGID_Z_EN: 1
; COMPUTE_PGM_RSRC2:TIDIG_COMP_CNT: 1
; COMPUTE_PGM_RSRC3_GFX90A:ACCUM_OFFSET: 22
; COMPUTE_PGM_RSRC3_GFX90A:TG_SPLIT: 0
	.section	.text._ZL30rocblas_trmm_outofplace_kernelI19rocblas_complex_numIdELi32ELi2ELb1ELb1ELb1ELb1EPKS1_S2_S1_Ev17rocblas_diagonal_iiT6_lPT7_lllS7_lllPT8_llli,"axG",@progbits,_ZL30rocblas_trmm_outofplace_kernelI19rocblas_complex_numIdELi32ELi2ELb1ELb1ELb1ELb1EPKS1_S2_S1_Ev17rocblas_diagonal_iiT6_lPT7_lllS7_lllPT8_llli,comdat
	.globl	_ZL30rocblas_trmm_outofplace_kernelI19rocblas_complex_numIdELi32ELi2ELb1ELb1ELb1ELb1EPKS1_S2_S1_Ev17rocblas_diagonal_iiT6_lPT7_lllS7_lllPT8_llli ; -- Begin function _ZL30rocblas_trmm_outofplace_kernelI19rocblas_complex_numIdELi32ELi2ELb1ELb1ELb1ELb1EPKS1_S2_S1_Ev17rocblas_diagonal_iiT6_lPT7_lllS7_lllPT8_llli
	.p2align	8
	.type	_ZL30rocblas_trmm_outofplace_kernelI19rocblas_complex_numIdELi32ELi2ELb1ELb1ELb1ELb1EPKS1_S2_S1_Ev17rocblas_diagonal_iiT6_lPT7_lllS7_lllPT8_llli,@function
_ZL30rocblas_trmm_outofplace_kernelI19rocblas_complex_numIdELi32ELi2ELb1ELb1ELb1ELb1EPKS1_S2_S1_Ev17rocblas_diagonal_iiT6_lPT7_lllS7_lllPT8_llli: ; @_ZL30rocblas_trmm_outofplace_kernelI19rocblas_complex_numIdELi32ELi2ELb1ELb1ELb1ELb1EPKS1_S2_S1_Ev17rocblas_diagonal_iiT6_lPT7_lllS7_lllPT8_llli
; %bb.0:
	s_load_dwordx16 s[16:31], s[0:1], 0x10
	s_waitcnt lgkmcnt(0)
	s_mul_i32 s5, s19, s4
	s_mul_hi_u32 s6, s18, s4
	s_add_i32 s7, s6, s5
	s_mul_i32 s6, s18, s4
	s_lshl_b64 s[6:7], s[6:7], 4
	s_add_u32 s6, s16, s6
	s_addc_u32 s7, s17, s7
	s_load_dwordx4 s[44:47], s[6:7], 0x0
	s_waitcnt lgkmcnt(0)
	v_cmp_eq_f64_e64 s[6:7], s[44:45], 0
	v_cmp_eq_f64_e64 s[8:9], s[46:47], 0
	s_and_b64 s[6:7], s[6:7], s[8:9]
	s_and_b64 vcc, exec, s[6:7]
	s_cbranch_vccnz .LBB118_63
; %bb.1:
	s_load_dwordx4 s[48:51], s[0:1], 0x0
	s_waitcnt lgkmcnt(0)
	s_add_i32 s5, s50, -1
	s_ashr_i32 s6, s5, 31
	s_lshr_b32 s6, s6, 27
	s_add_i32 s5, s5, s6
	s_ashr_i32 s33, s5, 5
	s_cmp_gt_i32 s3, s33
	s_cbranch_scc1 .LBB118_63
; %bb.2:
	s_load_dwordx8 s[36:43], s[0:1], 0x50
	s_load_dwordx4 s[52:55], s[0:1], 0x70
	s_mul_i32 s5, s27, s4
	s_mul_hi_u32 s6, s26, s4
	s_add_i32 s7, s6, s5
	s_mul_i32 s6, s26, s4
	s_lshl_b64 s[8:9], s[6:7], 4
	s_add_u32 s5, s20, s8
	s_addc_u32 s7, s21, s9
	s_lshl_b64 s[10:11], s[22:23], 4
	s_add_u32 s6, s5, s10
	s_load_dword s51, s[0:1], 0x8c
	s_waitcnt lgkmcnt(0)
	s_mul_i32 s0, s55, s4
	s_mul_hi_u32 s1, s54, s4
	s_addc_u32 s7, s7, s11
	s_add_i32 s1, s1, s0
	s_mul_i32 s0, s54, s4
	s_lshl_b64 s[0:1], s[0:1], 4
	s_add_u32 s5, s40, s0
	s_addc_u32 s12, s41, s1
	s_lshl_b64 s[0:1], s[42:43], 4
	s_add_u32 s22, s5, s0
	s_addc_u32 s23, s12, s1
	s_lshl_b32 s54, s2, 5
	s_cmp_gt_i32 s2, -1
	s_cselect_b64 s[12:13], -1, 0
	s_cmpk_eq_i32 s48, 0x84
	s_cselect_b64 s[26:27], -1, 0
	s_ashr_i32 s35, s49, 31
	s_ashr_i32 s2, s50, 31
	v_and_b32_e32 v14, 0x3ff, v0
	s_add_u32 s40, s49, -16
	s_mul_i32 s5, s39, s4
	s_mul_hi_u32 s14, s38, s4
	v_add_u32_e32 v16, s54, v14
	s_addc_u32 s41, s35, -1
	s_add_i32 s5, s14, s5
	s_mul_i32 s4, s38, s4
	v_ashrrev_i32_e32 v17, 31, v16
	s_lshl_b64 s[4:5], s[4:5], 4
	s_lshl_b64 s[14:15], s[30:31], 4
	v_bfe_u32 v12, v0, 10, 10
	v_mul_lo_u32 v2, s24, v17
	v_mul_lo_u32 v3, s25, v16
	v_mad_u64_u32 v[0:1], s[0:1], s24, v16, 0
	s_add_u32 s4, s4, s14
	v_mov_b32_e32 v13, 0
	v_add3_u32 v1, v1, v2, v3
	s_addc_u32 s5, s5, s15
	v_lshl_add_u64 v[0:1], v[0:1], 4, s[6:7]
	v_lshlrev_b32_e32 v2, 4, v12
	v_mov_b32_e32 v3, v13
	s_add_u32 s4, s28, s4
	v_lshl_add_u64 v[18:19], v[0:1], 0, v[2:3]
	v_lshlrev_b32_e32 v0, 9, v12
	v_lshlrev_b32_e32 v20, 4, v14
	v_mov_b32_e32 v21, v13
	s_addc_u32 s5, s29, s5
	v_add_u32_e32 v41, v20, v0
	v_add_u32_e32 v62, 0x4000, v0
	v_lshl_add_u64 v[0:1], s[4:5], 0, v[20:21]
	s_mov_b64 s[4:5], 0x100
	s_lshl_b64 s[28:29], s[36:37], 4
	s_lshl_b32 s48, s51, 5
	v_lshl_add_u64 v[32:33], v[0:1], 0, s[4:5]
	s_add_u32 s4, s10, s8
	v_mov_b64_e32 v[36:37], 0x100
	s_addc_u32 s5, s11, s9
	v_lshl_add_u64 v[0:1], v[16:17], 4, v[36:37]
	v_mov_b64_e32 v[4:5], s[4:5]
	v_mul_lo_u32 v6, s24, v1
	v_mul_lo_u32 v7, s25, v0
	v_mad_u64_u32 v[0:1], s[4:5], s24, v0, v[4:5]
	v_add3_u32 v1, v7, v1, v6
	v_sub_co_u32_e32 v26, vcc, v16, v12
	v_lshl_add_u64 v[0:1], v[0:1], 0, v[2:3]
	s_mov_b32 s34, s49
	v_add_u32_e32 v63, v62, v20
	v_lshl_add_u64 v[22:23], v[16:17], 0, 16
	v_add_u32_e32 v24, 16, v16
	v_subbrev_co_u32_e32 v27, vcc, 0, v17, vcc
	v_lshl_add_u64 v[38:39], s[20:21], 0, v[0:1]
	v_cndmask_b32_e64 v0, 0, 1, s[12:13]
	v_mov_b32_e32 v15, v13
	v_cmp_le_i32_e64 s[0:1], s49, v16
	v_cmp_le_i64_e64 s[16:17], s[34:35], v[22:23]
	v_add_u32_e32 v64, 0x100, v63
	v_add_u32_e32 v65, 0x2000, v63
	;; [unrolled: 1-line block ×3, first 2 shown]
	v_cmp_gt_i32_e64 s[18:19], s49, v16
	v_cmp_gt_i32_e64 s[6:7], s49, v24
	v_ashrrev_i32_e32 v25, 31, v24
	v_lshl_add_u64 v[28:29], v[26:27], 0, 16
	v_lshl_add_u64 v[30:31], v[26:27], 0, -16
	v_lshl_add_u32 v34, s3, 5, v12
	v_cmp_ne_u32_e64 s[8:9], 1, v0
	v_mov_b32_e32 v68, v13
	v_mov_b32_e32 v69, v13
	;; [unrolled: 1-line block ×7, first 2 shown]
	s_branch .LBB118_4
.LBB118_3:                              ;   in Loop: Header=BB118_4 Depth=1
	s_or_b64 exec, exec, s[4:5]
	s_add_i32 s3, s51, s3
	s_cmp_le_i32 s3, s33
	v_add_u32_e32 v34, s48, v34
	s_cbranch_scc0 .LBB118_63
.LBB118_4:                              ; =>This Loop Header: Depth=1
                                        ;     Child Loop BB118_7 Depth 2
	v_lshl_add_u32 v40, s3, 5, v12
	v_ashrrev_i32_e32 v21, 31, v40
	v_mov_b64_e32 v[58:59], 0
	s_and_b64 vcc, exec, s[8:9]
	v_mov_b64_e32 v[60:61], 0
	v_mov_b64_e32 v[54:55], 0
	;; [unrolled: 1-line block ×7, first 2 shown]
	s_cbranch_vccnz .LBB118_55
; %bb.5:                                ;   in Loop: Header=BB118_4 Depth=1
	v_ashrrev_i32_e32 v35, 31, v34
	v_mad_u64_u32 v[42:43], s[4:5], s28, v34, v[32:33]
	v_mul_lo_u32 v4, s29, v34
	v_mul_lo_u32 v5, s28, v35
	v_add3_u32 v43, v4, v43, v5
	v_lshl_add_u64 v[4:5], v[34:35], 4, v[36:37]
	v_mul_lo_u32 v5, s36, v5
	v_mul_lo_u32 v6, s37, v4
	v_mad_u64_u32 v[44:45], s[4:5], s36, v4, v[32:33]
	v_add3_u32 v45, v6, v45, v5
	v_mov_b32_e32 v5, s2
	v_sub_co_u32_e32 v4, vcc, s50, v40
	s_mov_b64 s[20:21], 0
	s_nop 0
	v_subb_co_u32_e32 v5, vcc, v5, v21, vcc
	v_cmp_lt_i64_e32 vcc, 0, v[4:5]
	v_cmp_lt_i64_e64 s[10:11], 16, v[4:5]
	v_mov_b64_e32 v[46:47], 0
	s_mov_b64 s[24:25], 0
	v_mov_b64_e32 v[48:49], 0
	v_mov_b64_e32 v[52:53], 0
	;; [unrolled: 1-line block ×7, first 2 shown]
	s_branch .LBB118_7
.LBB118_6:                              ;   in Loop: Header=BB118_7 Depth=2
	s_or_b64 exec, exec, s[4:5]
	s_waitcnt lgkmcnt(0)
	s_barrier
	ds_read_b128 v[72:75], v20
	ds_read_b128 v[76:79], v62
	ds_read_b128 v[80:83], v62 offset:16
	ds_read_b128 v[8:11], v62 offset:32
	;; [unrolled: 1-line block ×4, first 2 shown]
	s_waitcnt lgkmcnt(4)
	v_mul_f64 v[88:89], v[78:79], v[74:75]
	v_fma_f64 v[88:89], v[76:77], v[72:73], -v[88:89]
	v_mul_f64 v[90:91], v[76:77], v[74:75]
	v_fmac_f64_e32 v[90:91], v[78:79], v[72:73]
	v_add_f64 v[88:89], v[58:59], v[88:89]
	s_waitcnt lgkmcnt(0)
	v_mul_f64 v[58:59], v[78:79], v[86:87]
	v_add_f64 v[90:91], v[90:91], v[60:61]
	v_fma_f64 v[92:93], v[76:77], v[84:85], -v[58:59]
	ds_read_b128 v[58:61], v62 offset:8192
	v_mul_f64 v[76:77], v[76:77], v[86:87]
	v_fmac_f64_e32 v[76:77], v[78:79], v[84:85]
	v_add_f64 v[78:79], v[54:55], v[92:93]
	v_add_f64 v[76:77], v[76:77], v[56:57]
	ds_read_b128 v[54:57], v62 offset:8208
	s_waitcnt lgkmcnt(1)
	v_mul_f64 v[92:93], v[60:61], v[74:75]
	v_fma_f64 v[92:93], v[58:59], v[72:73], -v[92:93]
	v_mul_f64 v[74:75], v[58:59], v[74:75]
	v_fmac_f64_e32 v[74:75], v[60:61], v[72:73]
	v_add_f64 v[72:73], v[50:51], v[92:93]
	v_mul_f64 v[50:51], v[60:61], v[86:87]
	v_add_f64 v[74:75], v[74:75], v[52:53]
	v_fma_f64 v[92:93], v[58:59], v[84:85], -v[50:51]
	v_mul_f64 v[58:59], v[58:59], v[86:87]
	ds_read_b128 v[50:53], v20 offset:512
	v_fmac_f64_e32 v[58:59], v[60:61], v[84:85]
	v_add_f64 v[60:61], v[48:49], v[92:93]
	v_add_f64 v[58:59], v[58:59], v[46:47]
	ds_read_b128 v[46:49], v20 offset:768
	s_waitcnt lgkmcnt(1)
	v_mul_f64 v[84:85], v[82:83], v[52:53]
	v_fma_f64 v[84:85], v[80:81], v[50:51], -v[84:85]
	v_add_f64 v[84:85], v[88:89], v[84:85]
	v_mul_f64 v[86:87], v[80:81], v[52:53]
	s_waitcnt lgkmcnt(0)
	v_mul_f64 v[88:89], v[82:83], v[48:49]
	v_fma_f64 v[88:89], v[80:81], v[46:47], -v[88:89]
	v_mul_f64 v[80:81], v[80:81], v[48:49]
	v_fmac_f64_e32 v[80:81], v[82:83], v[46:47]
	v_add_f64 v[76:77], v[80:81], v[76:77]
	v_mul_f64 v[80:81], v[56:57], v[52:53]
	v_mul_f64 v[52:53], v[54:55], v[52:53]
	v_fmac_f64_e32 v[86:87], v[82:83], v[50:51]
	v_fma_f64 v[80:81], v[54:55], v[50:51], -v[80:81]
	v_fmac_f64_e32 v[52:53], v[56:57], v[50:51]
	v_mul_f64 v[50:51], v[56:57], v[48:49]
	v_add_f64 v[74:75], v[52:53], v[74:75]
	v_fma_f64 v[52:53], v[54:55], v[46:47], -v[50:51]
	v_mul_f64 v[54:55], v[54:55], v[48:49]
	ds_read_b128 v[48:51], v20 offset:1024
	v_fmac_f64_e32 v[54:55], v[56:57], v[46:47]
	v_add_f64 v[72:73], v[72:73], v[80:81]
	v_add_f64 v[60:61], v[60:61], v[52:53]
	;; [unrolled: 1-line block ×3, first 2 shown]
	ds_read_b128 v[52:55], v20 offset:1280
	s_waitcnt lgkmcnt(1)
	v_mul_f64 v[46:47], v[10:11], v[50:51]
	v_mul_f64 v[56:57], v[8:9], v[50:51]
	v_add_f64 v[86:87], v[86:87], v[90:91]
	v_fma_f64 v[46:47], v[8:9], v[48:49], -v[46:47]
	v_fmac_f64_e32 v[56:57], v[10:11], v[48:49]
	v_add_f64 v[82:83], v[84:85], v[46:47]
	v_add_f64 v[84:85], v[56:57], v[86:87]
	ds_read_b128 v[56:59], v62 offset:8224
	s_waitcnt lgkmcnt(1)
	v_mul_f64 v[46:47], v[10:11], v[54:55]
	v_fma_f64 v[46:47], v[8:9], v[52:53], -v[46:47]
	v_mul_f64 v[8:9], v[8:9], v[54:55]
	v_add_f64 v[78:79], v[78:79], v[88:89]
	v_fmac_f64_e32 v[8:9], v[10:11], v[52:53]
	v_add_f64 v[78:79], v[78:79], v[46:47]
	v_add_f64 v[76:77], v[8:9], v[76:77]
	ds_read_b128 v[8:11], v62 offset:8240
	s_waitcnt lgkmcnt(1)
	v_mul_f64 v[46:47], v[58:59], v[50:51]
	v_fma_f64 v[46:47], v[56:57], v[48:49], -v[46:47]
	v_mul_f64 v[50:51], v[56:57], v[50:51]
	v_fmac_f64_e32 v[50:51], v[58:59], v[48:49]
	v_add_f64 v[72:73], v[72:73], v[46:47]
	v_mul_f64 v[46:47], v[58:59], v[54:55]
	v_add_f64 v[74:75], v[50:51], v[74:75]
	v_fma_f64 v[50:51], v[56:57], v[52:53], -v[46:47]
	v_mul_f64 v[54:55], v[56:57], v[54:55]
	ds_read_b128 v[46:49], v20 offset:1536
	v_fmac_f64_e32 v[54:55], v[58:59], v[52:53]
	v_add_f64 v[56:57], v[60:61], v[50:51]
	ds_read_b128 v[50:53], v20 offset:1792
	v_add_f64 v[54:55], v[54:55], v[80:81]
	s_waitcnt lgkmcnt(1)
	v_mul_f64 v[58:59], v[6:7], v[48:49]
	v_fma_f64 v[58:59], v[4:5], v[46:47], -v[58:59]
	v_mul_f64 v[60:61], v[4:5], v[48:49]
	s_waitcnt lgkmcnt(0)
	v_mul_f64 v[80:81], v[6:7], v[52:53]
	v_fma_f64 v[80:81], v[4:5], v[50:51], -v[80:81]
	v_mul_f64 v[4:5], v[4:5], v[52:53]
	v_fmac_f64_e32 v[4:5], v[6:7], v[50:51]
	v_add_f64 v[76:77], v[4:5], v[76:77]
	v_mul_f64 v[4:5], v[10:11], v[48:49]
	v_fmac_f64_e32 v[60:61], v[6:7], v[46:47]
	v_fma_f64 v[4:5], v[8:9], v[46:47], -v[4:5]
	v_mul_f64 v[6:7], v[8:9], v[48:49]
	v_fmac_f64_e32 v[6:7], v[10:11], v[46:47]
	v_add_f64 v[72:73], v[72:73], v[4:5]
	v_mul_f64 v[4:5], v[10:11], v[52:53]
	v_mul_f64 v[48:49], v[8:9], v[52:53]
	v_add_f64 v[74:75], v[6:7], v[74:75]
	v_fma_f64 v[46:47], v[8:9], v[50:51], -v[4:5]
	v_fmac_f64_e32 v[48:49], v[10:11], v[50:51]
	ds_read_b128 v[4:7], v62 offset:64
	ds_read_b128 v[8:11], v20 offset:2048
	v_add_f64 v[58:59], v[82:83], v[58:59]
	v_add_f64 v[78:79], v[78:79], v[80:81]
	;; [unrolled: 1-line block ×4, first 2 shown]
	ds_read_b128 v[46:49], v20 offset:2304
	ds_read_b128 v[50:53], v62 offset:80
	s_waitcnt lgkmcnt(2)
	v_mul_f64 v[54:55], v[6:7], v[10:11]
	v_fma_f64 v[54:55], v[4:5], v[8:9], -v[54:55]
	v_mul_f64 v[56:57], v[4:5], v[10:11]
	v_add_f64 v[60:61], v[60:61], v[84:85]
	v_fmac_f64_e32 v[56:57], v[6:7], v[8:9]
	v_add_f64 v[58:59], v[58:59], v[54:55]
	s_waitcnt lgkmcnt(1)
	v_mul_f64 v[54:55], v[6:7], v[48:49]
	v_add_f64 v[60:61], v[56:57], v[60:61]
	v_fma_f64 v[84:85], v[4:5], v[46:47], -v[54:55]
	ds_read_b128 v[54:57], v62 offset:8256
	v_mul_f64 v[4:5], v[4:5], v[48:49]
	v_fmac_f64_e32 v[4:5], v[6:7], v[46:47]
	v_add_f64 v[78:79], v[78:79], v[84:85]
	v_add_f64 v[76:77], v[4:5], v[76:77]
	ds_read_b128 v[4:7], v62 offset:8272
	s_waitcnt lgkmcnt(1)
	v_mul_f64 v[84:85], v[56:57], v[10:11]
	v_mul_f64 v[10:11], v[54:55], v[10:11]
	v_fma_f64 v[84:85], v[54:55], v[8:9], -v[84:85]
	v_fmac_f64_e32 v[10:11], v[56:57], v[8:9]
	v_mul_f64 v[8:9], v[56:57], v[48:49]
	v_add_f64 v[72:73], v[72:73], v[84:85]
	v_add_f64 v[74:75], v[10:11], v[74:75]
	v_fma_f64 v[84:85], v[54:55], v[46:47], -v[8:9]
	v_mul_f64 v[48:49], v[54:55], v[48:49]
	ds_read_b128 v[8:11], v20 offset:2560
	v_fmac_f64_e32 v[48:49], v[56:57], v[46:47]
	v_add_f64 v[56:57], v[48:49], v[82:83]
	ds_read_b128 v[46:49], v20 offset:2816
	v_add_f64 v[54:55], v[80:81], v[84:85]
	s_waitcnt lgkmcnt(1)
	v_mul_f64 v[80:81], v[52:53], v[10:11]
	v_fma_f64 v[80:81], v[50:51], v[8:9], -v[80:81]
	v_add_f64 v[58:59], v[58:59], v[80:81]
	s_waitcnt lgkmcnt(0)
	v_mul_f64 v[80:81], v[52:53], v[48:49]
	v_mul_f64 v[82:83], v[50:51], v[10:11]
	v_fma_f64 v[80:81], v[50:51], v[46:47], -v[80:81]
	v_mul_f64 v[50:51], v[50:51], v[48:49]
	v_fmac_f64_e32 v[50:51], v[52:53], v[46:47]
	v_add_f64 v[76:77], v[50:51], v[76:77]
	v_mul_f64 v[50:51], v[6:7], v[10:11]
	v_mul_f64 v[10:11], v[4:5], v[10:11]
	v_fmac_f64_e32 v[82:83], v[52:53], v[8:9]
	v_fma_f64 v[50:51], v[4:5], v[8:9], -v[50:51]
	v_fmac_f64_e32 v[10:11], v[6:7], v[8:9]
	v_mul_f64 v[8:9], v[6:7], v[48:49]
	v_mul_f64 v[48:49], v[4:5], v[48:49]
	v_add_f64 v[72:73], v[72:73], v[50:51]
	v_add_f64 v[74:75], v[10:11], v[74:75]
	v_fma_f64 v[50:51], v[4:5], v[46:47], -v[8:9]
	v_fmac_f64_e32 v[48:49], v[6:7], v[46:47]
	ds_read_b128 v[4:7], v62 offset:96
	ds_read_b128 v[8:11], v20 offset:3072
	v_add_f64 v[60:61], v[82:83], v[60:61]
	v_add_f64 v[78:79], v[78:79], v[80:81]
	v_add_f64 v[80:81], v[54:55], v[50:51]
	v_add_f64 v[82:83], v[48:49], v[56:57]
	ds_read_b128 v[46:49], v20 offset:3328
	ds_read_b128 v[50:53], v62 offset:112
	s_waitcnt lgkmcnt(2)
	v_mul_f64 v[54:55], v[6:7], v[10:11]
	v_fma_f64 v[54:55], v[4:5], v[8:9], -v[54:55]
	v_mul_f64 v[56:57], v[4:5], v[10:11]
	v_fmac_f64_e32 v[56:57], v[6:7], v[8:9]
	v_add_f64 v[58:59], v[58:59], v[54:55]
	s_waitcnt lgkmcnt(1)
	v_mul_f64 v[54:55], v[6:7], v[48:49]
	v_add_f64 v[60:61], v[56:57], v[60:61]
	v_fma_f64 v[84:85], v[4:5], v[46:47], -v[54:55]
	ds_read_b128 v[54:57], v62 offset:8288
	v_mul_f64 v[4:5], v[4:5], v[48:49]
	v_fmac_f64_e32 v[4:5], v[6:7], v[46:47]
	v_add_f64 v[78:79], v[78:79], v[84:85]
	v_add_f64 v[76:77], v[4:5], v[76:77]
	ds_read_b128 v[4:7], v62 offset:8304
	s_waitcnt lgkmcnt(1)
	v_mul_f64 v[84:85], v[56:57], v[10:11]
	v_mul_f64 v[10:11], v[54:55], v[10:11]
	v_fma_f64 v[84:85], v[54:55], v[8:9], -v[84:85]
	v_fmac_f64_e32 v[10:11], v[56:57], v[8:9]
	v_mul_f64 v[8:9], v[56:57], v[48:49]
	v_add_f64 v[72:73], v[72:73], v[84:85]
	v_add_f64 v[74:75], v[10:11], v[74:75]
	v_fma_f64 v[84:85], v[54:55], v[46:47], -v[8:9]
	v_mul_f64 v[48:49], v[54:55], v[48:49]
	ds_read_b128 v[8:11], v20 offset:3584
	v_fmac_f64_e32 v[48:49], v[56:57], v[46:47]
	v_add_f64 v[56:57], v[48:49], v[82:83]
	ds_read_b128 v[46:49], v20 offset:3840
	v_add_f64 v[54:55], v[80:81], v[84:85]
	s_waitcnt lgkmcnt(1)
	v_mul_f64 v[80:81], v[52:53], v[10:11]
	v_fma_f64 v[80:81], v[50:51], v[8:9], -v[80:81]
	v_add_f64 v[58:59], v[58:59], v[80:81]
	s_waitcnt lgkmcnt(0)
	v_mul_f64 v[80:81], v[52:53], v[48:49]
	v_mul_f64 v[82:83], v[50:51], v[10:11]
	v_fma_f64 v[80:81], v[50:51], v[46:47], -v[80:81]
	v_mul_f64 v[50:51], v[50:51], v[48:49]
	v_fmac_f64_e32 v[50:51], v[52:53], v[46:47]
	v_add_f64 v[76:77], v[50:51], v[76:77]
	v_mul_f64 v[50:51], v[6:7], v[10:11]
	v_mul_f64 v[10:11], v[4:5], v[10:11]
	v_fmac_f64_e32 v[82:83], v[52:53], v[8:9]
	v_fma_f64 v[50:51], v[4:5], v[8:9], -v[50:51]
	v_fmac_f64_e32 v[10:11], v[6:7], v[8:9]
	v_mul_f64 v[8:9], v[6:7], v[48:49]
	v_mul_f64 v[48:49], v[4:5], v[48:49]
	v_add_f64 v[72:73], v[72:73], v[50:51]
	v_add_f64 v[74:75], v[10:11], v[74:75]
	v_fma_f64 v[50:51], v[4:5], v[46:47], -v[8:9]
	v_fmac_f64_e32 v[48:49], v[6:7], v[46:47]
	ds_read_b128 v[4:7], v62 offset:128
	ds_read_b128 v[8:11], v20 offset:4096
	v_add_f64 v[60:61], v[82:83], v[60:61]
	v_add_f64 v[78:79], v[78:79], v[80:81]
	v_add_f64 v[80:81], v[54:55], v[50:51]
	v_add_f64 v[82:83], v[48:49], v[56:57]
	ds_read_b128 v[46:49], v20 offset:4352
	ds_read_b128 v[50:53], v62 offset:144
	s_waitcnt lgkmcnt(2)
	v_mul_f64 v[54:55], v[6:7], v[10:11]
	v_fma_f64 v[54:55], v[4:5], v[8:9], -v[54:55]
	v_mul_f64 v[56:57], v[4:5], v[10:11]
	;; [unrolled: 61-line block ×13, first 2 shown]
	v_fmac_f64_e32 v[56:57], v[6:7], v[8:9]
	v_add_f64 v[58:59], v[58:59], v[54:55]
	s_waitcnt lgkmcnt(1)
	v_mul_f64 v[54:55], v[6:7], v[48:49]
	v_add_f64 v[60:61], v[56:57], v[60:61]
	v_fma_f64 v[84:85], v[4:5], v[46:47], -v[54:55]
	ds_read_b128 v[54:57], v62 offset:8672
	v_mul_f64 v[4:5], v[4:5], v[48:49]
	v_fmac_f64_e32 v[4:5], v[6:7], v[46:47]
	v_add_f64 v[78:79], v[78:79], v[84:85]
	v_add_f64 v[76:77], v[4:5], v[76:77]
	ds_read_b128 v[4:7], v62 offset:8688
	s_waitcnt lgkmcnt(1)
	v_mul_f64 v[84:85], v[56:57], v[10:11]
	v_mul_f64 v[10:11], v[54:55], v[10:11]
	v_fma_f64 v[84:85], v[54:55], v[8:9], -v[84:85]
	v_fmac_f64_e32 v[10:11], v[56:57], v[8:9]
	v_mul_f64 v[8:9], v[56:57], v[48:49]
	v_add_f64 v[72:73], v[72:73], v[84:85]
	v_add_f64 v[74:75], v[10:11], v[74:75]
	v_fma_f64 v[84:85], v[54:55], v[46:47], -v[8:9]
	v_mul_f64 v[48:49], v[54:55], v[48:49]
	ds_read_b128 v[8:11], v20 offset:15872
	v_fmac_f64_e32 v[48:49], v[56:57], v[46:47]
	v_add_f64 v[82:83], v[48:49], v[82:83]
	ds_read_b128 v[46:49], v20 offset:16128
	s_add_u32 s24, s24, 32
	s_waitcnt lgkmcnt(1)
	v_mul_f64 v[54:55], v[52:53], v[10:11]
	v_fma_f64 v[54:55], v[50:51], v[8:9], -v[54:55]
	v_add_f64 v[58:59], v[58:59], v[54:55]
	s_waitcnt lgkmcnt(0)
	v_mul_f64 v[54:55], v[52:53], v[48:49]
	v_mul_f64 v[56:57], v[50:51], v[10:11]
	v_fma_f64 v[54:55], v[50:51], v[46:47], -v[54:55]
	v_mul_f64 v[50:51], v[50:51], v[48:49]
	v_fmac_f64_e32 v[56:57], v[52:53], v[8:9]
	v_fmac_f64_e32 v[50:51], v[52:53], v[46:47]
	v_add_f64 v[60:61], v[56:57], v[60:61]
	v_add_f64 v[56:57], v[50:51], v[76:77]
	v_mul_f64 v[50:51], v[6:7], v[10:11]
	v_mul_f64 v[10:11], v[4:5], v[10:11]
	v_fma_f64 v[50:51], v[4:5], v[8:9], -v[50:51]
	v_fmac_f64_e32 v[10:11], v[6:7], v[8:9]
	v_mul_f64 v[8:9], v[6:7], v[48:49]
	s_addc_u32 s25, s25, 0
	s_sub_i32 s4, s24, 32
	v_fma_f64 v[8:9], v[4:5], v[46:47], -v[8:9]
	v_mul_f64 v[4:5], v[4:5], v[48:49]
	s_add_u32 s20, s20, 0x200
	v_add_f64 v[80:81], v[80:81], v[84:85]
	v_fmac_f64_e32 v[4:5], v[6:7], v[46:47]
	s_addc_u32 s21, s21, 0
	v_add_f64 v[54:55], v[78:79], v[54:55]
	v_add_f64 v[50:51], v[72:73], v[50:51]
	;; [unrolled: 1-line block ×5, first 2 shown]
	s_cmp_ge_i32 s4, s54
	s_barrier
	s_cbranch_scc1 .LBB118_55
.LBB118_7:                              ;   Parent Loop BB118_4 Depth=1
                                        ; =>  This Inner Loop Header: Depth=2
	v_lshl_add_u64 v[8:9], v[12:13], 0, s[24:25]
	v_cmp_le_i64_e64 s[14:15], s[34:35], v[8:9]
	v_cmp_eq_u64_e64 s[4:5], s[24:25], v[26:27]
	v_cmp_gt_i64_e64 s[12:13], v[8:9], v[16:17]
	s_and_b64 s[38:39], s[26:27], s[4:5]
	s_or_b64 s[4:5], s[14:15], s[12:13]
	s_or_b64 s[4:5], s[4:5], s[38:39]
	v_lshl_add_u64 v[4:5], v[18:19], 0, s[20:21]
	s_nor_b64 s[4:5], s[0:1], s[4:5]
	s_and_saveexec_b64 s[30:31], s[4:5]
	s_xor_b64 s[4:5], exec, s[30:31]
	s_cbranch_execz .LBB118_9
; %bb.8:                                ;   in Loop: Header=BB118_7 Depth=2
	global_load_dwordx4 v[72:75], v[4:5], off
	s_waitcnt vmcnt(0)
	v_xor_b32_e32 v75, 0x80000000, v75
	ds_write_b128 v41, v[72:75]
.LBB118_9:                              ;   in Loop: Header=BB118_7 Depth=2
	s_or_saveexec_b64 s[4:5], s[4:5]
	s_xor_b64 s[30:31], s[38:39], -1
	s_xor_b64 exec, exec, s[4:5]
	s_cbranch_execz .LBB118_15
; %bb.10:                               ;   in Loop: Header=BB118_7 Depth=2
	s_and_saveexec_b64 s[42:43], s[30:31]
	s_xor_b64 s[42:43], exec, s[42:43]
; %bb.11:                               ;   in Loop: Header=BB118_7 Depth=2
	ds_write_b128 v41, v[68:71]
; %bb.12:                               ;   in Loop: Header=BB118_7 Depth=2
	s_andn2_saveexec_b64 s[42:43], s[42:43]
; %bb.13:                               ;   in Loop: Header=BB118_7 Depth=2
	ds_write_b128 v41, v[0:3]
; %bb.14:                               ;   in Loop: Header=BB118_7 Depth=2
	s_or_b64 exec, exec, s[42:43]
.LBB118_15:                             ;   in Loop: Header=BB118_7 Depth=2
	s_or_b64 exec, exec, s[4:5]
	v_cmp_eq_u64_e64 s[4:5], s[24:25], v[28:29]
	s_and_b64 s[42:43], s[26:27], s[4:5]
	v_cmp_lt_i64_e64 s[4:5], v[22:23], v[8:9]
	s_or_b64 s[4:5], s[14:15], s[4:5]
	s_or_b64 s[4:5], s[4:5], s[42:43]
	s_nor_b64 s[4:5], s[16:17], s[4:5]
	v_lshl_add_u64 v[6:7], v[38:39], 0, s[20:21]
	s_and_saveexec_b64 s[14:15], s[4:5]
	s_xor_b64 s[4:5], exec, s[14:15]
	s_cbranch_execz .LBB118_17
; %bb.16:                               ;   in Loop: Header=BB118_7 Depth=2
	global_load_dwordx4 v[72:75], v[6:7], off
	s_waitcnt vmcnt(0)
	v_xor_b32_e32 v75, 0x80000000, v75
	ds_write_b128 v41, v[72:75] offset:256
.LBB118_17:                             ;   in Loop: Header=BB118_7 Depth=2
	s_andn2_saveexec_b64 s[4:5], s[4:5]
	s_cbranch_execz .LBB118_23
; %bb.18:                               ;   in Loop: Header=BB118_7 Depth=2
	s_xor_b64 s[14:15], s[42:43], -1
	s_and_saveexec_b64 s[42:43], s[14:15]
	s_xor_b64 s[14:15], exec, s[42:43]
; %bb.19:                               ;   in Loop: Header=BB118_7 Depth=2
	ds_write_b128 v41, v[68:71] offset:256
; %bb.20:                               ;   in Loop: Header=BB118_7 Depth=2
	s_andn2_saveexec_b64 s[14:15], s[14:15]
; %bb.21:                               ;   in Loop: Header=BB118_7 Depth=2
	ds_write_b128 v41, v[0:3] offset:256
; %bb.22:                               ;   in Loop: Header=BB118_7 Depth=2
	s_or_b64 exec, exec, s[14:15]
.LBB118_23:                             ;   in Loop: Header=BB118_7 Depth=2
	s_or_b64 exec, exec, s[4:5]
	v_lshl_add_u64 v[8:9], v[8:9], 0, 16
	v_cmp_eq_u64_e64 s[4:5], s[24:25], v[30:31]
	v_cmp_le_i64_e64 s[14:15], s[34:35], v[8:9]
	s_and_b64 s[42:43], s[26:27], s[4:5]
	v_cmp_gt_i64_e64 s[4:5], v[8:9], v[16:17]
	s_or_b64 s[4:5], s[14:15], s[4:5]
	s_or_b64 s[4:5], s[4:5], s[42:43]
	s_nor_b64 s[4:5], s[0:1], s[4:5]
	s_and_saveexec_b64 s[56:57], s[4:5]
	s_xor_b64 s[4:5], exec, s[56:57]
	s_cbranch_execz .LBB118_25
; %bb.24:                               ;   in Loop: Header=BB118_7 Depth=2
	global_load_dwordx4 v[8:11], v[4:5], off offset:256
	s_waitcnt vmcnt(0)
	v_xor_b32_e32 v11, 0x80000000, v11
	ds_write_b128 v41, v[8:11] offset:8192
.LBB118_25:                             ;   in Loop: Header=BB118_7 Depth=2
	s_andn2_saveexec_b64 s[4:5], s[4:5]
	s_cbranch_execz .LBB118_31
; %bb.26:                               ;   in Loop: Header=BB118_7 Depth=2
	s_xor_b64 s[42:43], s[42:43], -1
	s_and_saveexec_b64 s[56:57], s[42:43]
	s_xor_b64 s[42:43], exec, s[56:57]
; %bb.27:                               ;   in Loop: Header=BB118_7 Depth=2
	ds_write_b128 v41, v[68:71] offset:8192
; %bb.28:                               ;   in Loop: Header=BB118_7 Depth=2
	s_andn2_saveexec_b64 s[42:43], s[42:43]
; %bb.29:                               ;   in Loop: Header=BB118_7 Depth=2
	ds_write_b128 v41, v[0:3] offset:8192
; %bb.30:                               ;   in Loop: Header=BB118_7 Depth=2
	s_or_b64 exec, exec, s[42:43]
.LBB118_31:                             ;   in Loop: Header=BB118_7 Depth=2
	s_or_b64 exec, exec, s[4:5]
	s_or_b64 s[4:5], s[14:15], s[12:13]
	s_or_b64 s[4:5], s[4:5], s[38:39]
	s_nor_b64 s[4:5], s[16:17], s[4:5]
	s_and_saveexec_b64 s[12:13], s[4:5]
	s_xor_b64 s[4:5], exec, s[12:13]
	s_cbranch_execz .LBB118_33
; %bb.32:                               ;   in Loop: Header=BB118_7 Depth=2
	global_load_dwordx4 v[4:7], v[6:7], off offset:256
	s_waitcnt vmcnt(0)
	v_xor_b32_e32 v7, 0x80000000, v7
	ds_write_b128 v41, v[4:7] offset:8448
.LBB118_33:                             ;   in Loop: Header=BB118_7 Depth=2
	s_andn2_saveexec_b64 s[4:5], s[4:5]
	s_cbranch_execz .LBB118_39
; %bb.34:                               ;   in Loop: Header=BB118_7 Depth=2
	s_and_saveexec_b64 s[12:13], s[30:31]
	s_xor_b64 s[12:13], exec, s[12:13]
; %bb.35:                               ;   in Loop: Header=BB118_7 Depth=2
	ds_write_b128 v41, v[68:71] offset:8448
; %bb.36:                               ;   in Loop: Header=BB118_7 Depth=2
	s_andn2_saveexec_b64 s[12:13], s[12:13]
; %bb.37:                               ;   in Loop: Header=BB118_7 Depth=2
	ds_write_b128 v41, v[0:3] offset:8448
; %bb.38:                               ;   in Loop: Header=BB118_7 Depth=2
	s_or_b64 exec, exec, s[12:13]
.LBB118_39:                             ;   in Loop: Header=BB118_7 Depth=2
	s_or_b64 exec, exec, s[4:5]
	v_lshl_add_u64 v[6:7], v[14:15], 0, s[24:25]
	v_cmp_gt_i64_e64 s[12:13], s[34:35], v[6:7]
	s_and_b64 s[4:5], vcc, s[12:13]
	s_xor_b64 s[4:5], s[4:5], -1
	s_and_saveexec_b64 s[14:15], s[4:5]
	s_xor_b64 s[4:5], exec, s[14:15]
; %bb.40:                               ;   in Loop: Header=BB118_7 Depth=2
	ds_write_b128 v63, v[68:71]
; %bb.41:                               ;   in Loop: Header=BB118_7 Depth=2
	s_or_saveexec_b64 s[4:5], s[4:5]
	v_lshl_add_u64 v[4:5], v[42:43], 0, s[20:21]
	s_xor_b64 exec, exec, s[4:5]
	s_cbranch_execz .LBB118_43
; %bb.42:                               ;   in Loop: Header=BB118_7 Depth=2
	global_load_dwordx4 v[8:11], v[4:5], off offset:-256
	s_waitcnt vmcnt(0)
	ds_write2_b64 v63, v[8:9], v[10:11] offset1:1
.LBB118_43:                             ;   in Loop: Header=BB118_7 Depth=2
	s_or_b64 exec, exec, s[4:5]
	v_cmp_gt_i64_e64 s[14:15], s[40:41], v[6:7]
	s_and_b64 s[4:5], vcc, s[14:15]
	s_xor_b64 s[4:5], s[4:5], -1
	s_and_saveexec_b64 s[30:31], s[4:5]
	s_xor_b64 s[4:5], exec, s[30:31]
; %bb.44:                               ;   in Loop: Header=BB118_7 Depth=2
	ds_write_b128 v63, v[68:71] offset:256
                                        ; implicit-def: $vgpr4_vgpr5
; %bb.45:                               ;   in Loop: Header=BB118_7 Depth=2
	s_andn2_saveexec_b64 s[4:5], s[4:5]
	s_cbranch_execz .LBB118_47
; %bb.46:                               ;   in Loop: Header=BB118_7 Depth=2
	global_load_dwordx4 v[4:7], v[4:5], off
	s_waitcnt vmcnt(0)
	ds_write2_b64 v64, v[4:5], v[6:7] offset1:1
.LBB118_47:                             ;   in Loop: Header=BB118_7 Depth=2
	s_or_b64 exec, exec, s[4:5]
	s_and_b64 s[4:5], s[10:11], s[12:13]
	s_xor_b64 s[4:5], s[4:5], -1
	s_and_saveexec_b64 s[12:13], s[4:5]
	s_xor_b64 s[4:5], exec, s[12:13]
; %bb.48:                               ;   in Loop: Header=BB118_7 Depth=2
	ds_write_b128 v63, v[68:71] offset:8192
; %bb.49:                               ;   in Loop: Header=BB118_7 Depth=2
	s_or_saveexec_b64 s[4:5], s[4:5]
	v_lshl_add_u64 v[4:5], v[44:45], 0, s[20:21]
	s_xor_b64 exec, exec, s[4:5]
	s_cbranch_execz .LBB118_51
; %bb.50:                               ;   in Loop: Header=BB118_7 Depth=2
	global_load_dwordx4 v[6:9], v[4:5], off offset:-256
	s_waitcnt vmcnt(0)
	ds_write2_b64 v65, v[6:7], v[8:9] offset1:1
.LBB118_51:                             ;   in Loop: Header=BB118_7 Depth=2
	s_or_b64 exec, exec, s[4:5]
	s_and_b64 s[4:5], s[10:11], s[14:15]
	s_xor_b64 s[4:5], s[4:5], -1
	s_and_saveexec_b64 s[12:13], s[4:5]
	s_xor_b64 s[4:5], exec, s[12:13]
; %bb.52:                               ;   in Loop: Header=BB118_7 Depth=2
	ds_write_b128 v63, v[68:71] offset:8448
                                        ; implicit-def: $vgpr4_vgpr5
; %bb.53:                               ;   in Loop: Header=BB118_7 Depth=2
	s_andn2_saveexec_b64 s[4:5], s[4:5]
	s_cbranch_execz .LBB118_6
; %bb.54:                               ;   in Loop: Header=BB118_7 Depth=2
	global_load_dwordx4 v[4:7], v[4:5], off
	s_waitcnt vmcnt(0)
	ds_write2_b64 v66, v[4:5], v[6:7] offset1:1
	s_branch .LBB118_6
.LBB118_55:                             ;   in Loop: Header=BB118_4 Depth=1
	v_mul_lo_u32 v6, s53, v40
	v_mul_lo_u32 v7, s52, v21
	v_mad_u64_u32 v[4:5], s[4:5], s52, v40, 0
	v_cmp_gt_i32_e32 vcc, s50, v40
	v_add3_u32 v5, v5, v7, v6
	v_lshl_add_u64 v[4:5], v[4:5], 4, s[22:23]
	s_and_b64 s[10:11], s[18:19], vcc
	s_and_saveexec_b64 s[4:5], s[10:11]
	s_cbranch_execz .LBB118_57
; %bb.56:                               ;   in Loop: Header=BB118_4 Depth=1
	v_lshl_add_u64 v[10:11], v[16:17], 4, v[4:5]
	global_load_dwordx4 v[6:9], v[10:11], off
	v_mul_f64 v[42:43], s[46:47], v[60:61]
	v_mul_f64 v[44:45], s[44:45], v[60:61]
	v_fma_f64 v[42:43], s[44:45], v[58:59], -v[42:43]
	v_fmac_f64_e32 v[44:45], s[46:47], v[58:59]
	s_waitcnt vmcnt(0)
	v_add_f64 v[6:7], v[6:7], v[42:43]
	v_add_f64 v[8:9], v[44:45], v[8:9]
	global_store_dwordx4 v[10:11], v[6:9], off
.LBB118_57:                             ;   in Loop: Header=BB118_4 Depth=1
	s_or_b64 exec, exec, s[4:5]
	s_and_b64 s[10:11], s[6:7], vcc
	s_and_saveexec_b64 s[4:5], s[10:11]
	s_cbranch_execz .LBB118_59
; %bb.58:                               ;   in Loop: Header=BB118_4 Depth=1
	v_lshl_add_u64 v[8:9], v[24:25], 4, v[4:5]
	global_load_dwordx4 v[4:7], v[8:9], off
	v_mul_f64 v[10:11], s[46:47], v[56:57]
	v_mul_f64 v[42:43], s[44:45], v[56:57]
	v_fma_f64 v[10:11], s[44:45], v[54:55], -v[10:11]
	v_fmac_f64_e32 v[42:43], s[46:47], v[54:55]
	s_waitcnt vmcnt(0)
	v_add_f64 v[4:5], v[4:5], v[10:11]
	v_add_f64 v[6:7], v[42:43], v[6:7]
	global_store_dwordx4 v[8:9], v[4:7], off
.LBB118_59:                             ;   in Loop: Header=BB118_4 Depth=1
	s_or_b64 exec, exec, s[4:5]
	s_nop 0
	v_add_u32_e32 v4, 16, v40
	v_ashrrev_i32_e32 v5, 31, v4
	v_cmp_gt_i32_e32 vcc, s50, v4
	v_mul_lo_u32 v6, s52, v5
	v_mul_lo_u32 v7, s53, v4
	v_mad_u64_u32 v[4:5], s[4:5], s52, v4, 0
	v_add3_u32 v5, v5, v6, v7
	v_lshl_add_u64 v[4:5], v[4:5], 4, s[22:23]
	s_and_b64 s[10:11], s[18:19], vcc
	s_and_saveexec_b64 s[4:5], s[10:11]
	s_cbranch_execz .LBB118_61
; %bb.60:                               ;   in Loop: Header=BB118_4 Depth=1
	v_lshl_add_u64 v[10:11], v[16:17], 4, v[4:5]
	global_load_dwordx4 v[6:9], v[10:11], off
	v_mul_f64 v[42:43], s[46:47], v[52:53]
	v_mul_f64 v[44:45], s[44:45], v[52:53]
	v_fma_f64 v[42:43], s[44:45], v[50:51], -v[42:43]
	v_fmac_f64_e32 v[44:45], s[46:47], v[50:51]
	s_waitcnt vmcnt(0)
	v_add_f64 v[6:7], v[6:7], v[42:43]
	v_add_f64 v[8:9], v[44:45], v[8:9]
	global_store_dwordx4 v[10:11], v[6:9], off
.LBB118_61:                             ;   in Loop: Header=BB118_4 Depth=1
	s_or_b64 exec, exec, s[4:5]
	s_and_b64 s[10:11], s[6:7], vcc
	s_and_saveexec_b64 s[4:5], s[10:11]
	s_cbranch_execz .LBB118_3
; %bb.62:                               ;   in Loop: Header=BB118_4 Depth=1
	v_lshl_add_u64 v[8:9], v[24:25], 4, v[4:5]
	global_load_dwordx4 v[4:7], v[8:9], off
	v_mul_f64 v[10:11], s[46:47], v[46:47]
	v_mul_f64 v[42:43], s[44:45], v[46:47]
	v_fma_f64 v[10:11], s[44:45], v[48:49], -v[10:11]
	v_fmac_f64_e32 v[42:43], s[46:47], v[48:49]
	s_waitcnt vmcnt(0)
	v_add_f64 v[4:5], v[4:5], v[10:11]
	v_add_f64 v[6:7], v[42:43], v[6:7]
	global_store_dwordx4 v[8:9], v[4:7], off
	s_branch .LBB118_3
.LBB118_63:
	s_endpgm
	.section	.rodata,"a",@progbits
	.p2align	6, 0x0
	.amdhsa_kernel _ZL30rocblas_trmm_outofplace_kernelI19rocblas_complex_numIdELi32ELi2ELb1ELb1ELb1ELb1EPKS1_S2_S1_Ev17rocblas_diagonal_iiT6_lPT7_lllS7_lllPT8_llli
		.amdhsa_group_segment_fixed_size 32768
		.amdhsa_private_segment_fixed_size 0
		.amdhsa_kernarg_size 392
		.amdhsa_user_sgpr_count 2
		.amdhsa_user_sgpr_dispatch_ptr 0
		.amdhsa_user_sgpr_queue_ptr 0
		.amdhsa_user_sgpr_kernarg_segment_ptr 1
		.amdhsa_user_sgpr_dispatch_id 0
		.amdhsa_user_sgpr_kernarg_preload_length 0
		.amdhsa_user_sgpr_kernarg_preload_offset 0
		.amdhsa_user_sgpr_private_segment_size 0
		.amdhsa_uses_dynamic_stack 0
		.amdhsa_enable_private_segment 0
		.amdhsa_system_sgpr_workgroup_id_x 1
		.amdhsa_system_sgpr_workgroup_id_y 1
		.amdhsa_system_sgpr_workgroup_id_z 1
		.amdhsa_system_sgpr_workgroup_info 0
		.amdhsa_system_vgpr_workitem_id 1
		.amdhsa_next_free_vgpr 94
		.amdhsa_next_free_sgpr 58
		.amdhsa_accum_offset 96
		.amdhsa_reserve_vcc 1
		.amdhsa_float_round_mode_32 0
		.amdhsa_float_round_mode_16_64 0
		.amdhsa_float_denorm_mode_32 3
		.amdhsa_float_denorm_mode_16_64 3
		.amdhsa_dx10_clamp 1
		.amdhsa_ieee_mode 1
		.amdhsa_fp16_overflow 0
		.amdhsa_tg_split 0
		.amdhsa_exception_fp_ieee_invalid_op 0
		.amdhsa_exception_fp_denorm_src 0
		.amdhsa_exception_fp_ieee_div_zero 0
		.amdhsa_exception_fp_ieee_overflow 0
		.amdhsa_exception_fp_ieee_underflow 0
		.amdhsa_exception_fp_ieee_inexact 0
		.amdhsa_exception_int_div_zero 0
	.end_amdhsa_kernel
	.section	.text._ZL30rocblas_trmm_outofplace_kernelI19rocblas_complex_numIdELi32ELi2ELb1ELb1ELb1ELb1EPKS1_S2_S1_Ev17rocblas_diagonal_iiT6_lPT7_lllS7_lllPT8_llli,"axG",@progbits,_ZL30rocblas_trmm_outofplace_kernelI19rocblas_complex_numIdELi32ELi2ELb1ELb1ELb1ELb1EPKS1_S2_S1_Ev17rocblas_diagonal_iiT6_lPT7_lllS7_lllPT8_llli,comdat
.Lfunc_end118:
	.size	_ZL30rocblas_trmm_outofplace_kernelI19rocblas_complex_numIdELi32ELi2ELb1ELb1ELb1ELb1EPKS1_S2_S1_Ev17rocblas_diagonal_iiT6_lPT7_lllS7_lllPT8_llli, .Lfunc_end118-_ZL30rocblas_trmm_outofplace_kernelI19rocblas_complex_numIdELi32ELi2ELb1ELb1ELb1ELb1EPKS1_S2_S1_Ev17rocblas_diagonal_iiT6_lPT7_lllS7_lllPT8_llli
                                        ; -- End function
	.set _ZL30rocblas_trmm_outofplace_kernelI19rocblas_complex_numIdELi32ELi2ELb1ELb1ELb1ELb1EPKS1_S2_S1_Ev17rocblas_diagonal_iiT6_lPT7_lllS7_lllPT8_llli.num_vgpr, 94
	.set _ZL30rocblas_trmm_outofplace_kernelI19rocblas_complex_numIdELi32ELi2ELb1ELb1ELb1ELb1EPKS1_S2_S1_Ev17rocblas_diagonal_iiT6_lPT7_lllS7_lllPT8_llli.num_agpr, 0
	.set _ZL30rocblas_trmm_outofplace_kernelI19rocblas_complex_numIdELi32ELi2ELb1ELb1ELb1ELb1EPKS1_S2_S1_Ev17rocblas_diagonal_iiT6_lPT7_lllS7_lllPT8_llli.numbered_sgpr, 58
	.set _ZL30rocblas_trmm_outofplace_kernelI19rocblas_complex_numIdELi32ELi2ELb1ELb1ELb1ELb1EPKS1_S2_S1_Ev17rocblas_diagonal_iiT6_lPT7_lllS7_lllPT8_llli.num_named_barrier, 0
	.set _ZL30rocblas_trmm_outofplace_kernelI19rocblas_complex_numIdELi32ELi2ELb1ELb1ELb1ELb1EPKS1_S2_S1_Ev17rocblas_diagonal_iiT6_lPT7_lllS7_lllPT8_llli.private_seg_size, 0
	.set _ZL30rocblas_trmm_outofplace_kernelI19rocblas_complex_numIdELi32ELi2ELb1ELb1ELb1ELb1EPKS1_S2_S1_Ev17rocblas_diagonal_iiT6_lPT7_lllS7_lllPT8_llli.uses_vcc, 1
	.set _ZL30rocblas_trmm_outofplace_kernelI19rocblas_complex_numIdELi32ELi2ELb1ELb1ELb1ELb1EPKS1_S2_S1_Ev17rocblas_diagonal_iiT6_lPT7_lllS7_lllPT8_llli.uses_flat_scratch, 0
	.set _ZL30rocblas_trmm_outofplace_kernelI19rocblas_complex_numIdELi32ELi2ELb1ELb1ELb1ELb1EPKS1_S2_S1_Ev17rocblas_diagonal_iiT6_lPT7_lllS7_lllPT8_llli.has_dyn_sized_stack, 0
	.set _ZL30rocblas_trmm_outofplace_kernelI19rocblas_complex_numIdELi32ELi2ELb1ELb1ELb1ELb1EPKS1_S2_S1_Ev17rocblas_diagonal_iiT6_lPT7_lllS7_lllPT8_llli.has_recursion, 0
	.set _ZL30rocblas_trmm_outofplace_kernelI19rocblas_complex_numIdELi32ELi2ELb1ELb1ELb1ELb1EPKS1_S2_S1_Ev17rocblas_diagonal_iiT6_lPT7_lllS7_lllPT8_llli.has_indirect_call, 0
	.section	.AMDGPU.csdata,"",@progbits
; Kernel info:
; codeLenInByte = 9168
; TotalNumSgprs: 64
; NumVgprs: 94
; NumAgprs: 0
; TotalNumVgprs: 94
; ScratchSize: 0
; MemoryBound: 0
; FloatMode: 240
; IeeeMode: 1
; LDSByteSize: 32768 bytes/workgroup (compile time only)
; SGPRBlocks: 7
; VGPRBlocks: 11
; NumSGPRsForWavesPerEU: 64
; NumVGPRsForWavesPerEU: 94
; AccumOffset: 96
; Occupancy: 5
; WaveLimiterHint : 0
; COMPUTE_PGM_RSRC2:SCRATCH_EN: 0
; COMPUTE_PGM_RSRC2:USER_SGPR: 2
; COMPUTE_PGM_RSRC2:TRAP_HANDLER: 0
; COMPUTE_PGM_RSRC2:TGID_X_EN: 1
; COMPUTE_PGM_RSRC2:TGID_Y_EN: 1
; COMPUTE_PGM_RSRC2:TGID_Z_EN: 1
; COMPUTE_PGM_RSRC2:TIDIG_COMP_CNT: 1
; COMPUTE_PGM_RSRC3_GFX90A:ACCUM_OFFSET: 23
; COMPUTE_PGM_RSRC3_GFX90A:TG_SPLIT: 0
	.section	.text._ZL30rocblas_trmm_outofplace_kernelI19rocblas_complex_numIdELi32ELi2ELb1ELb1ELb1ELb1ES1_KS1_S1_Ev17rocblas_diagonal_iiT6_lPT7_lllS6_lllPT8_llli,"axG",@progbits,_ZL30rocblas_trmm_outofplace_kernelI19rocblas_complex_numIdELi32ELi2ELb1ELb1ELb1ELb1ES1_KS1_S1_Ev17rocblas_diagonal_iiT6_lPT7_lllS6_lllPT8_llli,comdat
	.globl	_ZL30rocblas_trmm_outofplace_kernelI19rocblas_complex_numIdELi32ELi2ELb1ELb1ELb1ELb1ES1_KS1_S1_Ev17rocblas_diagonal_iiT6_lPT7_lllS6_lllPT8_llli ; -- Begin function _ZL30rocblas_trmm_outofplace_kernelI19rocblas_complex_numIdELi32ELi2ELb1ELb1ELb1ELb1ES1_KS1_S1_Ev17rocblas_diagonal_iiT6_lPT7_lllS6_lllPT8_llli
	.p2align	8
	.type	_ZL30rocblas_trmm_outofplace_kernelI19rocblas_complex_numIdELi32ELi2ELb1ELb1ELb1ELb1ES1_KS1_S1_Ev17rocblas_diagonal_iiT6_lPT7_lllS6_lllPT8_llli,@function
_ZL30rocblas_trmm_outofplace_kernelI19rocblas_complex_numIdELi32ELi2ELb1ELb1ELb1ELb1ES1_KS1_S1_Ev17rocblas_diagonal_iiT6_lPT7_lllS6_lllPT8_llli: ; @_ZL30rocblas_trmm_outofplace_kernelI19rocblas_complex_numIdELi32ELi2ELb1ELb1ELb1ELb1ES1_KS1_S1_Ev17rocblas_diagonal_iiT6_lPT7_lllS6_lllPT8_llli
; %bb.0:
	s_load_dwordx4 s[24:27], s[0:1], 0x10
	s_waitcnt lgkmcnt(0)
	v_cmp_eq_f64_e64 s[6:7], s[24:25], 0
	v_cmp_eq_f64_e64 s[8:9], s[26:27], 0
	s_and_b64 s[6:7], s[6:7], s[8:9]
	s_and_b64 vcc, exec, s[6:7]
	s_cbranch_vccnz .LBB119_63
; %bb.1:
	s_load_dwordx4 s[28:31], s[0:1], 0x0
	s_waitcnt lgkmcnt(0)
	s_add_i32 s5, s30, -1
	s_ashr_i32 s6, s5, 31
	s_lshr_b32 s6, s6, 27
	s_add_i32 s5, s5, s6
	s_ashr_i32 s31, s5, 5
	s_cmp_gt_i32 s3, s31
	s_cbranch_scc1 .LBB119_63
; %bb.2:
	s_load_dwordx16 s[36:51], s[0:1], 0x28
	s_load_dwordx8 s[16:23], s[0:1], 0x68
	v_and_b32_e32 v14, 0x3ff, v0
	v_bfe_u32 v12, v0, 10, 10
	s_load_dword s52, s[0:1], 0x94
	s_waitcnt lgkmcnt(0)
	s_mul_i32 s5, s43, s4
	s_mul_hi_u32 s7, s42, s4
	s_mul_i32 s6, s42, s4
	s_add_i32 s7, s7, s5
	s_lshl_b64 s[8:9], s[6:7], 4
	s_add_u32 s5, s36, s8
	s_addc_u32 s7, s37, s9
	s_lshl_b64 s[10:11], s[38:39], 4
	s_add_u32 s6, s5, s10
	s_mul_i32 s5, s23, s4
	s_mul_hi_u32 s12, s22, s4
	s_addc_u32 s7, s7, s11
	s_add_i32 s13, s12, s5
	s_mul_i32 s12, s22, s4
	s_lshl_b64 s[12:13], s[12:13], 4
	s_add_u32 s5, s16, s12
	s_addc_u32 s14, s17, s13
	s_lshl_b64 s[12:13], s[18:19], 4
	s_add_u32 s22, s5, s12
	s_addc_u32 s23, s14, s13
	s_lshl_b32 s33, s2, 5
	v_add_u32_e32 v16, s33, v14
	v_mad_u64_u32 v[0:1], s[12:13], s40, v16, 0
	s_cmp_gt_i32 s2, -1
	s_cselect_b64 s[12:13], -1, 0
	s_cmpk_eq_i32 s28, 0x84
	s_cselect_b64 s[34:35], -1, 0
	s_ashr_i32 s39, s29, 31
	s_ashr_i32 s2, s30, 31
	s_add_u32 s42, s29, -16
	s_mul_i32 s5, s51, s4
	s_mul_hi_u32 s14, s50, s4
	s_addc_u32 s43, s39, -1
	s_add_i32 s5, s14, s5
	s_mul_i32 s4, s50, s4
	v_ashrrev_i32_e32 v17, 31, v16
	s_lshl_b64 s[4:5], s[4:5], 4
	s_lshl_b64 s[14:15], s[46:47], 4
	v_mul_lo_u32 v2, s40, v17
	v_mul_lo_u32 v3, s41, v16
	s_add_u32 s4, s4, s14
	v_mov_b32_e32 v13, 0
	v_add3_u32 v1, v1, v2, v3
	s_addc_u32 s5, s5, s15
	v_lshl_add_u64 v[0:1], v[0:1], 4, s[6:7]
	v_lshlrev_b32_e32 v2, 4, v12
	v_mov_b32_e32 v3, v13
	s_add_u32 s4, s44, s4
	v_lshl_add_u64 v[18:19], v[0:1], 0, v[2:3]
	v_lshlrev_b32_e32 v0, 9, v12
	v_lshlrev_b32_e32 v20, 4, v14
	v_add_u32_e32 v24, 16, v16
	v_mov_b32_e32 v21, v13
	s_addc_u32 s5, s45, s5
	s_mov_b32 s38, s29
	v_add_u32_e32 v41, v20, v0
	v_add_u32_e32 v62, 0x4000, v0
	v_cmp_le_i32_e64 s[0:1], s29, v16
	v_cmp_gt_i32_e64 s[18:19], s29, v16
	v_cmp_gt_i32_e64 s[6:7], s29, v24
	v_lshl_add_u64 v[0:1], s[4:5], 0, v[20:21]
	s_mov_b64 s[4:5], 0x100
	s_lshl_b64 s[28:29], s[48:49], 4
	s_lshl_b32 s53, s52, 5
	v_lshl_add_u64 v[32:33], v[0:1], 0, s[4:5]
	s_add_u32 s4, s10, s8
	v_mov_b64_e32 v[36:37], 0x100
	s_addc_u32 s5, s11, s9
	v_lshl_add_u64 v[0:1], v[16:17], 4, v[36:37]
	v_mov_b64_e32 v[4:5], s[4:5]
	v_mul_lo_u32 v6, s40, v1
	v_mul_lo_u32 v7, s41, v0
	v_mad_u64_u32 v[0:1], s[4:5], s40, v0, v[4:5]
	v_add3_u32 v1, v7, v1, v6
	v_sub_co_u32_e32 v26, vcc, v16, v12
	v_lshl_add_u64 v[0:1], v[0:1], 0, v[2:3]
	v_add_u32_e32 v63, v62, v20
	v_lshl_add_u64 v[22:23], v[16:17], 0, 16
	v_subbrev_co_u32_e32 v27, vcc, 0, v17, vcc
	v_lshl_add_u64 v[38:39], s[36:37], 0, v[0:1]
	v_cndmask_b32_e64 v0, 0, 1, s[12:13]
	v_mov_b32_e32 v15, v13
	v_cmp_le_i64_e64 s[16:17], s[38:39], v[22:23]
	v_add_u32_e32 v64, 0x100, v63
	v_add_u32_e32 v65, 0x2000, v63
	;; [unrolled: 1-line block ×3, first 2 shown]
	v_ashrrev_i32_e32 v25, 31, v24
	v_lshl_add_u64 v[28:29], v[26:27], 0, 16
	v_lshl_add_u64 v[30:31], v[26:27], 0, -16
	v_lshl_add_u32 v34, s3, 5, v12
	v_cmp_ne_u32_e64 s[8:9], 1, v0
	v_mov_b32_e32 v68, v13
	v_mov_b32_e32 v69, v13
	v_mov_b32_e32 v70, v13
	v_mov_b32_e32 v71, v13
	v_mov_b32_e32 v1, 0x3ff00000
	v_mov_b32_e32 v0, v13
	v_mov_b32_e32 v2, v13
	s_branch .LBB119_4
.LBB119_3:                              ;   in Loop: Header=BB119_4 Depth=1
	s_or_b64 exec, exec, s[4:5]
	s_add_i32 s3, s52, s3
	s_cmp_le_i32 s3, s31
	v_add_u32_e32 v34, s53, v34
	s_cbranch_scc0 .LBB119_63
.LBB119_4:                              ; =>This Loop Header: Depth=1
                                        ;     Child Loop BB119_7 Depth 2
	v_lshl_add_u32 v40, s3, 5, v12
	v_ashrrev_i32_e32 v21, 31, v40
	v_mov_b64_e32 v[58:59], 0
	s_and_b64 vcc, exec, s[8:9]
	v_mov_b64_e32 v[60:61], 0
	v_mov_b64_e32 v[54:55], 0
	;; [unrolled: 1-line block ×7, first 2 shown]
	s_cbranch_vccnz .LBB119_55
; %bb.5:                                ;   in Loop: Header=BB119_4 Depth=1
	v_ashrrev_i32_e32 v35, 31, v34
	v_mad_u64_u32 v[42:43], s[4:5], s28, v34, v[32:33]
	v_mul_lo_u32 v4, s29, v34
	v_mul_lo_u32 v5, s28, v35
	v_add3_u32 v43, v4, v43, v5
	v_lshl_add_u64 v[4:5], v[34:35], 4, v[36:37]
	v_mul_lo_u32 v5, s48, v5
	v_mul_lo_u32 v6, s49, v4
	v_mad_u64_u32 v[44:45], s[4:5], s48, v4, v[32:33]
	v_add3_u32 v45, v6, v45, v5
	v_mov_b32_e32 v5, s2
	v_sub_co_u32_e32 v4, vcc, s30, v40
	s_mov_b64 s[36:37], 0
	s_nop 0
	v_subb_co_u32_e32 v5, vcc, v5, v21, vcc
	v_cmp_lt_i64_e32 vcc, 0, v[4:5]
	v_cmp_lt_i64_e64 s[10:11], 16, v[4:5]
	v_mov_b64_e32 v[46:47], 0
	s_mov_b64 s[40:41], 0
	v_mov_b64_e32 v[48:49], 0
	v_mov_b64_e32 v[52:53], 0
	v_mov_b64_e32 v[50:51], 0
	v_mov_b64_e32 v[56:57], 0
	v_mov_b64_e32 v[54:55], 0
	v_mov_b64_e32 v[60:61], 0
	v_mov_b64_e32 v[58:59], 0
	s_branch .LBB119_7
.LBB119_6:                              ;   in Loop: Header=BB119_7 Depth=2
	s_or_b64 exec, exec, s[4:5]
	s_waitcnt lgkmcnt(0)
	s_barrier
	ds_read_b128 v[72:75], v20
	ds_read_b128 v[76:79], v62
	ds_read_b128 v[80:83], v62 offset:16
	ds_read_b128 v[8:11], v62 offset:32
	;; [unrolled: 1-line block ×4, first 2 shown]
	s_waitcnt lgkmcnt(4)
	v_mul_f64 v[88:89], v[78:79], v[74:75]
	v_fma_f64 v[88:89], v[76:77], v[72:73], -v[88:89]
	v_mul_f64 v[90:91], v[76:77], v[74:75]
	v_fmac_f64_e32 v[90:91], v[78:79], v[72:73]
	v_add_f64 v[88:89], v[58:59], v[88:89]
	s_waitcnt lgkmcnt(0)
	v_mul_f64 v[58:59], v[78:79], v[86:87]
	v_add_f64 v[90:91], v[90:91], v[60:61]
	v_fma_f64 v[92:93], v[76:77], v[84:85], -v[58:59]
	ds_read_b128 v[58:61], v62 offset:8192
	v_mul_f64 v[76:77], v[76:77], v[86:87]
	v_fmac_f64_e32 v[76:77], v[78:79], v[84:85]
	v_add_f64 v[78:79], v[54:55], v[92:93]
	v_add_f64 v[76:77], v[76:77], v[56:57]
	ds_read_b128 v[54:57], v62 offset:8208
	s_waitcnt lgkmcnt(1)
	v_mul_f64 v[92:93], v[60:61], v[74:75]
	v_fma_f64 v[92:93], v[58:59], v[72:73], -v[92:93]
	v_mul_f64 v[74:75], v[58:59], v[74:75]
	v_fmac_f64_e32 v[74:75], v[60:61], v[72:73]
	v_add_f64 v[72:73], v[50:51], v[92:93]
	v_mul_f64 v[50:51], v[60:61], v[86:87]
	v_add_f64 v[74:75], v[74:75], v[52:53]
	v_fma_f64 v[92:93], v[58:59], v[84:85], -v[50:51]
	v_mul_f64 v[58:59], v[58:59], v[86:87]
	ds_read_b128 v[50:53], v20 offset:512
	v_fmac_f64_e32 v[58:59], v[60:61], v[84:85]
	v_add_f64 v[60:61], v[48:49], v[92:93]
	v_add_f64 v[58:59], v[58:59], v[46:47]
	ds_read_b128 v[46:49], v20 offset:768
	s_waitcnt lgkmcnt(1)
	v_mul_f64 v[84:85], v[82:83], v[52:53]
	v_fma_f64 v[84:85], v[80:81], v[50:51], -v[84:85]
	v_add_f64 v[84:85], v[88:89], v[84:85]
	v_mul_f64 v[86:87], v[80:81], v[52:53]
	s_waitcnt lgkmcnt(0)
	v_mul_f64 v[88:89], v[82:83], v[48:49]
	v_fma_f64 v[88:89], v[80:81], v[46:47], -v[88:89]
	v_mul_f64 v[80:81], v[80:81], v[48:49]
	v_fmac_f64_e32 v[80:81], v[82:83], v[46:47]
	v_add_f64 v[76:77], v[80:81], v[76:77]
	v_mul_f64 v[80:81], v[56:57], v[52:53]
	v_mul_f64 v[52:53], v[54:55], v[52:53]
	v_fmac_f64_e32 v[86:87], v[82:83], v[50:51]
	v_fma_f64 v[80:81], v[54:55], v[50:51], -v[80:81]
	v_fmac_f64_e32 v[52:53], v[56:57], v[50:51]
	v_mul_f64 v[50:51], v[56:57], v[48:49]
	v_add_f64 v[74:75], v[52:53], v[74:75]
	v_fma_f64 v[52:53], v[54:55], v[46:47], -v[50:51]
	v_mul_f64 v[54:55], v[54:55], v[48:49]
	ds_read_b128 v[48:51], v20 offset:1024
	v_fmac_f64_e32 v[54:55], v[56:57], v[46:47]
	v_add_f64 v[72:73], v[72:73], v[80:81]
	v_add_f64 v[60:61], v[60:61], v[52:53]
	v_add_f64 v[80:81], v[54:55], v[58:59]
	ds_read_b128 v[52:55], v20 offset:1280
	s_waitcnt lgkmcnt(1)
	v_mul_f64 v[46:47], v[10:11], v[50:51]
	v_mul_f64 v[56:57], v[8:9], v[50:51]
	v_add_f64 v[86:87], v[86:87], v[90:91]
	v_fma_f64 v[46:47], v[8:9], v[48:49], -v[46:47]
	v_fmac_f64_e32 v[56:57], v[10:11], v[48:49]
	v_add_f64 v[82:83], v[84:85], v[46:47]
	v_add_f64 v[84:85], v[56:57], v[86:87]
	ds_read_b128 v[56:59], v62 offset:8224
	s_waitcnt lgkmcnt(1)
	v_mul_f64 v[46:47], v[10:11], v[54:55]
	v_fma_f64 v[46:47], v[8:9], v[52:53], -v[46:47]
	v_mul_f64 v[8:9], v[8:9], v[54:55]
	v_add_f64 v[78:79], v[78:79], v[88:89]
	v_fmac_f64_e32 v[8:9], v[10:11], v[52:53]
	v_add_f64 v[78:79], v[78:79], v[46:47]
	v_add_f64 v[76:77], v[8:9], v[76:77]
	ds_read_b128 v[8:11], v62 offset:8240
	s_waitcnt lgkmcnt(1)
	v_mul_f64 v[46:47], v[58:59], v[50:51]
	v_fma_f64 v[46:47], v[56:57], v[48:49], -v[46:47]
	v_mul_f64 v[50:51], v[56:57], v[50:51]
	v_fmac_f64_e32 v[50:51], v[58:59], v[48:49]
	v_add_f64 v[72:73], v[72:73], v[46:47]
	v_mul_f64 v[46:47], v[58:59], v[54:55]
	v_add_f64 v[74:75], v[50:51], v[74:75]
	v_fma_f64 v[50:51], v[56:57], v[52:53], -v[46:47]
	v_mul_f64 v[54:55], v[56:57], v[54:55]
	ds_read_b128 v[46:49], v20 offset:1536
	v_fmac_f64_e32 v[54:55], v[58:59], v[52:53]
	v_add_f64 v[56:57], v[60:61], v[50:51]
	ds_read_b128 v[50:53], v20 offset:1792
	v_add_f64 v[54:55], v[54:55], v[80:81]
	s_waitcnt lgkmcnt(1)
	v_mul_f64 v[58:59], v[6:7], v[48:49]
	v_fma_f64 v[58:59], v[4:5], v[46:47], -v[58:59]
	v_mul_f64 v[60:61], v[4:5], v[48:49]
	s_waitcnt lgkmcnt(0)
	v_mul_f64 v[80:81], v[6:7], v[52:53]
	v_fma_f64 v[80:81], v[4:5], v[50:51], -v[80:81]
	v_mul_f64 v[4:5], v[4:5], v[52:53]
	v_fmac_f64_e32 v[4:5], v[6:7], v[50:51]
	v_add_f64 v[76:77], v[4:5], v[76:77]
	v_mul_f64 v[4:5], v[10:11], v[48:49]
	v_fmac_f64_e32 v[60:61], v[6:7], v[46:47]
	v_fma_f64 v[4:5], v[8:9], v[46:47], -v[4:5]
	v_mul_f64 v[6:7], v[8:9], v[48:49]
	v_fmac_f64_e32 v[6:7], v[10:11], v[46:47]
	v_add_f64 v[72:73], v[72:73], v[4:5]
	v_mul_f64 v[4:5], v[10:11], v[52:53]
	v_mul_f64 v[48:49], v[8:9], v[52:53]
	v_add_f64 v[74:75], v[6:7], v[74:75]
	v_fma_f64 v[46:47], v[8:9], v[50:51], -v[4:5]
	v_fmac_f64_e32 v[48:49], v[10:11], v[50:51]
	ds_read_b128 v[4:7], v62 offset:64
	ds_read_b128 v[8:11], v20 offset:2048
	v_add_f64 v[58:59], v[82:83], v[58:59]
	v_add_f64 v[78:79], v[78:79], v[80:81]
	;; [unrolled: 1-line block ×4, first 2 shown]
	ds_read_b128 v[46:49], v20 offset:2304
	ds_read_b128 v[50:53], v62 offset:80
	s_waitcnt lgkmcnt(2)
	v_mul_f64 v[54:55], v[6:7], v[10:11]
	v_fma_f64 v[54:55], v[4:5], v[8:9], -v[54:55]
	v_mul_f64 v[56:57], v[4:5], v[10:11]
	v_add_f64 v[60:61], v[60:61], v[84:85]
	v_fmac_f64_e32 v[56:57], v[6:7], v[8:9]
	v_add_f64 v[58:59], v[58:59], v[54:55]
	s_waitcnt lgkmcnt(1)
	v_mul_f64 v[54:55], v[6:7], v[48:49]
	v_add_f64 v[60:61], v[56:57], v[60:61]
	v_fma_f64 v[84:85], v[4:5], v[46:47], -v[54:55]
	ds_read_b128 v[54:57], v62 offset:8256
	v_mul_f64 v[4:5], v[4:5], v[48:49]
	v_fmac_f64_e32 v[4:5], v[6:7], v[46:47]
	v_add_f64 v[78:79], v[78:79], v[84:85]
	v_add_f64 v[76:77], v[4:5], v[76:77]
	ds_read_b128 v[4:7], v62 offset:8272
	s_waitcnt lgkmcnt(1)
	v_mul_f64 v[84:85], v[56:57], v[10:11]
	v_mul_f64 v[10:11], v[54:55], v[10:11]
	v_fma_f64 v[84:85], v[54:55], v[8:9], -v[84:85]
	v_fmac_f64_e32 v[10:11], v[56:57], v[8:9]
	v_mul_f64 v[8:9], v[56:57], v[48:49]
	v_add_f64 v[72:73], v[72:73], v[84:85]
	v_add_f64 v[74:75], v[10:11], v[74:75]
	v_fma_f64 v[84:85], v[54:55], v[46:47], -v[8:9]
	v_mul_f64 v[48:49], v[54:55], v[48:49]
	ds_read_b128 v[8:11], v20 offset:2560
	v_fmac_f64_e32 v[48:49], v[56:57], v[46:47]
	v_add_f64 v[56:57], v[48:49], v[82:83]
	ds_read_b128 v[46:49], v20 offset:2816
	v_add_f64 v[54:55], v[80:81], v[84:85]
	s_waitcnt lgkmcnt(1)
	v_mul_f64 v[80:81], v[52:53], v[10:11]
	v_fma_f64 v[80:81], v[50:51], v[8:9], -v[80:81]
	v_add_f64 v[58:59], v[58:59], v[80:81]
	s_waitcnt lgkmcnt(0)
	v_mul_f64 v[80:81], v[52:53], v[48:49]
	v_mul_f64 v[82:83], v[50:51], v[10:11]
	v_fma_f64 v[80:81], v[50:51], v[46:47], -v[80:81]
	v_mul_f64 v[50:51], v[50:51], v[48:49]
	v_fmac_f64_e32 v[50:51], v[52:53], v[46:47]
	v_add_f64 v[76:77], v[50:51], v[76:77]
	v_mul_f64 v[50:51], v[6:7], v[10:11]
	v_mul_f64 v[10:11], v[4:5], v[10:11]
	v_fmac_f64_e32 v[82:83], v[52:53], v[8:9]
	v_fma_f64 v[50:51], v[4:5], v[8:9], -v[50:51]
	v_fmac_f64_e32 v[10:11], v[6:7], v[8:9]
	v_mul_f64 v[8:9], v[6:7], v[48:49]
	v_mul_f64 v[48:49], v[4:5], v[48:49]
	v_add_f64 v[72:73], v[72:73], v[50:51]
	v_add_f64 v[74:75], v[10:11], v[74:75]
	v_fma_f64 v[50:51], v[4:5], v[46:47], -v[8:9]
	v_fmac_f64_e32 v[48:49], v[6:7], v[46:47]
	ds_read_b128 v[4:7], v62 offset:96
	ds_read_b128 v[8:11], v20 offset:3072
	v_add_f64 v[60:61], v[82:83], v[60:61]
	v_add_f64 v[78:79], v[78:79], v[80:81]
	v_add_f64 v[80:81], v[54:55], v[50:51]
	v_add_f64 v[82:83], v[48:49], v[56:57]
	ds_read_b128 v[46:49], v20 offset:3328
	ds_read_b128 v[50:53], v62 offset:112
	s_waitcnt lgkmcnt(2)
	v_mul_f64 v[54:55], v[6:7], v[10:11]
	v_fma_f64 v[54:55], v[4:5], v[8:9], -v[54:55]
	v_mul_f64 v[56:57], v[4:5], v[10:11]
	v_fmac_f64_e32 v[56:57], v[6:7], v[8:9]
	v_add_f64 v[58:59], v[58:59], v[54:55]
	s_waitcnt lgkmcnt(1)
	v_mul_f64 v[54:55], v[6:7], v[48:49]
	v_add_f64 v[60:61], v[56:57], v[60:61]
	v_fma_f64 v[84:85], v[4:5], v[46:47], -v[54:55]
	ds_read_b128 v[54:57], v62 offset:8288
	v_mul_f64 v[4:5], v[4:5], v[48:49]
	v_fmac_f64_e32 v[4:5], v[6:7], v[46:47]
	v_add_f64 v[78:79], v[78:79], v[84:85]
	v_add_f64 v[76:77], v[4:5], v[76:77]
	ds_read_b128 v[4:7], v62 offset:8304
	s_waitcnt lgkmcnt(1)
	v_mul_f64 v[84:85], v[56:57], v[10:11]
	v_mul_f64 v[10:11], v[54:55], v[10:11]
	v_fma_f64 v[84:85], v[54:55], v[8:9], -v[84:85]
	v_fmac_f64_e32 v[10:11], v[56:57], v[8:9]
	v_mul_f64 v[8:9], v[56:57], v[48:49]
	v_add_f64 v[72:73], v[72:73], v[84:85]
	v_add_f64 v[74:75], v[10:11], v[74:75]
	v_fma_f64 v[84:85], v[54:55], v[46:47], -v[8:9]
	v_mul_f64 v[48:49], v[54:55], v[48:49]
	ds_read_b128 v[8:11], v20 offset:3584
	v_fmac_f64_e32 v[48:49], v[56:57], v[46:47]
	v_add_f64 v[56:57], v[48:49], v[82:83]
	ds_read_b128 v[46:49], v20 offset:3840
	v_add_f64 v[54:55], v[80:81], v[84:85]
	s_waitcnt lgkmcnt(1)
	v_mul_f64 v[80:81], v[52:53], v[10:11]
	v_fma_f64 v[80:81], v[50:51], v[8:9], -v[80:81]
	v_add_f64 v[58:59], v[58:59], v[80:81]
	s_waitcnt lgkmcnt(0)
	v_mul_f64 v[80:81], v[52:53], v[48:49]
	v_mul_f64 v[82:83], v[50:51], v[10:11]
	v_fma_f64 v[80:81], v[50:51], v[46:47], -v[80:81]
	v_mul_f64 v[50:51], v[50:51], v[48:49]
	v_fmac_f64_e32 v[50:51], v[52:53], v[46:47]
	v_add_f64 v[76:77], v[50:51], v[76:77]
	v_mul_f64 v[50:51], v[6:7], v[10:11]
	v_mul_f64 v[10:11], v[4:5], v[10:11]
	v_fmac_f64_e32 v[82:83], v[52:53], v[8:9]
	v_fma_f64 v[50:51], v[4:5], v[8:9], -v[50:51]
	v_fmac_f64_e32 v[10:11], v[6:7], v[8:9]
	v_mul_f64 v[8:9], v[6:7], v[48:49]
	v_mul_f64 v[48:49], v[4:5], v[48:49]
	v_add_f64 v[72:73], v[72:73], v[50:51]
	v_add_f64 v[74:75], v[10:11], v[74:75]
	v_fma_f64 v[50:51], v[4:5], v[46:47], -v[8:9]
	v_fmac_f64_e32 v[48:49], v[6:7], v[46:47]
	ds_read_b128 v[4:7], v62 offset:128
	ds_read_b128 v[8:11], v20 offset:4096
	v_add_f64 v[60:61], v[82:83], v[60:61]
	v_add_f64 v[78:79], v[78:79], v[80:81]
	v_add_f64 v[80:81], v[54:55], v[50:51]
	v_add_f64 v[82:83], v[48:49], v[56:57]
	ds_read_b128 v[46:49], v20 offset:4352
	ds_read_b128 v[50:53], v62 offset:144
	s_waitcnt lgkmcnt(2)
	v_mul_f64 v[54:55], v[6:7], v[10:11]
	v_fma_f64 v[54:55], v[4:5], v[8:9], -v[54:55]
	v_mul_f64 v[56:57], v[4:5], v[10:11]
	;; [unrolled: 61-line block ×13, first 2 shown]
	v_fmac_f64_e32 v[56:57], v[6:7], v[8:9]
	v_add_f64 v[58:59], v[58:59], v[54:55]
	s_waitcnt lgkmcnt(1)
	v_mul_f64 v[54:55], v[6:7], v[48:49]
	v_add_f64 v[60:61], v[56:57], v[60:61]
	v_fma_f64 v[84:85], v[4:5], v[46:47], -v[54:55]
	ds_read_b128 v[54:57], v62 offset:8672
	v_mul_f64 v[4:5], v[4:5], v[48:49]
	v_fmac_f64_e32 v[4:5], v[6:7], v[46:47]
	v_add_f64 v[78:79], v[78:79], v[84:85]
	v_add_f64 v[76:77], v[4:5], v[76:77]
	ds_read_b128 v[4:7], v62 offset:8688
	s_waitcnt lgkmcnt(1)
	v_mul_f64 v[84:85], v[56:57], v[10:11]
	v_mul_f64 v[10:11], v[54:55], v[10:11]
	v_fma_f64 v[84:85], v[54:55], v[8:9], -v[84:85]
	v_fmac_f64_e32 v[10:11], v[56:57], v[8:9]
	v_mul_f64 v[8:9], v[56:57], v[48:49]
	v_add_f64 v[72:73], v[72:73], v[84:85]
	v_add_f64 v[74:75], v[10:11], v[74:75]
	v_fma_f64 v[84:85], v[54:55], v[46:47], -v[8:9]
	v_mul_f64 v[48:49], v[54:55], v[48:49]
	ds_read_b128 v[8:11], v20 offset:15872
	v_fmac_f64_e32 v[48:49], v[56:57], v[46:47]
	v_add_f64 v[82:83], v[48:49], v[82:83]
	ds_read_b128 v[46:49], v20 offset:16128
	s_add_u32 s40, s40, 32
	s_waitcnt lgkmcnt(1)
	v_mul_f64 v[54:55], v[52:53], v[10:11]
	v_fma_f64 v[54:55], v[50:51], v[8:9], -v[54:55]
	v_add_f64 v[58:59], v[58:59], v[54:55]
	s_waitcnt lgkmcnt(0)
	v_mul_f64 v[54:55], v[52:53], v[48:49]
	v_mul_f64 v[56:57], v[50:51], v[10:11]
	v_fma_f64 v[54:55], v[50:51], v[46:47], -v[54:55]
	v_mul_f64 v[50:51], v[50:51], v[48:49]
	v_fmac_f64_e32 v[56:57], v[52:53], v[8:9]
	v_fmac_f64_e32 v[50:51], v[52:53], v[46:47]
	v_add_f64 v[60:61], v[56:57], v[60:61]
	v_add_f64 v[56:57], v[50:51], v[76:77]
	v_mul_f64 v[50:51], v[6:7], v[10:11]
	v_mul_f64 v[10:11], v[4:5], v[10:11]
	v_fma_f64 v[50:51], v[4:5], v[8:9], -v[50:51]
	v_fmac_f64_e32 v[10:11], v[6:7], v[8:9]
	v_mul_f64 v[8:9], v[6:7], v[48:49]
	s_addc_u32 s41, s41, 0
	s_sub_i32 s4, s40, 32
	v_fma_f64 v[8:9], v[4:5], v[46:47], -v[8:9]
	v_mul_f64 v[4:5], v[4:5], v[48:49]
	s_add_u32 s36, s36, 0x200
	v_add_f64 v[80:81], v[80:81], v[84:85]
	v_fmac_f64_e32 v[4:5], v[6:7], v[46:47]
	s_addc_u32 s37, s37, 0
	v_add_f64 v[54:55], v[78:79], v[54:55]
	v_add_f64 v[50:51], v[72:73], v[50:51]
	;; [unrolled: 1-line block ×5, first 2 shown]
	s_cmp_ge_i32 s4, s33
	s_barrier
	s_cbranch_scc1 .LBB119_55
.LBB119_7:                              ;   Parent Loop BB119_4 Depth=1
                                        ; =>  This Inner Loop Header: Depth=2
	v_lshl_add_u64 v[8:9], v[12:13], 0, s[40:41]
	v_cmp_le_i64_e64 s[14:15], s[38:39], v[8:9]
	v_cmp_eq_u64_e64 s[4:5], s[40:41], v[26:27]
	v_cmp_gt_i64_e64 s[12:13], v[8:9], v[16:17]
	s_and_b64 s[46:47], s[34:35], s[4:5]
	s_or_b64 s[4:5], s[14:15], s[12:13]
	s_or_b64 s[4:5], s[4:5], s[46:47]
	v_lshl_add_u64 v[4:5], v[18:19], 0, s[36:37]
	s_nor_b64 s[4:5], s[0:1], s[4:5]
	s_and_saveexec_b64 s[44:45], s[4:5]
	s_xor_b64 s[4:5], exec, s[44:45]
	s_cbranch_execz .LBB119_9
; %bb.8:                                ;   in Loop: Header=BB119_7 Depth=2
	global_load_dwordx4 v[72:75], v[4:5], off
	s_waitcnt vmcnt(0)
	v_xor_b32_e32 v75, 0x80000000, v75
	ds_write_b128 v41, v[72:75]
.LBB119_9:                              ;   in Loop: Header=BB119_7 Depth=2
	s_or_saveexec_b64 s[4:5], s[4:5]
	s_xor_b64 s[44:45], s[46:47], -1
	s_xor_b64 exec, exec, s[4:5]
	s_cbranch_execz .LBB119_15
; %bb.10:                               ;   in Loop: Header=BB119_7 Depth=2
	s_and_saveexec_b64 s[50:51], s[44:45]
	s_xor_b64 s[50:51], exec, s[50:51]
; %bb.11:                               ;   in Loop: Header=BB119_7 Depth=2
	ds_write_b128 v41, v[68:71]
; %bb.12:                               ;   in Loop: Header=BB119_7 Depth=2
	s_andn2_saveexec_b64 s[50:51], s[50:51]
; %bb.13:                               ;   in Loop: Header=BB119_7 Depth=2
	ds_write_b128 v41, v[0:3]
; %bb.14:                               ;   in Loop: Header=BB119_7 Depth=2
	s_or_b64 exec, exec, s[50:51]
.LBB119_15:                             ;   in Loop: Header=BB119_7 Depth=2
	s_or_b64 exec, exec, s[4:5]
	v_cmp_eq_u64_e64 s[4:5], s[40:41], v[28:29]
	s_and_b64 s[50:51], s[34:35], s[4:5]
	v_cmp_lt_i64_e64 s[4:5], v[22:23], v[8:9]
	s_or_b64 s[4:5], s[14:15], s[4:5]
	s_or_b64 s[4:5], s[4:5], s[50:51]
	s_nor_b64 s[4:5], s[16:17], s[4:5]
	v_lshl_add_u64 v[6:7], v[38:39], 0, s[36:37]
	s_and_saveexec_b64 s[14:15], s[4:5]
	s_xor_b64 s[4:5], exec, s[14:15]
	s_cbranch_execz .LBB119_17
; %bb.16:                               ;   in Loop: Header=BB119_7 Depth=2
	global_load_dwordx4 v[72:75], v[6:7], off
	s_waitcnt vmcnt(0)
	v_xor_b32_e32 v75, 0x80000000, v75
	ds_write_b128 v41, v[72:75] offset:256
.LBB119_17:                             ;   in Loop: Header=BB119_7 Depth=2
	s_andn2_saveexec_b64 s[4:5], s[4:5]
	s_cbranch_execz .LBB119_23
; %bb.18:                               ;   in Loop: Header=BB119_7 Depth=2
	s_xor_b64 s[14:15], s[50:51], -1
	s_and_saveexec_b64 s[50:51], s[14:15]
	s_xor_b64 s[14:15], exec, s[50:51]
; %bb.19:                               ;   in Loop: Header=BB119_7 Depth=2
	ds_write_b128 v41, v[68:71] offset:256
; %bb.20:                               ;   in Loop: Header=BB119_7 Depth=2
	s_andn2_saveexec_b64 s[14:15], s[14:15]
; %bb.21:                               ;   in Loop: Header=BB119_7 Depth=2
	ds_write_b128 v41, v[0:3] offset:256
; %bb.22:                               ;   in Loop: Header=BB119_7 Depth=2
	s_or_b64 exec, exec, s[14:15]
.LBB119_23:                             ;   in Loop: Header=BB119_7 Depth=2
	s_or_b64 exec, exec, s[4:5]
	v_lshl_add_u64 v[8:9], v[8:9], 0, 16
	v_cmp_eq_u64_e64 s[4:5], s[40:41], v[30:31]
	v_cmp_le_i64_e64 s[14:15], s[38:39], v[8:9]
	s_and_b64 s[50:51], s[34:35], s[4:5]
	v_cmp_gt_i64_e64 s[4:5], v[8:9], v[16:17]
	s_or_b64 s[4:5], s[14:15], s[4:5]
	s_or_b64 s[4:5], s[4:5], s[50:51]
	s_nor_b64 s[4:5], s[0:1], s[4:5]
	s_and_saveexec_b64 s[54:55], s[4:5]
	s_xor_b64 s[4:5], exec, s[54:55]
	s_cbranch_execz .LBB119_25
; %bb.24:                               ;   in Loop: Header=BB119_7 Depth=2
	global_load_dwordx4 v[8:11], v[4:5], off offset:256
	s_waitcnt vmcnt(0)
	v_xor_b32_e32 v11, 0x80000000, v11
	ds_write_b128 v41, v[8:11] offset:8192
.LBB119_25:                             ;   in Loop: Header=BB119_7 Depth=2
	s_andn2_saveexec_b64 s[4:5], s[4:5]
	s_cbranch_execz .LBB119_31
; %bb.26:                               ;   in Loop: Header=BB119_7 Depth=2
	s_xor_b64 s[50:51], s[50:51], -1
	s_and_saveexec_b64 s[54:55], s[50:51]
	s_xor_b64 s[50:51], exec, s[54:55]
; %bb.27:                               ;   in Loop: Header=BB119_7 Depth=2
	ds_write_b128 v41, v[68:71] offset:8192
; %bb.28:                               ;   in Loop: Header=BB119_7 Depth=2
	s_andn2_saveexec_b64 s[50:51], s[50:51]
; %bb.29:                               ;   in Loop: Header=BB119_7 Depth=2
	ds_write_b128 v41, v[0:3] offset:8192
; %bb.30:                               ;   in Loop: Header=BB119_7 Depth=2
	s_or_b64 exec, exec, s[50:51]
.LBB119_31:                             ;   in Loop: Header=BB119_7 Depth=2
	s_or_b64 exec, exec, s[4:5]
	s_or_b64 s[4:5], s[14:15], s[12:13]
	s_or_b64 s[4:5], s[4:5], s[46:47]
	s_nor_b64 s[4:5], s[16:17], s[4:5]
	s_and_saveexec_b64 s[12:13], s[4:5]
	s_xor_b64 s[4:5], exec, s[12:13]
	s_cbranch_execz .LBB119_33
; %bb.32:                               ;   in Loop: Header=BB119_7 Depth=2
	global_load_dwordx4 v[4:7], v[6:7], off offset:256
	s_waitcnt vmcnt(0)
	v_xor_b32_e32 v7, 0x80000000, v7
	ds_write_b128 v41, v[4:7] offset:8448
.LBB119_33:                             ;   in Loop: Header=BB119_7 Depth=2
	s_andn2_saveexec_b64 s[4:5], s[4:5]
	s_cbranch_execz .LBB119_39
; %bb.34:                               ;   in Loop: Header=BB119_7 Depth=2
	s_and_saveexec_b64 s[12:13], s[44:45]
	s_xor_b64 s[12:13], exec, s[12:13]
; %bb.35:                               ;   in Loop: Header=BB119_7 Depth=2
	ds_write_b128 v41, v[68:71] offset:8448
; %bb.36:                               ;   in Loop: Header=BB119_7 Depth=2
	s_andn2_saveexec_b64 s[12:13], s[12:13]
; %bb.37:                               ;   in Loop: Header=BB119_7 Depth=2
	ds_write_b128 v41, v[0:3] offset:8448
; %bb.38:                               ;   in Loop: Header=BB119_7 Depth=2
	s_or_b64 exec, exec, s[12:13]
.LBB119_39:                             ;   in Loop: Header=BB119_7 Depth=2
	s_or_b64 exec, exec, s[4:5]
	v_lshl_add_u64 v[6:7], v[14:15], 0, s[40:41]
	v_cmp_gt_i64_e64 s[12:13], s[38:39], v[6:7]
	s_and_b64 s[4:5], vcc, s[12:13]
	s_xor_b64 s[4:5], s[4:5], -1
	s_and_saveexec_b64 s[14:15], s[4:5]
	s_xor_b64 s[4:5], exec, s[14:15]
; %bb.40:                               ;   in Loop: Header=BB119_7 Depth=2
	ds_write_b128 v63, v[68:71]
; %bb.41:                               ;   in Loop: Header=BB119_7 Depth=2
	s_or_saveexec_b64 s[4:5], s[4:5]
	v_lshl_add_u64 v[4:5], v[42:43], 0, s[36:37]
	s_xor_b64 exec, exec, s[4:5]
	s_cbranch_execz .LBB119_43
; %bb.42:                               ;   in Loop: Header=BB119_7 Depth=2
	global_load_dwordx4 v[8:11], v[4:5], off offset:-256
	s_waitcnt vmcnt(0)
	ds_write2_b64 v63, v[8:9], v[10:11] offset1:1
.LBB119_43:                             ;   in Loop: Header=BB119_7 Depth=2
	s_or_b64 exec, exec, s[4:5]
	v_cmp_gt_i64_e64 s[14:15], s[42:43], v[6:7]
	s_and_b64 s[4:5], vcc, s[14:15]
	s_xor_b64 s[4:5], s[4:5], -1
	s_and_saveexec_b64 s[44:45], s[4:5]
	s_xor_b64 s[4:5], exec, s[44:45]
; %bb.44:                               ;   in Loop: Header=BB119_7 Depth=2
	ds_write_b128 v63, v[68:71] offset:256
                                        ; implicit-def: $vgpr4_vgpr5
; %bb.45:                               ;   in Loop: Header=BB119_7 Depth=2
	s_andn2_saveexec_b64 s[4:5], s[4:5]
	s_cbranch_execz .LBB119_47
; %bb.46:                               ;   in Loop: Header=BB119_7 Depth=2
	global_load_dwordx4 v[4:7], v[4:5], off
	s_waitcnt vmcnt(0)
	ds_write2_b64 v64, v[4:5], v[6:7] offset1:1
.LBB119_47:                             ;   in Loop: Header=BB119_7 Depth=2
	s_or_b64 exec, exec, s[4:5]
	s_and_b64 s[4:5], s[10:11], s[12:13]
	s_xor_b64 s[4:5], s[4:5], -1
	s_and_saveexec_b64 s[12:13], s[4:5]
	s_xor_b64 s[4:5], exec, s[12:13]
; %bb.48:                               ;   in Loop: Header=BB119_7 Depth=2
	ds_write_b128 v63, v[68:71] offset:8192
; %bb.49:                               ;   in Loop: Header=BB119_7 Depth=2
	s_or_saveexec_b64 s[4:5], s[4:5]
	v_lshl_add_u64 v[4:5], v[44:45], 0, s[36:37]
	s_xor_b64 exec, exec, s[4:5]
	s_cbranch_execz .LBB119_51
; %bb.50:                               ;   in Loop: Header=BB119_7 Depth=2
	global_load_dwordx4 v[6:9], v[4:5], off offset:-256
	s_waitcnt vmcnt(0)
	ds_write2_b64 v65, v[6:7], v[8:9] offset1:1
.LBB119_51:                             ;   in Loop: Header=BB119_7 Depth=2
	s_or_b64 exec, exec, s[4:5]
	s_and_b64 s[4:5], s[10:11], s[14:15]
	s_xor_b64 s[4:5], s[4:5], -1
	s_and_saveexec_b64 s[12:13], s[4:5]
	s_xor_b64 s[4:5], exec, s[12:13]
; %bb.52:                               ;   in Loop: Header=BB119_7 Depth=2
	ds_write_b128 v63, v[68:71] offset:8448
                                        ; implicit-def: $vgpr4_vgpr5
; %bb.53:                               ;   in Loop: Header=BB119_7 Depth=2
	s_andn2_saveexec_b64 s[4:5], s[4:5]
	s_cbranch_execz .LBB119_6
; %bb.54:                               ;   in Loop: Header=BB119_7 Depth=2
	global_load_dwordx4 v[4:7], v[4:5], off
	s_waitcnt vmcnt(0)
	ds_write2_b64 v66, v[4:5], v[6:7] offset1:1
	s_branch .LBB119_6
.LBB119_55:                             ;   in Loop: Header=BB119_4 Depth=1
	v_mul_lo_u32 v6, s21, v40
	v_mul_lo_u32 v7, s20, v21
	v_mad_u64_u32 v[4:5], s[4:5], s20, v40, 0
	v_cmp_gt_i32_e32 vcc, s30, v40
	v_add3_u32 v5, v5, v7, v6
	v_lshl_add_u64 v[4:5], v[4:5], 4, s[22:23]
	s_and_b64 s[10:11], s[18:19], vcc
	s_and_saveexec_b64 s[4:5], s[10:11]
	s_cbranch_execz .LBB119_57
; %bb.56:                               ;   in Loop: Header=BB119_4 Depth=1
	v_lshl_add_u64 v[10:11], v[16:17], 4, v[4:5]
	global_load_dwordx4 v[6:9], v[10:11], off
	v_mul_f64 v[42:43], s[26:27], v[60:61]
	v_mul_f64 v[44:45], s[24:25], v[60:61]
	v_fma_f64 v[42:43], s[24:25], v[58:59], -v[42:43]
	v_fmac_f64_e32 v[44:45], s[26:27], v[58:59]
	s_waitcnt vmcnt(0)
	v_add_f64 v[6:7], v[6:7], v[42:43]
	v_add_f64 v[8:9], v[44:45], v[8:9]
	global_store_dwordx4 v[10:11], v[6:9], off
.LBB119_57:                             ;   in Loop: Header=BB119_4 Depth=1
	s_or_b64 exec, exec, s[4:5]
	s_and_b64 s[10:11], s[6:7], vcc
	s_and_saveexec_b64 s[4:5], s[10:11]
	s_cbranch_execz .LBB119_59
; %bb.58:                               ;   in Loop: Header=BB119_4 Depth=1
	v_lshl_add_u64 v[8:9], v[24:25], 4, v[4:5]
	global_load_dwordx4 v[4:7], v[8:9], off
	v_mul_f64 v[10:11], s[26:27], v[56:57]
	v_mul_f64 v[42:43], s[24:25], v[56:57]
	v_fma_f64 v[10:11], s[24:25], v[54:55], -v[10:11]
	v_fmac_f64_e32 v[42:43], s[26:27], v[54:55]
	s_waitcnt vmcnt(0)
	v_add_f64 v[4:5], v[4:5], v[10:11]
	v_add_f64 v[6:7], v[42:43], v[6:7]
	global_store_dwordx4 v[8:9], v[4:7], off
.LBB119_59:                             ;   in Loop: Header=BB119_4 Depth=1
	s_or_b64 exec, exec, s[4:5]
	s_nop 0
	v_add_u32_e32 v4, 16, v40
	v_ashrrev_i32_e32 v5, 31, v4
	v_cmp_gt_i32_e32 vcc, s30, v4
	v_mul_lo_u32 v6, s20, v5
	v_mul_lo_u32 v7, s21, v4
	v_mad_u64_u32 v[4:5], s[4:5], s20, v4, 0
	v_add3_u32 v5, v5, v6, v7
	v_lshl_add_u64 v[4:5], v[4:5], 4, s[22:23]
	s_and_b64 s[10:11], s[18:19], vcc
	s_and_saveexec_b64 s[4:5], s[10:11]
	s_cbranch_execz .LBB119_61
; %bb.60:                               ;   in Loop: Header=BB119_4 Depth=1
	v_lshl_add_u64 v[10:11], v[16:17], 4, v[4:5]
	global_load_dwordx4 v[6:9], v[10:11], off
	v_mul_f64 v[42:43], s[26:27], v[52:53]
	v_mul_f64 v[44:45], s[24:25], v[52:53]
	v_fma_f64 v[42:43], s[24:25], v[50:51], -v[42:43]
	v_fmac_f64_e32 v[44:45], s[26:27], v[50:51]
	s_waitcnt vmcnt(0)
	v_add_f64 v[6:7], v[6:7], v[42:43]
	v_add_f64 v[8:9], v[44:45], v[8:9]
	global_store_dwordx4 v[10:11], v[6:9], off
.LBB119_61:                             ;   in Loop: Header=BB119_4 Depth=1
	s_or_b64 exec, exec, s[4:5]
	s_and_b64 s[10:11], s[6:7], vcc
	s_and_saveexec_b64 s[4:5], s[10:11]
	s_cbranch_execz .LBB119_3
; %bb.62:                               ;   in Loop: Header=BB119_4 Depth=1
	v_lshl_add_u64 v[8:9], v[24:25], 4, v[4:5]
	global_load_dwordx4 v[4:7], v[8:9], off
	v_mul_f64 v[10:11], s[26:27], v[46:47]
	v_mul_f64 v[42:43], s[24:25], v[46:47]
	v_fma_f64 v[10:11], s[24:25], v[48:49], -v[10:11]
	v_fmac_f64_e32 v[42:43], s[26:27], v[48:49]
	s_waitcnt vmcnt(0)
	v_add_f64 v[4:5], v[4:5], v[10:11]
	v_add_f64 v[6:7], v[42:43], v[6:7]
	global_store_dwordx4 v[8:9], v[4:7], off
	s_branch .LBB119_3
.LBB119_63:
	s_endpgm
	.section	.rodata,"a",@progbits
	.p2align	6, 0x0
	.amdhsa_kernel _ZL30rocblas_trmm_outofplace_kernelI19rocblas_complex_numIdELi32ELi2ELb1ELb1ELb1ELb1ES1_KS1_S1_Ev17rocblas_diagonal_iiT6_lPT7_lllS6_lllPT8_llli
		.amdhsa_group_segment_fixed_size 32768
		.amdhsa_private_segment_fixed_size 0
		.amdhsa_kernarg_size 400
		.amdhsa_user_sgpr_count 2
		.amdhsa_user_sgpr_dispatch_ptr 0
		.amdhsa_user_sgpr_queue_ptr 0
		.amdhsa_user_sgpr_kernarg_segment_ptr 1
		.amdhsa_user_sgpr_dispatch_id 0
		.amdhsa_user_sgpr_kernarg_preload_length 0
		.amdhsa_user_sgpr_kernarg_preload_offset 0
		.amdhsa_user_sgpr_private_segment_size 0
		.amdhsa_uses_dynamic_stack 0
		.amdhsa_enable_private_segment 0
		.amdhsa_system_sgpr_workgroup_id_x 1
		.amdhsa_system_sgpr_workgroup_id_y 1
		.amdhsa_system_sgpr_workgroup_id_z 1
		.amdhsa_system_sgpr_workgroup_info 0
		.amdhsa_system_vgpr_workitem_id 1
		.amdhsa_next_free_vgpr 94
		.amdhsa_next_free_sgpr 56
		.amdhsa_accum_offset 96
		.amdhsa_reserve_vcc 1
		.amdhsa_float_round_mode_32 0
		.amdhsa_float_round_mode_16_64 0
		.amdhsa_float_denorm_mode_32 3
		.amdhsa_float_denorm_mode_16_64 3
		.amdhsa_dx10_clamp 1
		.amdhsa_ieee_mode 1
		.amdhsa_fp16_overflow 0
		.amdhsa_tg_split 0
		.amdhsa_exception_fp_ieee_invalid_op 0
		.amdhsa_exception_fp_denorm_src 0
		.amdhsa_exception_fp_ieee_div_zero 0
		.amdhsa_exception_fp_ieee_overflow 0
		.amdhsa_exception_fp_ieee_underflow 0
		.amdhsa_exception_fp_ieee_inexact 0
		.amdhsa_exception_int_div_zero 0
	.end_amdhsa_kernel
	.section	.text._ZL30rocblas_trmm_outofplace_kernelI19rocblas_complex_numIdELi32ELi2ELb1ELb1ELb1ELb1ES1_KS1_S1_Ev17rocblas_diagonal_iiT6_lPT7_lllS6_lllPT8_llli,"axG",@progbits,_ZL30rocblas_trmm_outofplace_kernelI19rocblas_complex_numIdELi32ELi2ELb1ELb1ELb1ELb1ES1_KS1_S1_Ev17rocblas_diagonal_iiT6_lPT7_lllS6_lllPT8_llli,comdat
.Lfunc_end119:
	.size	_ZL30rocblas_trmm_outofplace_kernelI19rocblas_complex_numIdELi32ELi2ELb1ELb1ELb1ELb1ES1_KS1_S1_Ev17rocblas_diagonal_iiT6_lPT7_lllS6_lllPT8_llli, .Lfunc_end119-_ZL30rocblas_trmm_outofplace_kernelI19rocblas_complex_numIdELi32ELi2ELb1ELb1ELb1ELb1ES1_KS1_S1_Ev17rocblas_diagonal_iiT6_lPT7_lllS6_lllPT8_llli
                                        ; -- End function
	.set _ZL30rocblas_trmm_outofplace_kernelI19rocblas_complex_numIdELi32ELi2ELb1ELb1ELb1ELb1ES1_KS1_S1_Ev17rocblas_diagonal_iiT6_lPT7_lllS6_lllPT8_llli.num_vgpr, 94
	.set _ZL30rocblas_trmm_outofplace_kernelI19rocblas_complex_numIdELi32ELi2ELb1ELb1ELb1ELb1ES1_KS1_S1_Ev17rocblas_diagonal_iiT6_lPT7_lllS6_lllPT8_llli.num_agpr, 0
	.set _ZL30rocblas_trmm_outofplace_kernelI19rocblas_complex_numIdELi32ELi2ELb1ELb1ELb1ELb1ES1_KS1_S1_Ev17rocblas_diagonal_iiT6_lPT7_lllS6_lllPT8_llli.numbered_sgpr, 56
	.set _ZL30rocblas_trmm_outofplace_kernelI19rocblas_complex_numIdELi32ELi2ELb1ELb1ELb1ELb1ES1_KS1_S1_Ev17rocblas_diagonal_iiT6_lPT7_lllS6_lllPT8_llli.num_named_barrier, 0
	.set _ZL30rocblas_trmm_outofplace_kernelI19rocblas_complex_numIdELi32ELi2ELb1ELb1ELb1ELb1ES1_KS1_S1_Ev17rocblas_diagonal_iiT6_lPT7_lllS6_lllPT8_llli.private_seg_size, 0
	.set _ZL30rocblas_trmm_outofplace_kernelI19rocblas_complex_numIdELi32ELi2ELb1ELb1ELb1ELb1ES1_KS1_S1_Ev17rocblas_diagonal_iiT6_lPT7_lllS6_lllPT8_llli.uses_vcc, 1
	.set _ZL30rocblas_trmm_outofplace_kernelI19rocblas_complex_numIdELi32ELi2ELb1ELb1ELb1ELb1ES1_KS1_S1_Ev17rocblas_diagonal_iiT6_lPT7_lllS6_lllPT8_llli.uses_flat_scratch, 0
	.set _ZL30rocblas_trmm_outofplace_kernelI19rocblas_complex_numIdELi32ELi2ELb1ELb1ELb1ELb1ES1_KS1_S1_Ev17rocblas_diagonal_iiT6_lPT7_lllS6_lllPT8_llli.has_dyn_sized_stack, 0
	.set _ZL30rocblas_trmm_outofplace_kernelI19rocblas_complex_numIdELi32ELi2ELb1ELb1ELb1ELb1ES1_KS1_S1_Ev17rocblas_diagonal_iiT6_lPT7_lllS6_lllPT8_llli.has_recursion, 0
	.set _ZL30rocblas_trmm_outofplace_kernelI19rocblas_complex_numIdELi32ELi2ELb1ELb1ELb1ELb1ES1_KS1_S1_Ev17rocblas_diagonal_iiT6_lPT7_lllS6_lllPT8_llli.has_indirect_call, 0
	.section	.AMDGPU.csdata,"",@progbits
; Kernel info:
; codeLenInByte = 9128
; TotalNumSgprs: 62
; NumVgprs: 94
; NumAgprs: 0
; TotalNumVgprs: 94
; ScratchSize: 0
; MemoryBound: 0
; FloatMode: 240
; IeeeMode: 1
; LDSByteSize: 32768 bytes/workgroup (compile time only)
; SGPRBlocks: 7
; VGPRBlocks: 11
; NumSGPRsForWavesPerEU: 62
; NumVGPRsForWavesPerEU: 94
; AccumOffset: 96
; Occupancy: 5
; WaveLimiterHint : 0
; COMPUTE_PGM_RSRC2:SCRATCH_EN: 0
; COMPUTE_PGM_RSRC2:USER_SGPR: 2
; COMPUTE_PGM_RSRC2:TRAP_HANDLER: 0
; COMPUTE_PGM_RSRC2:TGID_X_EN: 1
; COMPUTE_PGM_RSRC2:TGID_Y_EN: 1
; COMPUTE_PGM_RSRC2:TGID_Z_EN: 1
; COMPUTE_PGM_RSRC2:TIDIG_COMP_CNT: 1
; COMPUTE_PGM_RSRC3_GFX90A:ACCUM_OFFSET: 23
; COMPUTE_PGM_RSRC3_GFX90A:TG_SPLIT: 0
	.section	.text._ZL30rocblas_trmm_outofplace_kernelI19rocblas_complex_numIdELi32ELi2ELb0ELb0ELb0ELb0EPKS1_S2_S1_Ev17rocblas_diagonal_iiT6_lPT7_lllS7_lllPT8_llli,"axG",@progbits,_ZL30rocblas_trmm_outofplace_kernelI19rocblas_complex_numIdELi32ELi2ELb0ELb0ELb0ELb0EPKS1_S2_S1_Ev17rocblas_diagonal_iiT6_lPT7_lllS7_lllPT8_llli,comdat
	.globl	_ZL30rocblas_trmm_outofplace_kernelI19rocblas_complex_numIdELi32ELi2ELb0ELb0ELb0ELb0EPKS1_S2_S1_Ev17rocblas_diagonal_iiT6_lPT7_lllS7_lllPT8_llli ; -- Begin function _ZL30rocblas_trmm_outofplace_kernelI19rocblas_complex_numIdELi32ELi2ELb0ELb0ELb0ELb0EPKS1_S2_S1_Ev17rocblas_diagonal_iiT6_lPT7_lllS7_lllPT8_llli
	.p2align	8
	.type	_ZL30rocblas_trmm_outofplace_kernelI19rocblas_complex_numIdELi32ELi2ELb0ELb0ELb0ELb0EPKS1_S2_S1_Ev17rocblas_diagonal_iiT6_lPT7_lllS7_lllPT8_llli,@function
_ZL30rocblas_trmm_outofplace_kernelI19rocblas_complex_numIdELi32ELi2ELb0ELb0ELb0ELb0EPKS1_S2_S1_Ev17rocblas_diagonal_iiT6_lPT7_lllS7_lllPT8_llli: ; @_ZL30rocblas_trmm_outofplace_kernelI19rocblas_complex_numIdELi32ELi2ELb0ELb0ELb0ELb0EPKS1_S2_S1_Ev17rocblas_diagonal_iiT6_lPT7_lllS7_lllPT8_llli
; %bb.0:
	s_load_dwordx16 s[16:31], s[0:1], 0x10
	s_waitcnt lgkmcnt(0)
	s_mul_i32 s5, s19, s4
	s_mul_hi_u32 s6, s18, s4
	s_add_i32 s7, s6, s5
	s_mul_i32 s6, s18, s4
	s_lshl_b64 s[6:7], s[6:7], 4
	s_add_u32 s6, s16, s6
	s_addc_u32 s7, s17, s7
	s_load_dwordx4 s[44:47], s[6:7], 0x0
	s_waitcnt lgkmcnt(0)
	v_cmp_eq_f64_e64 s[6:7], s[44:45], 0
	v_cmp_eq_f64_e64 s[8:9], s[46:47], 0
	s_and_b64 s[6:7], s[6:7], s[8:9]
	s_and_b64 vcc, exec, s[6:7]
	s_cbranch_vccnz .LBB120_64
; %bb.1:
	s_load_dwordx4 s[48:51], s[0:1], 0x0
	s_waitcnt lgkmcnt(0)
	s_add_i32 s5, s50, -1
	s_ashr_i32 s6, s5, 31
	s_lshr_b32 s6, s6, 27
	s_add_i32 s5, s5, s6
	s_ashr_i32 s33, s5, 5
	s_cmp_gt_i32 s3, s33
	s_cbranch_scc1 .LBB120_64
; %bb.2:
	s_load_dwordx4 s[52:55], s[0:1], 0x70
	s_load_dwordx8 s[36:43], s[0:1], 0x50
	s_load_dword s62, s[0:1], 0x8c
	v_and_b32_e32 v2, 0x3ff, v0
	v_bfe_u32 v66, v0, 10, 10
	v_lshl_add_u32 v16, s2, 5, v2
	s_waitcnt lgkmcnt(0)
	s_mul_i32 s0, s55, s4
	s_mul_hi_u32 s1, s54, s4
	s_add_i32 s1, s1, s0
	s_mul_i32 s0, s54, s4
	s_lshl_b64 s[0:1], s[0:1], 4
	s_add_u32 s5, s40, s0
	s_addc_u32 s6, s41, s1
	s_lshl_b64 s[0:1], s[42:43], 4
	s_add_u32 s34, s5, s0
	s_addc_u32 s35, s6, s1
	s_cmpk_eq_i32 s48, 0x84
	s_cselect_b64 s[40:41], -1, 0
	s_ashr_i32 s51, s50, 31
	s_ashr_i32 s0, s49, 31
	s_lshl_b64 s[42:43], s[36:37], 9
	s_add_u32 s54, s50, -16
	s_addc_u32 s55, s51, -1
	s_lshl_b32 s5, s3, 5
	s_lshl_b32 s2, s62, 5
	v_add_u32_e32 v18, 16, v16
	v_add_u32_e32 v20, s5, v2
	;; [unrolled: 1-line block ×3, first 2 shown]
	s_add_u32 s48, s28, 0x100
	s_mul_i32 s5, s39, s4
	s_mul_hi_u32 s6, s38, s4
	v_sub_co_u32_e32 v0, vcc, s49, v16
	v_cmp_gt_i32_e64 s[16:17], s49, v16
	v_cmp_gt_i32_e64 s[18:19], s49, v18
	s_addc_u32 s49, s29, 0
	s_add_i32 s7, s6, s5
	s_mul_i32 s6, s38, s4
	s_lshl_b64 s[56:57], s[36:37], 4
	s_lshl_b64 s[6:7], s[6:7], 4
	;; [unrolled: 1-line block ×3, first 2 shown]
	s_add_u32 s6, s6, s8
	v_ashrrev_i32_e32 v17, 31, v16
	s_addc_u32 s7, s7, s9
	v_lshl_add_u64 v[24:25], v[16:17], 4, s[6:7]
	s_mul_i32 s5, s27, s4
	s_mul_hi_u32 s6, s26, s4
	s_add_i32 s5, s6, s5
	s_mul_i32 s4, s26, s4
	s_lshl_b64 s[4:5], s[4:5], 4
	s_lshl_b64 s[6:7], s[22:23], 4
	s_add_u32 s4, s4, s6
	s_addc_u32 s5, s5, s7
	v_lshlrev_b32_e32 v3, 4, v2
	v_mov_b32_e32 v1, s0
	s_add_u32 s4, s20, s4
	v_lshlrev_b32_e32 v67, 9, v66
	v_subb_co_u32_e32 v1, vcc, v1, v17, vcc
	v_or_b32_e32 v69, 0x4000, v3
	s_addc_u32 s5, s21, s5
	v_add_u32_e32 v70, v69, v67
	v_cmp_gt_i64_e32 vcc, 1, v[0:1]
	v_cmp_gt_i64_e64 s[0:1], 17, v[0:1]
	s_add_u32 s20, s4, 0x100
	v_mov_b32_e32 v0, 0
	v_add_u32_e32 v68, v67, v3
	v_add_u32_e32 v71, 0x2100, v70
	v_ashrrev_i32_e32 v19, 31, v18
	s_addc_u32 s21, s5, 0
	s_lshl_b64 s[22:23], s[24:25], 4
	s_mov_b64 s[26:27], 0x200
	v_mov_b64_e32 v[26:27], 0x100
	v_mov_b32_e32 v1, v0
	v_mov_b32_e32 v2, v0
	;; [unrolled: 1-line block ×7, first 2 shown]
	s_branch .LBB120_4
.LBB120_3:                              ;   in Loop: Header=BB120_4 Depth=1
	s_or_b64 exec, exec, s[4:5]
	s_add_i32 s3, s62, s3
	v_add_u32_e32 v20, s2, v20
	s_cmp_le_i32 s3, s33
	v_add_u32_e32 v22, s2, v22
	s_cbranch_scc0 .LBB120_64
.LBB120_4:                              ; =>This Loop Header: Depth=1
                                        ;     Child Loop BB120_7 Depth 2
	s_lshl_b32 s4, s3, 5
	v_add_u32_e32 v28, s4, v66
	s_sub_i32 s63, s50, s4
	v_ashrrev_i32_e32 v21, 31, v20
	v_ashrrev_i32_e32 v23, 31, v22
	s_cmp_lt_i32 s63, 1
	v_ashrrev_i32_e32 v29, 31, v28
	s_cbranch_scc1 .LBB120_55
; %bb.5:                                ;   in Loop: Header=BB120_4 Depth=1
	v_sub_co_u32_e64 v30, s[4:5], v22, v20
	v_mov_b64_e32 v[8:9], s[48:49]
	s_nop 0
	v_subb_co_u32_e64 v31, s[4:5], v23, v21, s[4:5]
	v_mad_u64_u32 v[32:33], s[4:5], s56, v22, v[8:9]
	v_mul_lo_u32 v8, s56, v23
	v_mul_lo_u32 v9, s57, v22
	v_add3_u32 v33, v9, v33, v8
	v_lshl_add_u64 v[8:9], v[22:23], 4, v[26:27]
	v_mov_b64_e32 v[10:11], s[20:21]
	v_mad_u64_u32 v[36:37], s[4:5], s24, v8, v[10:11]
	v_mad_u64_u32 v[38:39], s[4:5], s22, v22, v[10:11]
	v_mul_lo_u32 v10, s22, v23
	v_mul_lo_u32 v11, s23, v22
	;; [unrolled: 1-line block ×4, first 2 shown]
	v_add3_u32 v39, v11, v39, v10
	v_mov_b64_e32 v[10:11], s[28:29]
	v_add3_u32 v37, v13, v37, v12
	v_mul_lo_u32 v9, s36, v9
	v_mul_lo_u32 v12, s37, v8
	v_mad_u64_u32 v[40:41], s[4:5], s36, v8, v[10:11]
	v_lshl_add_u64 v[42:43], v[28:29], 0, 16
	v_lshlrev_b64 v[34:35], 4, v[20:21]
	v_add3_u32 v41, v12, v41, v9
	v_cmp_le_i32_e64 s[6:7], s50, v28
	v_cmp_le_i64_e64 s[8:9], s[50:51], v[42:43]
	v_lshl_add_u64 v[44:45], v[30:31], 0, 16
	v_lshl_add_u64 v[46:47], v[30:31], 0, -16
	v_mov_b64_e32 v[50:51], 0
	s_mov_b64 s[30:31], 0
	v_mov_b64_e32 v[48:49], v[24:25]
	v_mov_b64_e32 v[52:53], 0
	;; [unrolled: 1-line block ×8, first 2 shown]
	s_branch .LBB120_7
.LBB120_6:                              ;   in Loop: Header=BB120_7 Depth=2
	s_or_b64 exec, exec, s[4:5]
	s_waitcnt lgkmcnt(0)
	s_barrier
	ds_read_b128 v[72:75], v69
	ds_read_b128 v[76:79], v67
	ds_read_b128 v[80:83], v67 offset:16
	ds_read_b128 v[12:15], v67 offset:32
	;; [unrolled: 1-line block ×4, first 2 shown]
	s_waitcnt lgkmcnt(4)
	v_mul_f64 v[88:89], v[78:79], v[74:75]
	v_fma_f64 v[88:89], v[76:77], v[72:73], -v[88:89]
	v_mul_f64 v[90:91], v[76:77], v[74:75]
	v_fmac_f64_e32 v[90:91], v[78:79], v[72:73]
	v_add_f64 v[88:89], v[62:63], v[88:89]
	s_waitcnt lgkmcnt(0)
	v_mul_f64 v[62:63], v[78:79], v[86:87]
	v_add_f64 v[90:91], v[90:91], v[64:65]
	v_fma_f64 v[92:93], v[76:77], v[84:85], -v[62:63]
	ds_read_b128 v[62:65], v67 offset:8192
	v_mul_f64 v[76:77], v[76:77], v[86:87]
	v_fmac_f64_e32 v[76:77], v[78:79], v[84:85]
	v_add_f64 v[78:79], v[58:59], v[92:93]
	v_add_f64 v[76:77], v[76:77], v[60:61]
	ds_read_b128 v[58:61], v67 offset:8208
	s_waitcnt lgkmcnt(1)
	v_mul_f64 v[92:93], v[64:65], v[74:75]
	v_fma_f64 v[92:93], v[62:63], v[72:73], -v[92:93]
	v_mul_f64 v[74:75], v[62:63], v[74:75]
	v_fmac_f64_e32 v[74:75], v[64:65], v[72:73]
	v_add_f64 v[72:73], v[54:55], v[92:93]
	v_mul_f64 v[54:55], v[64:65], v[86:87]
	v_add_f64 v[74:75], v[74:75], v[56:57]
	v_fma_f64 v[92:93], v[62:63], v[84:85], -v[54:55]
	v_mul_f64 v[62:63], v[62:63], v[86:87]
	ds_read_b128 v[54:57], v69 offset:512
	v_fmac_f64_e32 v[62:63], v[64:65], v[84:85]
	v_add_f64 v[64:65], v[52:53], v[92:93]
	v_add_f64 v[62:63], v[62:63], v[50:51]
	ds_read_b128 v[50:53], v69 offset:768
	s_waitcnt lgkmcnt(1)
	v_mul_f64 v[84:85], v[82:83], v[56:57]
	v_fma_f64 v[84:85], v[80:81], v[54:55], -v[84:85]
	v_add_f64 v[84:85], v[88:89], v[84:85]
	v_mul_f64 v[86:87], v[80:81], v[56:57]
	s_waitcnt lgkmcnt(0)
	v_mul_f64 v[88:89], v[82:83], v[52:53]
	v_fma_f64 v[88:89], v[80:81], v[50:51], -v[88:89]
	v_mul_f64 v[80:81], v[80:81], v[52:53]
	v_fmac_f64_e32 v[80:81], v[82:83], v[50:51]
	v_add_f64 v[76:77], v[80:81], v[76:77]
	v_mul_f64 v[80:81], v[60:61], v[56:57]
	v_mul_f64 v[56:57], v[58:59], v[56:57]
	v_fmac_f64_e32 v[86:87], v[82:83], v[54:55]
	v_fma_f64 v[80:81], v[58:59], v[54:55], -v[80:81]
	v_fmac_f64_e32 v[56:57], v[60:61], v[54:55]
	v_mul_f64 v[54:55], v[60:61], v[52:53]
	v_add_f64 v[74:75], v[56:57], v[74:75]
	v_fma_f64 v[56:57], v[58:59], v[50:51], -v[54:55]
	v_mul_f64 v[58:59], v[58:59], v[52:53]
	ds_read_b128 v[52:55], v69 offset:1024
	v_fmac_f64_e32 v[58:59], v[60:61], v[50:51]
	v_add_f64 v[72:73], v[72:73], v[80:81]
	v_add_f64 v[64:65], v[64:65], v[56:57]
	;; [unrolled: 1-line block ×3, first 2 shown]
	ds_read_b128 v[56:59], v69 offset:1280
	s_waitcnt lgkmcnt(1)
	v_mul_f64 v[50:51], v[14:15], v[54:55]
	v_mul_f64 v[60:61], v[12:13], v[54:55]
	v_add_f64 v[86:87], v[86:87], v[90:91]
	v_fma_f64 v[50:51], v[12:13], v[52:53], -v[50:51]
	v_fmac_f64_e32 v[60:61], v[14:15], v[52:53]
	v_add_f64 v[82:83], v[84:85], v[50:51]
	v_add_f64 v[84:85], v[60:61], v[86:87]
	ds_read_b128 v[60:63], v67 offset:8224
	s_waitcnt lgkmcnt(1)
	v_mul_f64 v[50:51], v[14:15], v[58:59]
	v_fma_f64 v[50:51], v[12:13], v[56:57], -v[50:51]
	v_mul_f64 v[12:13], v[12:13], v[58:59]
	v_add_f64 v[78:79], v[78:79], v[88:89]
	v_fmac_f64_e32 v[12:13], v[14:15], v[56:57]
	v_add_f64 v[78:79], v[78:79], v[50:51]
	v_add_f64 v[76:77], v[12:13], v[76:77]
	ds_read_b128 v[12:15], v67 offset:8240
	s_waitcnt lgkmcnt(1)
	v_mul_f64 v[50:51], v[62:63], v[54:55]
	v_fma_f64 v[50:51], v[60:61], v[52:53], -v[50:51]
	v_mul_f64 v[54:55], v[60:61], v[54:55]
	v_fmac_f64_e32 v[54:55], v[62:63], v[52:53]
	v_add_f64 v[72:73], v[72:73], v[50:51]
	v_mul_f64 v[50:51], v[62:63], v[58:59]
	v_add_f64 v[74:75], v[54:55], v[74:75]
	v_fma_f64 v[54:55], v[60:61], v[56:57], -v[50:51]
	v_mul_f64 v[58:59], v[60:61], v[58:59]
	ds_read_b128 v[50:53], v69 offset:1536
	v_fmac_f64_e32 v[58:59], v[62:63], v[56:57]
	v_add_f64 v[60:61], v[64:65], v[54:55]
	ds_read_b128 v[54:57], v69 offset:1792
	v_add_f64 v[58:59], v[58:59], v[80:81]
	s_waitcnt lgkmcnt(1)
	v_mul_f64 v[62:63], v[10:11], v[52:53]
	v_fma_f64 v[62:63], v[8:9], v[50:51], -v[62:63]
	v_mul_f64 v[64:65], v[8:9], v[52:53]
	s_waitcnt lgkmcnt(0)
	v_mul_f64 v[80:81], v[10:11], v[56:57]
	v_fma_f64 v[80:81], v[8:9], v[54:55], -v[80:81]
	v_mul_f64 v[8:9], v[8:9], v[56:57]
	v_fmac_f64_e32 v[8:9], v[10:11], v[54:55]
	v_add_f64 v[76:77], v[8:9], v[76:77]
	v_mul_f64 v[8:9], v[14:15], v[52:53]
	v_fmac_f64_e32 v[64:65], v[10:11], v[50:51]
	v_fma_f64 v[8:9], v[12:13], v[50:51], -v[8:9]
	v_mul_f64 v[10:11], v[12:13], v[52:53]
	v_fmac_f64_e32 v[10:11], v[14:15], v[50:51]
	v_add_f64 v[72:73], v[72:73], v[8:9]
	v_mul_f64 v[8:9], v[14:15], v[56:57]
	v_mul_f64 v[52:53], v[12:13], v[56:57]
	v_add_f64 v[74:75], v[10:11], v[74:75]
	v_fma_f64 v[50:51], v[12:13], v[54:55], -v[8:9]
	v_fmac_f64_e32 v[52:53], v[14:15], v[54:55]
	ds_read_b128 v[8:11], v67 offset:64
	ds_read_b128 v[12:15], v69 offset:2048
	v_add_f64 v[62:63], v[82:83], v[62:63]
	v_add_f64 v[78:79], v[78:79], v[80:81]
	;; [unrolled: 1-line block ×4, first 2 shown]
	ds_read_b128 v[50:53], v69 offset:2304
	ds_read_b128 v[54:57], v67 offset:80
	s_waitcnt lgkmcnt(2)
	v_mul_f64 v[58:59], v[10:11], v[14:15]
	v_fma_f64 v[58:59], v[8:9], v[12:13], -v[58:59]
	v_mul_f64 v[60:61], v[8:9], v[14:15]
	v_add_f64 v[64:65], v[64:65], v[84:85]
	v_fmac_f64_e32 v[60:61], v[10:11], v[12:13]
	v_add_f64 v[62:63], v[62:63], v[58:59]
	s_waitcnt lgkmcnt(1)
	v_mul_f64 v[58:59], v[10:11], v[52:53]
	v_add_f64 v[64:65], v[60:61], v[64:65]
	v_fma_f64 v[84:85], v[8:9], v[50:51], -v[58:59]
	ds_read_b128 v[58:61], v67 offset:8256
	v_mul_f64 v[8:9], v[8:9], v[52:53]
	v_fmac_f64_e32 v[8:9], v[10:11], v[50:51]
	v_add_f64 v[78:79], v[78:79], v[84:85]
	v_add_f64 v[76:77], v[8:9], v[76:77]
	ds_read_b128 v[8:11], v67 offset:8272
	s_waitcnt lgkmcnt(1)
	v_mul_f64 v[84:85], v[60:61], v[14:15]
	v_mul_f64 v[14:15], v[58:59], v[14:15]
	v_fma_f64 v[84:85], v[58:59], v[12:13], -v[84:85]
	v_fmac_f64_e32 v[14:15], v[60:61], v[12:13]
	v_mul_f64 v[12:13], v[60:61], v[52:53]
	v_add_f64 v[72:73], v[72:73], v[84:85]
	v_add_f64 v[74:75], v[14:15], v[74:75]
	v_fma_f64 v[84:85], v[58:59], v[50:51], -v[12:13]
	v_mul_f64 v[52:53], v[58:59], v[52:53]
	ds_read_b128 v[12:15], v69 offset:2560
	v_fmac_f64_e32 v[52:53], v[60:61], v[50:51]
	v_add_f64 v[60:61], v[52:53], v[82:83]
	ds_read_b128 v[50:53], v69 offset:2816
	v_add_f64 v[58:59], v[80:81], v[84:85]
	s_waitcnt lgkmcnt(1)
	v_mul_f64 v[80:81], v[56:57], v[14:15]
	v_fma_f64 v[80:81], v[54:55], v[12:13], -v[80:81]
	v_add_f64 v[62:63], v[62:63], v[80:81]
	s_waitcnt lgkmcnt(0)
	v_mul_f64 v[80:81], v[56:57], v[52:53]
	v_mul_f64 v[82:83], v[54:55], v[14:15]
	v_fma_f64 v[80:81], v[54:55], v[50:51], -v[80:81]
	v_mul_f64 v[54:55], v[54:55], v[52:53]
	v_fmac_f64_e32 v[54:55], v[56:57], v[50:51]
	v_add_f64 v[76:77], v[54:55], v[76:77]
	v_mul_f64 v[54:55], v[10:11], v[14:15]
	v_mul_f64 v[14:15], v[8:9], v[14:15]
	v_fmac_f64_e32 v[82:83], v[56:57], v[12:13]
	v_fma_f64 v[54:55], v[8:9], v[12:13], -v[54:55]
	v_fmac_f64_e32 v[14:15], v[10:11], v[12:13]
	v_mul_f64 v[12:13], v[10:11], v[52:53]
	v_mul_f64 v[52:53], v[8:9], v[52:53]
	v_add_f64 v[72:73], v[72:73], v[54:55]
	v_add_f64 v[74:75], v[14:15], v[74:75]
	v_fma_f64 v[54:55], v[8:9], v[50:51], -v[12:13]
	v_fmac_f64_e32 v[52:53], v[10:11], v[50:51]
	ds_read_b128 v[8:11], v67 offset:96
	ds_read_b128 v[12:15], v69 offset:3072
	v_add_f64 v[64:65], v[82:83], v[64:65]
	v_add_f64 v[78:79], v[78:79], v[80:81]
	v_add_f64 v[80:81], v[58:59], v[54:55]
	v_add_f64 v[82:83], v[52:53], v[60:61]
	ds_read_b128 v[50:53], v69 offset:3328
	ds_read_b128 v[54:57], v67 offset:112
	s_waitcnt lgkmcnt(2)
	v_mul_f64 v[58:59], v[10:11], v[14:15]
	v_fma_f64 v[58:59], v[8:9], v[12:13], -v[58:59]
	v_mul_f64 v[60:61], v[8:9], v[14:15]
	v_fmac_f64_e32 v[60:61], v[10:11], v[12:13]
	v_add_f64 v[62:63], v[62:63], v[58:59]
	s_waitcnt lgkmcnt(1)
	v_mul_f64 v[58:59], v[10:11], v[52:53]
	v_add_f64 v[64:65], v[60:61], v[64:65]
	v_fma_f64 v[84:85], v[8:9], v[50:51], -v[58:59]
	ds_read_b128 v[58:61], v67 offset:8288
	v_mul_f64 v[8:9], v[8:9], v[52:53]
	v_fmac_f64_e32 v[8:9], v[10:11], v[50:51]
	v_add_f64 v[78:79], v[78:79], v[84:85]
	v_add_f64 v[76:77], v[8:9], v[76:77]
	ds_read_b128 v[8:11], v67 offset:8304
	s_waitcnt lgkmcnt(1)
	v_mul_f64 v[84:85], v[60:61], v[14:15]
	v_mul_f64 v[14:15], v[58:59], v[14:15]
	v_fma_f64 v[84:85], v[58:59], v[12:13], -v[84:85]
	v_fmac_f64_e32 v[14:15], v[60:61], v[12:13]
	v_mul_f64 v[12:13], v[60:61], v[52:53]
	v_add_f64 v[72:73], v[72:73], v[84:85]
	v_add_f64 v[74:75], v[14:15], v[74:75]
	v_fma_f64 v[84:85], v[58:59], v[50:51], -v[12:13]
	v_mul_f64 v[52:53], v[58:59], v[52:53]
	ds_read_b128 v[12:15], v69 offset:3584
	v_fmac_f64_e32 v[52:53], v[60:61], v[50:51]
	v_add_f64 v[60:61], v[52:53], v[82:83]
	ds_read_b128 v[50:53], v69 offset:3840
	v_add_f64 v[58:59], v[80:81], v[84:85]
	s_waitcnt lgkmcnt(1)
	v_mul_f64 v[80:81], v[56:57], v[14:15]
	v_fma_f64 v[80:81], v[54:55], v[12:13], -v[80:81]
	v_add_f64 v[62:63], v[62:63], v[80:81]
	s_waitcnt lgkmcnt(0)
	v_mul_f64 v[80:81], v[56:57], v[52:53]
	v_mul_f64 v[82:83], v[54:55], v[14:15]
	v_fma_f64 v[80:81], v[54:55], v[50:51], -v[80:81]
	v_mul_f64 v[54:55], v[54:55], v[52:53]
	v_fmac_f64_e32 v[54:55], v[56:57], v[50:51]
	v_add_f64 v[76:77], v[54:55], v[76:77]
	v_mul_f64 v[54:55], v[10:11], v[14:15]
	v_mul_f64 v[14:15], v[8:9], v[14:15]
	v_fmac_f64_e32 v[82:83], v[56:57], v[12:13]
	v_fma_f64 v[54:55], v[8:9], v[12:13], -v[54:55]
	v_fmac_f64_e32 v[14:15], v[10:11], v[12:13]
	v_mul_f64 v[12:13], v[10:11], v[52:53]
	v_mul_f64 v[52:53], v[8:9], v[52:53]
	v_add_f64 v[72:73], v[72:73], v[54:55]
	v_add_f64 v[74:75], v[14:15], v[74:75]
	v_fma_f64 v[54:55], v[8:9], v[50:51], -v[12:13]
	v_fmac_f64_e32 v[52:53], v[10:11], v[50:51]
	ds_read_b128 v[8:11], v67 offset:128
	ds_read_b128 v[12:15], v69 offset:4096
	v_add_f64 v[64:65], v[82:83], v[64:65]
	v_add_f64 v[78:79], v[78:79], v[80:81]
	v_add_f64 v[80:81], v[58:59], v[54:55]
	v_add_f64 v[82:83], v[52:53], v[60:61]
	ds_read_b128 v[50:53], v69 offset:4352
	ds_read_b128 v[54:57], v67 offset:144
	s_waitcnt lgkmcnt(2)
	v_mul_f64 v[58:59], v[10:11], v[14:15]
	v_fma_f64 v[58:59], v[8:9], v[12:13], -v[58:59]
	v_mul_f64 v[60:61], v[8:9], v[14:15]
	;; [unrolled: 61-line block ×13, first 2 shown]
	v_fmac_f64_e32 v[60:61], v[10:11], v[12:13]
	v_add_f64 v[62:63], v[62:63], v[58:59]
	s_waitcnt lgkmcnt(1)
	v_mul_f64 v[58:59], v[10:11], v[52:53]
	v_add_f64 v[64:65], v[60:61], v[64:65]
	v_fma_f64 v[84:85], v[8:9], v[50:51], -v[58:59]
	ds_read_b128 v[58:61], v67 offset:8672
	v_mul_f64 v[8:9], v[8:9], v[52:53]
	v_fmac_f64_e32 v[8:9], v[10:11], v[50:51]
	v_add_f64 v[78:79], v[78:79], v[84:85]
	v_add_f64 v[76:77], v[8:9], v[76:77]
	ds_read_b128 v[8:11], v67 offset:8688
	s_waitcnt lgkmcnt(1)
	v_mul_f64 v[84:85], v[60:61], v[14:15]
	v_mul_f64 v[14:15], v[58:59], v[14:15]
	v_fma_f64 v[84:85], v[58:59], v[12:13], -v[84:85]
	v_fmac_f64_e32 v[14:15], v[60:61], v[12:13]
	v_mul_f64 v[12:13], v[60:61], v[52:53]
	v_add_f64 v[72:73], v[72:73], v[84:85]
	v_add_f64 v[74:75], v[14:15], v[74:75]
	v_fma_f64 v[84:85], v[58:59], v[50:51], -v[12:13]
	v_mul_f64 v[52:53], v[58:59], v[52:53]
	ds_read_b128 v[12:15], v69 offset:15872
	v_fmac_f64_e32 v[52:53], v[60:61], v[50:51]
	v_add_f64 v[82:83], v[52:53], v[82:83]
	ds_read_b128 v[50:53], v69 offset:16128
	s_add_u32 s30, s30, 32
	s_waitcnt lgkmcnt(1)
	v_mul_f64 v[58:59], v[56:57], v[14:15]
	v_fma_f64 v[58:59], v[54:55], v[12:13], -v[58:59]
	v_add_f64 v[62:63], v[62:63], v[58:59]
	s_waitcnt lgkmcnt(0)
	v_mul_f64 v[58:59], v[56:57], v[52:53]
	v_mul_f64 v[60:61], v[54:55], v[14:15]
	v_fma_f64 v[58:59], v[54:55], v[50:51], -v[58:59]
	v_mul_f64 v[54:55], v[54:55], v[52:53]
	v_fmac_f64_e32 v[60:61], v[56:57], v[12:13]
	v_fmac_f64_e32 v[54:55], v[56:57], v[50:51]
	v_add_f64 v[64:65], v[60:61], v[64:65]
	v_add_f64 v[60:61], v[54:55], v[76:77]
	v_mul_f64 v[54:55], v[10:11], v[14:15]
	v_mul_f64 v[14:15], v[8:9], v[14:15]
	v_fma_f64 v[54:55], v[8:9], v[12:13], -v[54:55]
	v_fmac_f64_e32 v[14:15], v[10:11], v[12:13]
	v_mul_f64 v[12:13], v[10:11], v[52:53]
	v_fma_f64 v[12:13], v[8:9], v[50:51], -v[12:13]
	v_mul_f64 v[8:9], v[8:9], v[52:53]
	v_add_f64 v[80:81], v[80:81], v[84:85]
	v_fmac_f64_e32 v[8:9], v[10:11], v[50:51]
	s_addc_u32 s31, s31, 0
	v_add_f64 v[58:59], v[78:79], v[58:59]
	v_add_f64 v[54:55], v[72:73], v[54:55]
	;; [unrolled: 1-line block ×5, first 2 shown]
	v_lshl_add_u64 v[48:49], v[48:49], 0, s[42:43]
	v_lshl_add_u64 v[36:37], v[36:37], 0, s[26:27]
	s_cmp_ge_i32 s30, s63
	v_lshl_add_u64 v[38:39], v[38:39], 0, s[26:27]
	s_barrier
	s_cbranch_scc1 .LBB120_56
.LBB120_7:                              ;   Parent Loop BB120_4 Depth=1
                                        ; =>  This Inner Loop Header: Depth=2
	v_lshl_add_u64 v[8:9], v[20:21], 0, s[30:31]
	v_cmp_eq_u64_e64 s[4:5], s[30:31], v[30:31]
	v_cmp_lt_i64_e64 s[10:11], v[8:9], v[28:29]
	s_and_b64 s[58:59], s[40:41], s[4:5]
	v_cmp_le_i64_e64 s[12:13], s[50:51], v[8:9]
	s_or_b64 s[4:5], s[6:7], s[10:11]
	s_or_b64 s[4:5], s[12:13], s[4:5]
	v_lshl_add_u64 v[10:11], v[38:39], 0, v[34:35]
	s_nor_b64 s[4:5], s[4:5], s[58:59]
	s_and_saveexec_b64 s[14:15], s[4:5]
	s_xor_b64 s[4:5], exec, s[14:15]
	s_cbranch_execz .LBB120_9
; %bb.8:                                ;   in Loop: Header=BB120_7 Depth=2
	global_load_dwordx4 v[12:15], v[10:11], off offset:-256
	s_waitcnt vmcnt(0)
	ds_write2_b64 v68, v[12:13], v[14:15] offset1:1
.LBB120_9:                              ;   in Loop: Header=BB120_7 Depth=2
	s_or_saveexec_b64 s[4:5], s[4:5]
	s_xor_b64 s[38:39], s[58:59], -1
	s_xor_b64 exec, exec, s[4:5]
	s_cbranch_execz .LBB120_15
; %bb.10:                               ;   in Loop: Header=BB120_7 Depth=2
	s_and_saveexec_b64 s[14:15], s[38:39]
	s_xor_b64 s[14:15], exec, s[14:15]
; %bb.11:                               ;   in Loop: Header=BB120_7 Depth=2
	ds_write_b128 v68, v[0:3]
; %bb.12:                               ;   in Loop: Header=BB120_7 Depth=2
	s_andn2_saveexec_b64 s[14:15], s[14:15]
; %bb.13:                               ;   in Loop: Header=BB120_7 Depth=2
	ds_write_b128 v68, v[4:7]
; %bb.14:                               ;   in Loop: Header=BB120_7 Depth=2
	s_or_b64 exec, exec, s[14:15]
.LBB120_15:                             ;   in Loop: Header=BB120_7 Depth=2
	s_or_b64 exec, exec, s[4:5]
	v_lshl_add_u64 v[12:13], v[8:9], 0, 16
	v_cmp_eq_u64_e64 s[4:5], s[30:31], v[46:47]
	s_and_b64 s[60:61], s[40:41], s[4:5]
	v_cmp_lt_i64_e64 s[4:5], v[12:13], v[28:29]
	v_cmp_le_i64_e64 s[14:15], s[50:51], v[12:13]
	s_or_b64 s[4:5], s[6:7], s[4:5]
	s_or_b64 s[4:5], s[14:15], s[4:5]
	s_nor_b64 s[4:5], s[4:5], s[60:61]
	s_and_saveexec_b64 s[64:65], s[4:5]
	s_xor_b64 s[4:5], exec, s[64:65]
	s_cbranch_execz .LBB120_17
; %bb.16:                               ;   in Loop: Header=BB120_7 Depth=2
	global_load_dwordx4 v[10:13], v[10:11], off
	v_add_u32_e32 v14, 0x100, v68
	s_waitcnt vmcnt(0)
	ds_write2_b64 v14, v[10:11], v[12:13] offset1:1
.LBB120_17:                             ;   in Loop: Header=BB120_7 Depth=2
	s_andn2_saveexec_b64 s[4:5], s[4:5]
	s_cbranch_execz .LBB120_23
; %bb.18:                               ;   in Loop: Header=BB120_7 Depth=2
	s_xor_b64 s[60:61], s[60:61], -1
	s_and_saveexec_b64 s[64:65], s[60:61]
	s_xor_b64 s[60:61], exec, s[64:65]
; %bb.19:                               ;   in Loop: Header=BB120_7 Depth=2
	ds_write_b128 v68, v[0:3] offset:256
; %bb.20:                               ;   in Loop: Header=BB120_7 Depth=2
	s_andn2_saveexec_b64 s[60:61], s[60:61]
; %bb.21:                               ;   in Loop: Header=BB120_7 Depth=2
	ds_write_b128 v68, v[4:7] offset:256
; %bb.22:                               ;   in Loop: Header=BB120_7 Depth=2
	s_or_b64 exec, exec, s[60:61]
.LBB120_23:                             ;   in Loop: Header=BB120_7 Depth=2
	s_or_b64 exec, exec, s[4:5]
	v_cmp_eq_u64_e64 s[4:5], s[30:31], v[44:45]
	s_and_b64 s[60:61], s[40:41], s[4:5]
	v_cmp_lt_i64_e64 s[4:5], v[8:9], v[42:43]
	s_or_b64 s[4:5], s[8:9], s[4:5]
	s_or_b64 s[4:5], s[4:5], s[60:61]
	v_lshl_add_u64 v[10:11], v[36:37], 0, v[34:35]
	s_nor_b64 s[4:5], s[12:13], s[4:5]
	s_and_saveexec_b64 s[12:13], s[4:5]
	s_xor_b64 s[4:5], exec, s[12:13]
	s_cbranch_execz .LBB120_25
; %bb.24:                               ;   in Loop: Header=BB120_7 Depth=2
	global_load_dwordx4 v[12:15], v[10:11], off offset:-256
	v_add_u32_e32 v8, 0x2000, v68
	s_waitcnt vmcnt(0)
	ds_write2_b64 v8, v[12:13], v[14:15] offset1:1
.LBB120_25:                             ;   in Loop: Header=BB120_7 Depth=2
	s_andn2_saveexec_b64 s[4:5], s[4:5]
	s_cbranch_execz .LBB120_31
; %bb.26:                               ;   in Loop: Header=BB120_7 Depth=2
	s_xor_b64 s[12:13], s[60:61], -1
	s_and_saveexec_b64 s[60:61], s[12:13]
	s_xor_b64 s[12:13], exec, s[60:61]
; %bb.27:                               ;   in Loop: Header=BB120_7 Depth=2
	ds_write_b128 v68, v[0:3] offset:8192
; %bb.28:                               ;   in Loop: Header=BB120_7 Depth=2
	s_andn2_saveexec_b64 s[12:13], s[12:13]
; %bb.29:                               ;   in Loop: Header=BB120_7 Depth=2
	ds_write_b128 v68, v[4:7] offset:8192
; %bb.30:                               ;   in Loop: Header=BB120_7 Depth=2
	s_or_b64 exec, exec, s[12:13]
.LBB120_31:                             ;   in Loop: Header=BB120_7 Depth=2
	s_or_b64 exec, exec, s[4:5]
	s_or_b64 s[4:5], s[8:9], s[10:11]
	s_or_b64 s[4:5], s[14:15], s[4:5]
	s_nor_b64 s[4:5], s[4:5], s[58:59]
	s_and_saveexec_b64 s[10:11], s[4:5]
	s_xor_b64 s[4:5], exec, s[10:11]
	s_cbranch_execz .LBB120_33
; %bb.32:                               ;   in Loop: Header=BB120_7 Depth=2
	global_load_dwordx4 v[8:11], v[10:11], off
	v_add_u32_e32 v12, 0x2100, v68
	s_waitcnt vmcnt(0)
	ds_write2_b64 v12, v[8:9], v[10:11] offset1:1
.LBB120_33:                             ;   in Loop: Header=BB120_7 Depth=2
	s_andn2_saveexec_b64 s[4:5], s[4:5]
	s_cbranch_execz .LBB120_39
; %bb.34:                               ;   in Loop: Header=BB120_7 Depth=2
	s_and_saveexec_b64 s[10:11], s[38:39]
	s_xor_b64 s[10:11], exec, s[10:11]
; %bb.35:                               ;   in Loop: Header=BB120_7 Depth=2
	ds_write_b128 v68, v[0:3] offset:8448
; %bb.36:                               ;   in Loop: Header=BB120_7 Depth=2
	s_andn2_saveexec_b64 s[10:11], s[10:11]
; %bb.37:                               ;   in Loop: Header=BB120_7 Depth=2
	ds_write_b128 v68, v[4:7] offset:8448
; %bb.38:                               ;   in Loop: Header=BB120_7 Depth=2
	s_or_b64 exec, exec, s[10:11]
.LBB120_39:                             ;   in Loop: Header=BB120_7 Depth=2
	s_or_b64 exec, exec, s[4:5]
	v_lshl_add_u64 v[8:9], v[22:23], 0, s[30:31]
	v_cmp_le_i64_e64 s[10:11], s[50:51], v[8:9]
	v_lshl_add_u64 v[10:11], v[32:33], 0, v[48:49]
	s_nor_b64 s[4:5], s[10:11], vcc
	s_and_saveexec_b64 s[12:13], s[4:5]
	s_xor_b64 s[4:5], exec, s[12:13]
	s_cbranch_execz .LBB120_41
; %bb.40:                               ;   in Loop: Header=BB120_7 Depth=2
	global_load_dwordx4 v[12:15], v[10:11], off offset:-256
	s_waitcnt vmcnt(0)
	ds_write2_b64 v70, v[12:13], v[14:15] offset1:1
.LBB120_41:                             ;   in Loop: Header=BB120_7 Depth=2
	s_andn2_saveexec_b64 s[4:5], s[4:5]
; %bb.42:                               ;   in Loop: Header=BB120_7 Depth=2
	ds_write_b128 v70, v[0:3]
; %bb.43:                               ;   in Loop: Header=BB120_7 Depth=2
	s_or_b64 exec, exec, s[4:5]
	s_nor_b64 s[4:5], s[10:11], s[0:1]
	s_and_saveexec_b64 s[10:11], s[4:5]
	s_xor_b64 s[4:5], exec, s[10:11]
	s_cbranch_execz .LBB120_45
; %bb.44:                               ;   in Loop: Header=BB120_7 Depth=2
	global_load_dwordx4 v[10:13], v[10:11], off
	v_add_u32_e32 v14, 0x100, v70
	s_waitcnt vmcnt(0)
	ds_write2_b64 v14, v[10:11], v[12:13] offset1:1
.LBB120_45:                             ;   in Loop: Header=BB120_7 Depth=2
	s_andn2_saveexec_b64 s[4:5], s[4:5]
; %bb.46:                               ;   in Loop: Header=BB120_7 Depth=2
	ds_write_b128 v70, v[0:3] offset:256
; %bb.47:                               ;   in Loop: Header=BB120_7 Depth=2
	s_or_b64 exec, exec, s[4:5]
	v_cmp_le_i64_e64 s[10:11], s[54:55], v[8:9]
	v_lshl_add_u64 v[8:9], v[40:41], 0, v[48:49]
	s_nor_b64 s[4:5], s[10:11], vcc
	s_and_saveexec_b64 s[12:13], s[4:5]
	s_xor_b64 s[4:5], exec, s[12:13]
	s_cbranch_execz .LBB120_49
; %bb.48:                               ;   in Loop: Header=BB120_7 Depth=2
	global_load_dwordx4 v[10:13], v[8:9], off
	v_add_u32_e32 v14, 0x2000, v70
	s_waitcnt vmcnt(0)
	ds_write2_b64 v14, v[10:11], v[12:13] offset1:1
.LBB120_49:                             ;   in Loop: Header=BB120_7 Depth=2
	s_andn2_saveexec_b64 s[4:5], s[4:5]
; %bb.50:                               ;   in Loop: Header=BB120_7 Depth=2
	ds_write_b128 v70, v[0:3] offset:8192
; %bb.51:                               ;   in Loop: Header=BB120_7 Depth=2
	s_or_b64 exec, exec, s[4:5]
	s_nor_b64 s[4:5], s[10:11], s[0:1]
	s_and_saveexec_b64 s[10:11], s[4:5]
	s_xor_b64 s[4:5], exec, s[10:11]
	s_cbranch_execz .LBB120_53
; %bb.52:                               ;   in Loop: Header=BB120_7 Depth=2
	global_load_dwordx4 v[8:11], v[8:9], off offset:256
	s_waitcnt vmcnt(0)
	ds_write2_b64 v71, v[8:9], v[10:11] offset1:1
.LBB120_53:                             ;   in Loop: Header=BB120_7 Depth=2
	s_andn2_saveexec_b64 s[4:5], s[4:5]
	s_cbranch_execz .LBB120_6
; %bb.54:                               ;   in Loop: Header=BB120_7 Depth=2
	ds_write_b128 v70, v[0:3] offset:8448
	s_branch .LBB120_6
.LBB120_55:                             ;   in Loop: Header=BB120_4 Depth=1
	v_mov_b64_e32 v[62:63], 0
	v_mov_b64_e32 v[64:65], 0
	;; [unrolled: 1-line block ×8, first 2 shown]
.LBB120_56:                             ;   in Loop: Header=BB120_4 Depth=1
	v_mul_lo_u32 v10, s53, v28
	v_mul_lo_u32 v11, s52, v29
	v_mad_u64_u32 v[8:9], s[4:5], s52, v28, 0
	v_cmp_gt_i32_e64 s[6:7], s50, v28
	v_add3_u32 v9, v9, v11, v10
	v_lshl_add_u64 v[8:9], v[8:9], 4, s[34:35]
	s_and_b64 s[8:9], s[16:17], s[6:7]
	s_and_saveexec_b64 s[4:5], s[8:9]
	s_cbranch_execz .LBB120_58
; %bb.57:                               ;   in Loop: Header=BB120_4 Depth=1
	v_lshl_add_u64 v[14:15], v[16:17], 4, v[8:9]
	global_load_dwordx4 v[10:13], v[14:15], off
	v_mul_f64 v[30:31], s[46:47], v[64:65]
	v_mul_f64 v[32:33], s[44:45], v[64:65]
	v_fma_f64 v[30:31], s[44:45], v[62:63], -v[30:31]
	v_fmac_f64_e32 v[32:33], s[46:47], v[62:63]
	s_waitcnt vmcnt(0)
	v_add_f64 v[10:11], v[10:11], v[30:31]
	v_add_f64 v[12:13], v[32:33], v[12:13]
	global_store_dwordx4 v[14:15], v[10:13], off
.LBB120_58:                             ;   in Loop: Header=BB120_4 Depth=1
	s_or_b64 exec, exec, s[4:5]
	s_and_b64 s[6:7], s[18:19], s[6:7]
	s_and_saveexec_b64 s[4:5], s[6:7]
	s_cbranch_execz .LBB120_60
; %bb.59:                               ;   in Loop: Header=BB120_4 Depth=1
	v_lshl_add_u64 v[12:13], v[18:19], 4, v[8:9]
	global_load_dwordx4 v[8:11], v[12:13], off
	v_mul_f64 v[14:15], s[46:47], v[60:61]
	v_mul_f64 v[30:31], s[44:45], v[60:61]
	v_fma_f64 v[14:15], s[44:45], v[58:59], -v[14:15]
	v_fmac_f64_e32 v[30:31], s[46:47], v[58:59]
	s_waitcnt vmcnt(0)
	v_add_f64 v[8:9], v[8:9], v[14:15]
	v_add_f64 v[10:11], v[30:31], v[10:11]
	global_store_dwordx4 v[12:13], v[8:11], off
.LBB120_60:                             ;   in Loop: Header=BB120_4 Depth=1
	s_or_b64 exec, exec, s[4:5]
	s_nop 0
	v_add_u32_e32 v8, 16, v28
	v_ashrrev_i32_e32 v9, 31, v8
	v_cmp_gt_i32_e64 s[6:7], s50, v8
	v_mul_lo_u32 v10, s52, v9
	v_mul_lo_u32 v11, s53, v8
	v_mad_u64_u32 v[8:9], s[4:5], s52, v8, 0
	v_add3_u32 v9, v9, v10, v11
	v_lshl_add_u64 v[8:9], v[8:9], 4, s[34:35]
	s_and_b64 s[8:9], s[16:17], s[6:7]
	s_and_saveexec_b64 s[4:5], s[8:9]
	s_cbranch_execz .LBB120_62
; %bb.61:                               ;   in Loop: Header=BB120_4 Depth=1
	v_lshl_add_u64 v[14:15], v[16:17], 4, v[8:9]
	global_load_dwordx4 v[10:13], v[14:15], off
	v_mul_f64 v[28:29], s[46:47], v[56:57]
	v_mul_f64 v[30:31], s[44:45], v[56:57]
	v_fma_f64 v[28:29], s[44:45], v[54:55], -v[28:29]
	v_fmac_f64_e32 v[30:31], s[46:47], v[54:55]
	s_waitcnt vmcnt(0)
	v_add_f64 v[10:11], v[10:11], v[28:29]
	v_add_f64 v[12:13], v[30:31], v[12:13]
	global_store_dwordx4 v[14:15], v[10:13], off
.LBB120_62:                             ;   in Loop: Header=BB120_4 Depth=1
	s_or_b64 exec, exec, s[4:5]
	s_and_b64 s[6:7], s[18:19], s[6:7]
	s_and_saveexec_b64 s[4:5], s[6:7]
	s_cbranch_execz .LBB120_3
; %bb.63:                               ;   in Loop: Header=BB120_4 Depth=1
	v_lshl_add_u64 v[12:13], v[18:19], 4, v[8:9]
	global_load_dwordx4 v[8:11], v[12:13], off
	v_mul_f64 v[14:15], s[46:47], v[50:51]
	v_mul_f64 v[28:29], s[44:45], v[50:51]
	v_fma_f64 v[14:15], s[44:45], v[52:53], -v[14:15]
	v_fmac_f64_e32 v[28:29], s[46:47], v[52:53]
	s_waitcnt vmcnt(0)
	v_add_f64 v[8:9], v[8:9], v[14:15]
	v_add_f64 v[10:11], v[28:29], v[10:11]
	global_store_dwordx4 v[12:13], v[8:11], off
	s_branch .LBB120_3
.LBB120_64:
	s_endpgm
	.section	.rodata,"a",@progbits
	.p2align	6, 0x0
	.amdhsa_kernel _ZL30rocblas_trmm_outofplace_kernelI19rocblas_complex_numIdELi32ELi2ELb0ELb0ELb0ELb0EPKS1_S2_S1_Ev17rocblas_diagonal_iiT6_lPT7_lllS7_lllPT8_llli
		.amdhsa_group_segment_fixed_size 32768
		.amdhsa_private_segment_fixed_size 0
		.amdhsa_kernarg_size 392
		.amdhsa_user_sgpr_count 2
		.amdhsa_user_sgpr_dispatch_ptr 0
		.amdhsa_user_sgpr_queue_ptr 0
		.amdhsa_user_sgpr_kernarg_segment_ptr 1
		.amdhsa_user_sgpr_dispatch_id 0
		.amdhsa_user_sgpr_kernarg_preload_length 0
		.amdhsa_user_sgpr_kernarg_preload_offset 0
		.amdhsa_user_sgpr_private_segment_size 0
		.amdhsa_uses_dynamic_stack 0
		.amdhsa_enable_private_segment 0
		.amdhsa_system_sgpr_workgroup_id_x 1
		.amdhsa_system_sgpr_workgroup_id_y 1
		.amdhsa_system_sgpr_workgroup_id_z 1
		.amdhsa_system_sgpr_workgroup_info 0
		.amdhsa_system_vgpr_workitem_id 1
		.amdhsa_next_free_vgpr 94
		.amdhsa_next_free_sgpr 66
		.amdhsa_accum_offset 96
		.amdhsa_reserve_vcc 1
		.amdhsa_float_round_mode_32 0
		.amdhsa_float_round_mode_16_64 0
		.amdhsa_float_denorm_mode_32 3
		.amdhsa_float_denorm_mode_16_64 3
		.amdhsa_dx10_clamp 1
		.amdhsa_ieee_mode 1
		.amdhsa_fp16_overflow 0
		.amdhsa_tg_split 0
		.amdhsa_exception_fp_ieee_invalid_op 0
		.amdhsa_exception_fp_denorm_src 0
		.amdhsa_exception_fp_ieee_div_zero 0
		.amdhsa_exception_fp_ieee_overflow 0
		.amdhsa_exception_fp_ieee_underflow 0
		.amdhsa_exception_fp_ieee_inexact 0
		.amdhsa_exception_int_div_zero 0
	.end_amdhsa_kernel
	.section	.text._ZL30rocblas_trmm_outofplace_kernelI19rocblas_complex_numIdELi32ELi2ELb0ELb0ELb0ELb0EPKS1_S2_S1_Ev17rocblas_diagonal_iiT6_lPT7_lllS7_lllPT8_llli,"axG",@progbits,_ZL30rocblas_trmm_outofplace_kernelI19rocblas_complex_numIdELi32ELi2ELb0ELb0ELb0ELb0EPKS1_S2_S1_Ev17rocblas_diagonal_iiT6_lPT7_lllS7_lllPT8_llli,comdat
.Lfunc_end120:
	.size	_ZL30rocblas_trmm_outofplace_kernelI19rocblas_complex_numIdELi32ELi2ELb0ELb0ELb0ELb0EPKS1_S2_S1_Ev17rocblas_diagonal_iiT6_lPT7_lllS7_lllPT8_llli, .Lfunc_end120-_ZL30rocblas_trmm_outofplace_kernelI19rocblas_complex_numIdELi32ELi2ELb0ELb0ELb0ELb0EPKS1_S2_S1_Ev17rocblas_diagonal_iiT6_lPT7_lllS7_lllPT8_llli
                                        ; -- End function
	.set _ZL30rocblas_trmm_outofplace_kernelI19rocblas_complex_numIdELi32ELi2ELb0ELb0ELb0ELb0EPKS1_S2_S1_Ev17rocblas_diagonal_iiT6_lPT7_lllS7_lllPT8_llli.num_vgpr, 94
	.set _ZL30rocblas_trmm_outofplace_kernelI19rocblas_complex_numIdELi32ELi2ELb0ELb0ELb0ELb0EPKS1_S2_S1_Ev17rocblas_diagonal_iiT6_lPT7_lllS7_lllPT8_llli.num_agpr, 0
	.set _ZL30rocblas_trmm_outofplace_kernelI19rocblas_complex_numIdELi32ELi2ELb0ELb0ELb0ELb0EPKS1_S2_S1_Ev17rocblas_diagonal_iiT6_lPT7_lllS7_lllPT8_llli.numbered_sgpr, 66
	.set _ZL30rocblas_trmm_outofplace_kernelI19rocblas_complex_numIdELi32ELi2ELb0ELb0ELb0ELb0EPKS1_S2_S1_Ev17rocblas_diagonal_iiT6_lPT7_lllS7_lllPT8_llli.num_named_barrier, 0
	.set _ZL30rocblas_trmm_outofplace_kernelI19rocblas_complex_numIdELi32ELi2ELb0ELb0ELb0ELb0EPKS1_S2_S1_Ev17rocblas_diagonal_iiT6_lPT7_lllS7_lllPT8_llli.private_seg_size, 0
	.set _ZL30rocblas_trmm_outofplace_kernelI19rocblas_complex_numIdELi32ELi2ELb0ELb0ELb0ELb0EPKS1_S2_S1_Ev17rocblas_diagonal_iiT6_lPT7_lllS7_lllPT8_llli.uses_vcc, 1
	.set _ZL30rocblas_trmm_outofplace_kernelI19rocblas_complex_numIdELi32ELi2ELb0ELb0ELb0ELb0EPKS1_S2_S1_Ev17rocblas_diagonal_iiT6_lPT7_lllS7_lllPT8_llli.uses_flat_scratch, 0
	.set _ZL30rocblas_trmm_outofplace_kernelI19rocblas_complex_numIdELi32ELi2ELb0ELb0ELb0ELb0EPKS1_S2_S1_Ev17rocblas_diagonal_iiT6_lPT7_lllS7_lllPT8_llli.has_dyn_sized_stack, 0
	.set _ZL30rocblas_trmm_outofplace_kernelI19rocblas_complex_numIdELi32ELi2ELb0ELb0ELb0ELb0EPKS1_S2_S1_Ev17rocblas_diagonal_iiT6_lPT7_lllS7_lllPT8_llli.has_recursion, 0
	.set _ZL30rocblas_trmm_outofplace_kernelI19rocblas_complex_numIdELi32ELi2ELb0ELb0ELb0ELb0EPKS1_S2_S1_Ev17rocblas_diagonal_iiT6_lPT7_lllS7_lllPT8_llli.has_indirect_call, 0
	.section	.AMDGPU.csdata,"",@progbits
; Kernel info:
; codeLenInByte = 9120
; TotalNumSgprs: 72
; NumVgprs: 94
; NumAgprs: 0
; TotalNumVgprs: 94
; ScratchSize: 0
; MemoryBound: 0
; FloatMode: 240
; IeeeMode: 1
; LDSByteSize: 32768 bytes/workgroup (compile time only)
; SGPRBlocks: 8
; VGPRBlocks: 11
; NumSGPRsForWavesPerEU: 72
; NumVGPRsForWavesPerEU: 94
; AccumOffset: 96
; Occupancy: 5
; WaveLimiterHint : 0
; COMPUTE_PGM_RSRC2:SCRATCH_EN: 0
; COMPUTE_PGM_RSRC2:USER_SGPR: 2
; COMPUTE_PGM_RSRC2:TRAP_HANDLER: 0
; COMPUTE_PGM_RSRC2:TGID_X_EN: 1
; COMPUTE_PGM_RSRC2:TGID_Y_EN: 1
; COMPUTE_PGM_RSRC2:TGID_Z_EN: 1
; COMPUTE_PGM_RSRC2:TIDIG_COMP_CNT: 1
; COMPUTE_PGM_RSRC3_GFX90A:ACCUM_OFFSET: 23
; COMPUTE_PGM_RSRC3_GFX90A:TG_SPLIT: 0
	.section	.text._ZL30rocblas_trmm_outofplace_kernelI19rocblas_complex_numIdELi32ELi2ELb0ELb0ELb0ELb0ES1_KS1_S1_Ev17rocblas_diagonal_iiT6_lPT7_lllS6_lllPT8_llli,"axG",@progbits,_ZL30rocblas_trmm_outofplace_kernelI19rocblas_complex_numIdELi32ELi2ELb0ELb0ELb0ELb0ES1_KS1_S1_Ev17rocblas_diagonal_iiT6_lPT7_lllS6_lllPT8_llli,comdat
	.globl	_ZL30rocblas_trmm_outofplace_kernelI19rocblas_complex_numIdELi32ELi2ELb0ELb0ELb0ELb0ES1_KS1_S1_Ev17rocblas_diagonal_iiT6_lPT7_lllS6_lllPT8_llli ; -- Begin function _ZL30rocblas_trmm_outofplace_kernelI19rocblas_complex_numIdELi32ELi2ELb0ELb0ELb0ELb0ES1_KS1_S1_Ev17rocblas_diagonal_iiT6_lPT7_lllS6_lllPT8_llli
	.p2align	8
	.type	_ZL30rocblas_trmm_outofplace_kernelI19rocblas_complex_numIdELi32ELi2ELb0ELb0ELb0ELb0ES1_KS1_S1_Ev17rocblas_diagonal_iiT6_lPT7_lllS6_lllPT8_llli,@function
_ZL30rocblas_trmm_outofplace_kernelI19rocblas_complex_numIdELi32ELi2ELb0ELb0ELb0ELb0ES1_KS1_S1_Ev17rocblas_diagonal_iiT6_lPT7_lllS6_lllPT8_llli: ; @_ZL30rocblas_trmm_outofplace_kernelI19rocblas_complex_numIdELi32ELi2ELb0ELb0ELb0ELb0ES1_KS1_S1_Ev17rocblas_diagonal_iiT6_lPT7_lllS6_lllPT8_llli
; %bb.0:
	s_load_dwordx4 s[24:27], s[0:1], 0x10
	s_waitcnt lgkmcnt(0)
	v_cmp_eq_f64_e64 s[6:7], s[24:25], 0
	v_cmp_eq_f64_e64 s[8:9], s[26:27], 0
	s_and_b64 s[6:7], s[6:7], s[8:9]
	s_and_b64 vcc, exec, s[6:7]
	s_cbranch_vccnz .LBB121_64
; %bb.1:
	s_load_dwordx4 s[28:31], s[0:1], 0x0
	s_waitcnt lgkmcnt(0)
	s_add_i32 s5, s30, -1
	s_ashr_i32 s6, s5, 31
	s_lshr_b32 s6, s6, 27
	s_add_i32 s5, s5, s6
	s_ashr_i32 s33, s5, 5
	s_cmp_gt_i32 s3, s33
	s_cbranch_scc1 .LBB121_64
; %bb.2:
	s_load_dwordx8 s[16:23], s[0:1], 0x68
	s_load_dwordx16 s[36:51], s[0:1], 0x28
	v_and_b32_e32 v2, 0x3ff, v0
	v_lshl_add_u32 v16, s2, 5, v2
	v_bfe_u32 v66, v0, 10, 10
	s_waitcnt lgkmcnt(0)
	s_mul_i32 s5, s23, s4
	s_mul_hi_u32 s7, s22, s4
	s_mul_i32 s6, s22, s4
	s_add_i32 s7, s7, s5
	s_lshl_b64 s[6:7], s[6:7], 4
	s_add_u32 s5, s16, s6
	s_addc_u32 s8, s17, s7
	s_lshl_b64 s[6:7], s[18:19], 4
	s_add_u32 s22, s5, s6
	s_addc_u32 s23, s8, s7
	s_cmpk_eq_i32 s28, 0x84
	s_cselect_b64 s[34:35], -1, 0
	s_ashr_i32 s2, s29, 31
	v_mov_b32_e32 v1, s2
	s_load_dword s2, s[0:1], 0x94
	s_ashr_i32 s31, s30, 31
	s_lshl_b64 s[52:53], s[48:49], 9
	s_add_u32 s54, s30, -16
	s_addc_u32 s55, s31, -1
	s_lshl_b32 s5, s3, 5
	s_waitcnt lgkmcnt(0)
	s_lshl_b32 s62, s2, 5
	v_add_u32_e32 v18, 16, v16
	v_add_u32_e32 v20, s5, v2
	;; [unrolled: 1-line block ×3, first 2 shown]
	s_add_u32 s28, s44, 0x100
	s_mul_i32 s5, s51, s4
	s_mul_hi_u32 s6, s50, s4
	v_sub_co_u32_e32 v0, vcc, s29, v16
	v_cmp_gt_i32_e64 s[16:17], s29, v16
	v_cmp_gt_i32_e64 s[18:19], s29, v18
	s_addc_u32 s29, s45, 0
	s_add_i32 s7, s6, s5
	s_mul_i32 s6, s50, s4
	s_lshl_b64 s[56:57], s[48:49], 4
	s_lshl_b64 s[6:7], s[6:7], 4
	s_lshl_b64 s[8:9], s[46:47], 4
	s_add_u32 s6, s6, s8
	v_ashrrev_i32_e32 v17, 31, v16
	s_addc_u32 s7, s7, s9
	v_lshl_add_u64 v[24:25], v[16:17], 4, s[6:7]
	s_mul_i32 s5, s43, s4
	s_mul_hi_u32 s6, s42, s4
	s_add_i32 s5, s6, s5
	s_mul_i32 s4, s42, s4
	s_lshl_b64 s[4:5], s[4:5], 4
	s_lshl_b64 s[6:7], s[38:39], 4
	s_add_u32 s4, s4, s6
	s_addc_u32 s5, s5, s7
	v_lshlrev_b32_e32 v3, 4, v2
	s_add_u32 s4, s36, s4
	v_lshlrev_b32_e32 v67, 9, v66
	v_subb_co_u32_e32 v1, vcc, v1, v17, vcc
	v_or_b32_e32 v69, 0x4000, v3
	s_addc_u32 s5, s37, s5
	v_add_u32_e32 v70, v69, v67
	v_cmp_gt_i64_e32 vcc, 1, v[0:1]
	v_cmp_gt_i64_e64 s[0:1], 17, v[0:1]
	s_add_u32 s36, s4, 0x100
	v_mov_b32_e32 v0, 0
	v_add_u32_e32 v68, v67, v3
	v_add_u32_e32 v71, 0x2100, v70
	v_ashrrev_i32_e32 v19, 31, v18
	s_addc_u32 s37, s5, 0
	s_lshl_b64 s[38:39], s[40:41], 4
	s_mov_b64 s[42:43], 0x200
	v_mov_b64_e32 v[26:27], 0x100
	v_mov_b32_e32 v1, v0
	v_mov_b32_e32 v2, v0
	;; [unrolled: 1-line block ×7, first 2 shown]
	s_branch .LBB121_4
.LBB121_3:                              ;   in Loop: Header=BB121_4 Depth=1
	s_or_b64 exec, exec, s[4:5]
	s_add_i32 s3, s2, s3
	v_add_u32_e32 v20, s62, v20
	s_cmp_le_i32 s3, s33
	v_add_u32_e32 v22, s62, v22
	s_cbranch_scc0 .LBB121_64
.LBB121_4:                              ; =>This Loop Header: Depth=1
                                        ;     Child Loop BB121_7 Depth 2
	s_lshl_b32 s4, s3, 5
	v_add_u32_e32 v28, s4, v66
	s_sub_i32 s63, s30, s4
	v_ashrrev_i32_e32 v21, 31, v20
	v_ashrrev_i32_e32 v23, 31, v22
	s_cmp_lt_i32 s63, 1
	v_ashrrev_i32_e32 v29, 31, v28
	s_cbranch_scc1 .LBB121_55
; %bb.5:                                ;   in Loop: Header=BB121_4 Depth=1
	v_sub_co_u32_e64 v30, s[4:5], v22, v20
	v_mov_b64_e32 v[8:9], s[28:29]
	s_nop 0
	v_subb_co_u32_e64 v31, s[4:5], v23, v21, s[4:5]
	v_mad_u64_u32 v[32:33], s[4:5], s56, v22, v[8:9]
	v_mul_lo_u32 v8, s56, v23
	v_mul_lo_u32 v9, s57, v22
	v_add3_u32 v33, v9, v33, v8
	v_lshl_add_u64 v[8:9], v[22:23], 4, v[26:27]
	v_mov_b64_e32 v[10:11], s[36:37]
	v_mad_u64_u32 v[36:37], s[4:5], s40, v8, v[10:11]
	v_mad_u64_u32 v[38:39], s[4:5], s38, v22, v[10:11]
	v_mul_lo_u32 v10, s38, v23
	v_mul_lo_u32 v11, s39, v22
	;; [unrolled: 1-line block ×4, first 2 shown]
	v_add3_u32 v39, v11, v39, v10
	v_mov_b64_e32 v[10:11], s[44:45]
	v_add3_u32 v37, v13, v37, v12
	v_mul_lo_u32 v9, s48, v9
	v_mul_lo_u32 v12, s49, v8
	v_mad_u64_u32 v[40:41], s[4:5], s48, v8, v[10:11]
	v_lshl_add_u64 v[42:43], v[28:29], 0, 16
	v_lshlrev_b64 v[34:35], 4, v[20:21]
	v_add3_u32 v41, v12, v41, v9
	v_cmp_le_i32_e64 s[6:7], s30, v28
	v_cmp_le_i64_e64 s[8:9], s[30:31], v[42:43]
	v_lshl_add_u64 v[44:45], v[30:31], 0, 16
	v_lshl_add_u64 v[46:47], v[30:31], 0, -16
	v_mov_b64_e32 v[50:51], 0
	s_mov_b64 s[46:47], 0
	v_mov_b64_e32 v[48:49], v[24:25]
	v_mov_b64_e32 v[52:53], 0
	;; [unrolled: 1-line block ×8, first 2 shown]
	s_branch .LBB121_7
.LBB121_6:                              ;   in Loop: Header=BB121_7 Depth=2
	s_or_b64 exec, exec, s[4:5]
	s_waitcnt lgkmcnt(0)
	s_barrier
	ds_read_b128 v[72:75], v69
	ds_read_b128 v[76:79], v67
	ds_read_b128 v[80:83], v67 offset:16
	ds_read_b128 v[12:15], v67 offset:32
	;; [unrolled: 1-line block ×4, first 2 shown]
	s_waitcnt lgkmcnt(4)
	v_mul_f64 v[88:89], v[78:79], v[74:75]
	v_fma_f64 v[88:89], v[76:77], v[72:73], -v[88:89]
	v_mul_f64 v[90:91], v[76:77], v[74:75]
	v_fmac_f64_e32 v[90:91], v[78:79], v[72:73]
	v_add_f64 v[88:89], v[62:63], v[88:89]
	s_waitcnt lgkmcnt(0)
	v_mul_f64 v[62:63], v[78:79], v[86:87]
	v_add_f64 v[90:91], v[90:91], v[64:65]
	v_fma_f64 v[92:93], v[76:77], v[84:85], -v[62:63]
	ds_read_b128 v[62:65], v67 offset:8192
	v_mul_f64 v[76:77], v[76:77], v[86:87]
	v_fmac_f64_e32 v[76:77], v[78:79], v[84:85]
	v_add_f64 v[78:79], v[58:59], v[92:93]
	v_add_f64 v[76:77], v[76:77], v[60:61]
	ds_read_b128 v[58:61], v67 offset:8208
	s_waitcnt lgkmcnt(1)
	v_mul_f64 v[92:93], v[64:65], v[74:75]
	v_fma_f64 v[92:93], v[62:63], v[72:73], -v[92:93]
	v_mul_f64 v[74:75], v[62:63], v[74:75]
	v_fmac_f64_e32 v[74:75], v[64:65], v[72:73]
	v_add_f64 v[72:73], v[54:55], v[92:93]
	v_mul_f64 v[54:55], v[64:65], v[86:87]
	v_add_f64 v[74:75], v[74:75], v[56:57]
	v_fma_f64 v[92:93], v[62:63], v[84:85], -v[54:55]
	v_mul_f64 v[62:63], v[62:63], v[86:87]
	ds_read_b128 v[54:57], v69 offset:512
	v_fmac_f64_e32 v[62:63], v[64:65], v[84:85]
	v_add_f64 v[64:65], v[52:53], v[92:93]
	v_add_f64 v[62:63], v[62:63], v[50:51]
	ds_read_b128 v[50:53], v69 offset:768
	s_waitcnt lgkmcnt(1)
	v_mul_f64 v[84:85], v[82:83], v[56:57]
	v_fma_f64 v[84:85], v[80:81], v[54:55], -v[84:85]
	v_add_f64 v[84:85], v[88:89], v[84:85]
	v_mul_f64 v[86:87], v[80:81], v[56:57]
	s_waitcnt lgkmcnt(0)
	v_mul_f64 v[88:89], v[82:83], v[52:53]
	v_fma_f64 v[88:89], v[80:81], v[50:51], -v[88:89]
	v_mul_f64 v[80:81], v[80:81], v[52:53]
	v_fmac_f64_e32 v[80:81], v[82:83], v[50:51]
	v_add_f64 v[76:77], v[80:81], v[76:77]
	v_mul_f64 v[80:81], v[60:61], v[56:57]
	v_mul_f64 v[56:57], v[58:59], v[56:57]
	v_fmac_f64_e32 v[86:87], v[82:83], v[54:55]
	v_fma_f64 v[80:81], v[58:59], v[54:55], -v[80:81]
	v_fmac_f64_e32 v[56:57], v[60:61], v[54:55]
	v_mul_f64 v[54:55], v[60:61], v[52:53]
	v_add_f64 v[74:75], v[56:57], v[74:75]
	v_fma_f64 v[56:57], v[58:59], v[50:51], -v[54:55]
	v_mul_f64 v[58:59], v[58:59], v[52:53]
	ds_read_b128 v[52:55], v69 offset:1024
	v_fmac_f64_e32 v[58:59], v[60:61], v[50:51]
	v_add_f64 v[72:73], v[72:73], v[80:81]
	v_add_f64 v[64:65], v[64:65], v[56:57]
	v_add_f64 v[80:81], v[58:59], v[62:63]
	ds_read_b128 v[56:59], v69 offset:1280
	s_waitcnt lgkmcnt(1)
	v_mul_f64 v[50:51], v[14:15], v[54:55]
	v_mul_f64 v[60:61], v[12:13], v[54:55]
	v_add_f64 v[86:87], v[86:87], v[90:91]
	v_fma_f64 v[50:51], v[12:13], v[52:53], -v[50:51]
	v_fmac_f64_e32 v[60:61], v[14:15], v[52:53]
	v_add_f64 v[82:83], v[84:85], v[50:51]
	v_add_f64 v[84:85], v[60:61], v[86:87]
	ds_read_b128 v[60:63], v67 offset:8224
	s_waitcnt lgkmcnt(1)
	v_mul_f64 v[50:51], v[14:15], v[58:59]
	v_fma_f64 v[50:51], v[12:13], v[56:57], -v[50:51]
	v_mul_f64 v[12:13], v[12:13], v[58:59]
	v_add_f64 v[78:79], v[78:79], v[88:89]
	v_fmac_f64_e32 v[12:13], v[14:15], v[56:57]
	v_add_f64 v[78:79], v[78:79], v[50:51]
	v_add_f64 v[76:77], v[12:13], v[76:77]
	ds_read_b128 v[12:15], v67 offset:8240
	s_waitcnt lgkmcnt(1)
	v_mul_f64 v[50:51], v[62:63], v[54:55]
	v_fma_f64 v[50:51], v[60:61], v[52:53], -v[50:51]
	v_mul_f64 v[54:55], v[60:61], v[54:55]
	v_fmac_f64_e32 v[54:55], v[62:63], v[52:53]
	v_add_f64 v[72:73], v[72:73], v[50:51]
	v_mul_f64 v[50:51], v[62:63], v[58:59]
	v_add_f64 v[74:75], v[54:55], v[74:75]
	v_fma_f64 v[54:55], v[60:61], v[56:57], -v[50:51]
	v_mul_f64 v[58:59], v[60:61], v[58:59]
	ds_read_b128 v[50:53], v69 offset:1536
	v_fmac_f64_e32 v[58:59], v[62:63], v[56:57]
	v_add_f64 v[60:61], v[64:65], v[54:55]
	ds_read_b128 v[54:57], v69 offset:1792
	v_add_f64 v[58:59], v[58:59], v[80:81]
	s_waitcnt lgkmcnt(1)
	v_mul_f64 v[62:63], v[10:11], v[52:53]
	v_fma_f64 v[62:63], v[8:9], v[50:51], -v[62:63]
	v_mul_f64 v[64:65], v[8:9], v[52:53]
	s_waitcnt lgkmcnt(0)
	v_mul_f64 v[80:81], v[10:11], v[56:57]
	v_fma_f64 v[80:81], v[8:9], v[54:55], -v[80:81]
	v_mul_f64 v[8:9], v[8:9], v[56:57]
	v_fmac_f64_e32 v[8:9], v[10:11], v[54:55]
	v_add_f64 v[76:77], v[8:9], v[76:77]
	v_mul_f64 v[8:9], v[14:15], v[52:53]
	v_fmac_f64_e32 v[64:65], v[10:11], v[50:51]
	v_fma_f64 v[8:9], v[12:13], v[50:51], -v[8:9]
	v_mul_f64 v[10:11], v[12:13], v[52:53]
	v_fmac_f64_e32 v[10:11], v[14:15], v[50:51]
	v_add_f64 v[72:73], v[72:73], v[8:9]
	v_mul_f64 v[8:9], v[14:15], v[56:57]
	v_mul_f64 v[52:53], v[12:13], v[56:57]
	v_add_f64 v[74:75], v[10:11], v[74:75]
	v_fma_f64 v[50:51], v[12:13], v[54:55], -v[8:9]
	v_fmac_f64_e32 v[52:53], v[14:15], v[54:55]
	ds_read_b128 v[8:11], v67 offset:64
	ds_read_b128 v[12:15], v69 offset:2048
	v_add_f64 v[62:63], v[82:83], v[62:63]
	v_add_f64 v[78:79], v[78:79], v[80:81]
	;; [unrolled: 1-line block ×4, first 2 shown]
	ds_read_b128 v[50:53], v69 offset:2304
	ds_read_b128 v[54:57], v67 offset:80
	s_waitcnt lgkmcnt(2)
	v_mul_f64 v[58:59], v[10:11], v[14:15]
	v_fma_f64 v[58:59], v[8:9], v[12:13], -v[58:59]
	v_mul_f64 v[60:61], v[8:9], v[14:15]
	v_add_f64 v[64:65], v[64:65], v[84:85]
	v_fmac_f64_e32 v[60:61], v[10:11], v[12:13]
	v_add_f64 v[62:63], v[62:63], v[58:59]
	s_waitcnt lgkmcnt(1)
	v_mul_f64 v[58:59], v[10:11], v[52:53]
	v_add_f64 v[64:65], v[60:61], v[64:65]
	v_fma_f64 v[84:85], v[8:9], v[50:51], -v[58:59]
	ds_read_b128 v[58:61], v67 offset:8256
	v_mul_f64 v[8:9], v[8:9], v[52:53]
	v_fmac_f64_e32 v[8:9], v[10:11], v[50:51]
	v_add_f64 v[78:79], v[78:79], v[84:85]
	v_add_f64 v[76:77], v[8:9], v[76:77]
	ds_read_b128 v[8:11], v67 offset:8272
	s_waitcnt lgkmcnt(1)
	v_mul_f64 v[84:85], v[60:61], v[14:15]
	v_mul_f64 v[14:15], v[58:59], v[14:15]
	v_fma_f64 v[84:85], v[58:59], v[12:13], -v[84:85]
	v_fmac_f64_e32 v[14:15], v[60:61], v[12:13]
	v_mul_f64 v[12:13], v[60:61], v[52:53]
	v_add_f64 v[72:73], v[72:73], v[84:85]
	v_add_f64 v[74:75], v[14:15], v[74:75]
	v_fma_f64 v[84:85], v[58:59], v[50:51], -v[12:13]
	v_mul_f64 v[52:53], v[58:59], v[52:53]
	ds_read_b128 v[12:15], v69 offset:2560
	v_fmac_f64_e32 v[52:53], v[60:61], v[50:51]
	v_add_f64 v[60:61], v[52:53], v[82:83]
	ds_read_b128 v[50:53], v69 offset:2816
	v_add_f64 v[58:59], v[80:81], v[84:85]
	s_waitcnt lgkmcnt(1)
	v_mul_f64 v[80:81], v[56:57], v[14:15]
	v_fma_f64 v[80:81], v[54:55], v[12:13], -v[80:81]
	v_add_f64 v[62:63], v[62:63], v[80:81]
	s_waitcnt lgkmcnt(0)
	v_mul_f64 v[80:81], v[56:57], v[52:53]
	v_mul_f64 v[82:83], v[54:55], v[14:15]
	v_fma_f64 v[80:81], v[54:55], v[50:51], -v[80:81]
	v_mul_f64 v[54:55], v[54:55], v[52:53]
	v_fmac_f64_e32 v[54:55], v[56:57], v[50:51]
	v_add_f64 v[76:77], v[54:55], v[76:77]
	v_mul_f64 v[54:55], v[10:11], v[14:15]
	v_mul_f64 v[14:15], v[8:9], v[14:15]
	v_fmac_f64_e32 v[82:83], v[56:57], v[12:13]
	v_fma_f64 v[54:55], v[8:9], v[12:13], -v[54:55]
	v_fmac_f64_e32 v[14:15], v[10:11], v[12:13]
	v_mul_f64 v[12:13], v[10:11], v[52:53]
	v_mul_f64 v[52:53], v[8:9], v[52:53]
	v_add_f64 v[72:73], v[72:73], v[54:55]
	v_add_f64 v[74:75], v[14:15], v[74:75]
	v_fma_f64 v[54:55], v[8:9], v[50:51], -v[12:13]
	v_fmac_f64_e32 v[52:53], v[10:11], v[50:51]
	ds_read_b128 v[8:11], v67 offset:96
	ds_read_b128 v[12:15], v69 offset:3072
	v_add_f64 v[64:65], v[82:83], v[64:65]
	v_add_f64 v[78:79], v[78:79], v[80:81]
	v_add_f64 v[80:81], v[58:59], v[54:55]
	v_add_f64 v[82:83], v[52:53], v[60:61]
	ds_read_b128 v[50:53], v69 offset:3328
	ds_read_b128 v[54:57], v67 offset:112
	s_waitcnt lgkmcnt(2)
	v_mul_f64 v[58:59], v[10:11], v[14:15]
	v_fma_f64 v[58:59], v[8:9], v[12:13], -v[58:59]
	v_mul_f64 v[60:61], v[8:9], v[14:15]
	v_fmac_f64_e32 v[60:61], v[10:11], v[12:13]
	v_add_f64 v[62:63], v[62:63], v[58:59]
	s_waitcnt lgkmcnt(1)
	v_mul_f64 v[58:59], v[10:11], v[52:53]
	v_add_f64 v[64:65], v[60:61], v[64:65]
	v_fma_f64 v[84:85], v[8:9], v[50:51], -v[58:59]
	ds_read_b128 v[58:61], v67 offset:8288
	v_mul_f64 v[8:9], v[8:9], v[52:53]
	v_fmac_f64_e32 v[8:9], v[10:11], v[50:51]
	v_add_f64 v[78:79], v[78:79], v[84:85]
	v_add_f64 v[76:77], v[8:9], v[76:77]
	ds_read_b128 v[8:11], v67 offset:8304
	s_waitcnt lgkmcnt(1)
	v_mul_f64 v[84:85], v[60:61], v[14:15]
	v_mul_f64 v[14:15], v[58:59], v[14:15]
	v_fma_f64 v[84:85], v[58:59], v[12:13], -v[84:85]
	v_fmac_f64_e32 v[14:15], v[60:61], v[12:13]
	v_mul_f64 v[12:13], v[60:61], v[52:53]
	v_add_f64 v[72:73], v[72:73], v[84:85]
	v_add_f64 v[74:75], v[14:15], v[74:75]
	v_fma_f64 v[84:85], v[58:59], v[50:51], -v[12:13]
	v_mul_f64 v[52:53], v[58:59], v[52:53]
	ds_read_b128 v[12:15], v69 offset:3584
	v_fmac_f64_e32 v[52:53], v[60:61], v[50:51]
	v_add_f64 v[60:61], v[52:53], v[82:83]
	ds_read_b128 v[50:53], v69 offset:3840
	v_add_f64 v[58:59], v[80:81], v[84:85]
	s_waitcnt lgkmcnt(1)
	v_mul_f64 v[80:81], v[56:57], v[14:15]
	v_fma_f64 v[80:81], v[54:55], v[12:13], -v[80:81]
	v_add_f64 v[62:63], v[62:63], v[80:81]
	s_waitcnt lgkmcnt(0)
	v_mul_f64 v[80:81], v[56:57], v[52:53]
	v_mul_f64 v[82:83], v[54:55], v[14:15]
	v_fma_f64 v[80:81], v[54:55], v[50:51], -v[80:81]
	v_mul_f64 v[54:55], v[54:55], v[52:53]
	v_fmac_f64_e32 v[54:55], v[56:57], v[50:51]
	v_add_f64 v[76:77], v[54:55], v[76:77]
	v_mul_f64 v[54:55], v[10:11], v[14:15]
	v_mul_f64 v[14:15], v[8:9], v[14:15]
	v_fmac_f64_e32 v[82:83], v[56:57], v[12:13]
	v_fma_f64 v[54:55], v[8:9], v[12:13], -v[54:55]
	v_fmac_f64_e32 v[14:15], v[10:11], v[12:13]
	v_mul_f64 v[12:13], v[10:11], v[52:53]
	v_mul_f64 v[52:53], v[8:9], v[52:53]
	v_add_f64 v[72:73], v[72:73], v[54:55]
	v_add_f64 v[74:75], v[14:15], v[74:75]
	v_fma_f64 v[54:55], v[8:9], v[50:51], -v[12:13]
	v_fmac_f64_e32 v[52:53], v[10:11], v[50:51]
	ds_read_b128 v[8:11], v67 offset:128
	ds_read_b128 v[12:15], v69 offset:4096
	v_add_f64 v[64:65], v[82:83], v[64:65]
	v_add_f64 v[78:79], v[78:79], v[80:81]
	v_add_f64 v[80:81], v[58:59], v[54:55]
	v_add_f64 v[82:83], v[52:53], v[60:61]
	ds_read_b128 v[50:53], v69 offset:4352
	ds_read_b128 v[54:57], v67 offset:144
	s_waitcnt lgkmcnt(2)
	v_mul_f64 v[58:59], v[10:11], v[14:15]
	v_fma_f64 v[58:59], v[8:9], v[12:13], -v[58:59]
	v_mul_f64 v[60:61], v[8:9], v[14:15]
	;; [unrolled: 61-line block ×13, first 2 shown]
	v_fmac_f64_e32 v[60:61], v[10:11], v[12:13]
	v_add_f64 v[62:63], v[62:63], v[58:59]
	s_waitcnt lgkmcnt(1)
	v_mul_f64 v[58:59], v[10:11], v[52:53]
	v_add_f64 v[64:65], v[60:61], v[64:65]
	v_fma_f64 v[84:85], v[8:9], v[50:51], -v[58:59]
	ds_read_b128 v[58:61], v67 offset:8672
	v_mul_f64 v[8:9], v[8:9], v[52:53]
	v_fmac_f64_e32 v[8:9], v[10:11], v[50:51]
	v_add_f64 v[78:79], v[78:79], v[84:85]
	v_add_f64 v[76:77], v[8:9], v[76:77]
	ds_read_b128 v[8:11], v67 offset:8688
	s_waitcnt lgkmcnt(1)
	v_mul_f64 v[84:85], v[60:61], v[14:15]
	v_mul_f64 v[14:15], v[58:59], v[14:15]
	v_fma_f64 v[84:85], v[58:59], v[12:13], -v[84:85]
	v_fmac_f64_e32 v[14:15], v[60:61], v[12:13]
	v_mul_f64 v[12:13], v[60:61], v[52:53]
	v_add_f64 v[72:73], v[72:73], v[84:85]
	v_add_f64 v[74:75], v[14:15], v[74:75]
	v_fma_f64 v[84:85], v[58:59], v[50:51], -v[12:13]
	v_mul_f64 v[52:53], v[58:59], v[52:53]
	ds_read_b128 v[12:15], v69 offset:15872
	v_fmac_f64_e32 v[52:53], v[60:61], v[50:51]
	v_add_f64 v[82:83], v[52:53], v[82:83]
	ds_read_b128 v[50:53], v69 offset:16128
	s_add_u32 s46, s46, 32
	s_waitcnt lgkmcnt(1)
	v_mul_f64 v[58:59], v[56:57], v[14:15]
	v_fma_f64 v[58:59], v[54:55], v[12:13], -v[58:59]
	v_add_f64 v[62:63], v[62:63], v[58:59]
	s_waitcnt lgkmcnt(0)
	v_mul_f64 v[58:59], v[56:57], v[52:53]
	v_mul_f64 v[60:61], v[54:55], v[14:15]
	v_fma_f64 v[58:59], v[54:55], v[50:51], -v[58:59]
	v_mul_f64 v[54:55], v[54:55], v[52:53]
	v_fmac_f64_e32 v[60:61], v[56:57], v[12:13]
	v_fmac_f64_e32 v[54:55], v[56:57], v[50:51]
	v_add_f64 v[64:65], v[60:61], v[64:65]
	v_add_f64 v[60:61], v[54:55], v[76:77]
	v_mul_f64 v[54:55], v[10:11], v[14:15]
	v_mul_f64 v[14:15], v[8:9], v[14:15]
	v_fma_f64 v[54:55], v[8:9], v[12:13], -v[54:55]
	v_fmac_f64_e32 v[14:15], v[10:11], v[12:13]
	v_mul_f64 v[12:13], v[10:11], v[52:53]
	v_fma_f64 v[12:13], v[8:9], v[50:51], -v[12:13]
	v_mul_f64 v[8:9], v[8:9], v[52:53]
	v_add_f64 v[80:81], v[80:81], v[84:85]
	v_fmac_f64_e32 v[8:9], v[10:11], v[50:51]
	s_addc_u32 s47, s47, 0
	v_add_f64 v[58:59], v[78:79], v[58:59]
	v_add_f64 v[54:55], v[72:73], v[54:55]
	v_add_f64 v[56:57], v[14:15], v[74:75]
	v_add_f64 v[52:53], v[80:81], v[12:13]
	v_add_f64 v[50:51], v[8:9], v[82:83]
	v_lshl_add_u64 v[48:49], v[48:49], 0, s[52:53]
	v_lshl_add_u64 v[36:37], v[36:37], 0, s[42:43]
	s_cmp_ge_i32 s46, s63
	v_lshl_add_u64 v[38:39], v[38:39], 0, s[42:43]
	s_barrier
	s_cbranch_scc1 .LBB121_56
.LBB121_7:                              ;   Parent Loop BB121_4 Depth=1
                                        ; =>  This Inner Loop Header: Depth=2
	v_lshl_add_u64 v[8:9], v[20:21], 0, s[46:47]
	v_cmp_eq_u64_e64 s[4:5], s[46:47], v[30:31]
	v_cmp_lt_i64_e64 s[10:11], v[8:9], v[28:29]
	s_and_b64 s[58:59], s[34:35], s[4:5]
	v_cmp_le_i64_e64 s[12:13], s[30:31], v[8:9]
	s_or_b64 s[4:5], s[6:7], s[10:11]
	s_or_b64 s[4:5], s[12:13], s[4:5]
	v_lshl_add_u64 v[10:11], v[38:39], 0, v[34:35]
	s_nor_b64 s[4:5], s[4:5], s[58:59]
	s_and_saveexec_b64 s[14:15], s[4:5]
	s_xor_b64 s[4:5], exec, s[14:15]
	s_cbranch_execz .LBB121_9
; %bb.8:                                ;   in Loop: Header=BB121_7 Depth=2
	global_load_dwordx4 v[12:15], v[10:11], off offset:-256
	s_waitcnt vmcnt(0)
	ds_write2_b64 v68, v[12:13], v[14:15] offset1:1
.LBB121_9:                              ;   in Loop: Header=BB121_7 Depth=2
	s_or_saveexec_b64 s[4:5], s[4:5]
	s_xor_b64 s[50:51], s[58:59], -1
	s_xor_b64 exec, exec, s[4:5]
	s_cbranch_execz .LBB121_15
; %bb.10:                               ;   in Loop: Header=BB121_7 Depth=2
	s_and_saveexec_b64 s[14:15], s[50:51]
	s_xor_b64 s[14:15], exec, s[14:15]
; %bb.11:                               ;   in Loop: Header=BB121_7 Depth=2
	ds_write_b128 v68, v[0:3]
; %bb.12:                               ;   in Loop: Header=BB121_7 Depth=2
	s_andn2_saveexec_b64 s[14:15], s[14:15]
; %bb.13:                               ;   in Loop: Header=BB121_7 Depth=2
	ds_write_b128 v68, v[4:7]
; %bb.14:                               ;   in Loop: Header=BB121_7 Depth=2
	s_or_b64 exec, exec, s[14:15]
.LBB121_15:                             ;   in Loop: Header=BB121_7 Depth=2
	s_or_b64 exec, exec, s[4:5]
	v_lshl_add_u64 v[12:13], v[8:9], 0, 16
	v_cmp_eq_u64_e64 s[4:5], s[46:47], v[46:47]
	s_and_b64 s[60:61], s[34:35], s[4:5]
	v_cmp_lt_i64_e64 s[4:5], v[12:13], v[28:29]
	v_cmp_le_i64_e64 s[14:15], s[30:31], v[12:13]
	s_or_b64 s[4:5], s[6:7], s[4:5]
	s_or_b64 s[4:5], s[14:15], s[4:5]
	s_nor_b64 s[4:5], s[4:5], s[60:61]
	s_and_saveexec_b64 s[64:65], s[4:5]
	s_xor_b64 s[4:5], exec, s[64:65]
	s_cbranch_execz .LBB121_17
; %bb.16:                               ;   in Loop: Header=BB121_7 Depth=2
	global_load_dwordx4 v[10:13], v[10:11], off
	v_add_u32_e32 v14, 0x100, v68
	s_waitcnt vmcnt(0)
	ds_write2_b64 v14, v[10:11], v[12:13] offset1:1
.LBB121_17:                             ;   in Loop: Header=BB121_7 Depth=2
	s_andn2_saveexec_b64 s[4:5], s[4:5]
	s_cbranch_execz .LBB121_23
; %bb.18:                               ;   in Loop: Header=BB121_7 Depth=2
	s_xor_b64 s[60:61], s[60:61], -1
	s_and_saveexec_b64 s[64:65], s[60:61]
	s_xor_b64 s[60:61], exec, s[64:65]
; %bb.19:                               ;   in Loop: Header=BB121_7 Depth=2
	ds_write_b128 v68, v[0:3] offset:256
; %bb.20:                               ;   in Loop: Header=BB121_7 Depth=2
	s_andn2_saveexec_b64 s[60:61], s[60:61]
; %bb.21:                               ;   in Loop: Header=BB121_7 Depth=2
	ds_write_b128 v68, v[4:7] offset:256
; %bb.22:                               ;   in Loop: Header=BB121_7 Depth=2
	s_or_b64 exec, exec, s[60:61]
.LBB121_23:                             ;   in Loop: Header=BB121_7 Depth=2
	s_or_b64 exec, exec, s[4:5]
	v_cmp_eq_u64_e64 s[4:5], s[46:47], v[44:45]
	s_and_b64 s[60:61], s[34:35], s[4:5]
	v_cmp_lt_i64_e64 s[4:5], v[8:9], v[42:43]
	s_or_b64 s[4:5], s[8:9], s[4:5]
	s_or_b64 s[4:5], s[4:5], s[60:61]
	v_lshl_add_u64 v[10:11], v[36:37], 0, v[34:35]
	s_nor_b64 s[4:5], s[12:13], s[4:5]
	s_and_saveexec_b64 s[12:13], s[4:5]
	s_xor_b64 s[4:5], exec, s[12:13]
	s_cbranch_execz .LBB121_25
; %bb.24:                               ;   in Loop: Header=BB121_7 Depth=2
	global_load_dwordx4 v[12:15], v[10:11], off offset:-256
	v_add_u32_e32 v8, 0x2000, v68
	s_waitcnt vmcnt(0)
	ds_write2_b64 v8, v[12:13], v[14:15] offset1:1
.LBB121_25:                             ;   in Loop: Header=BB121_7 Depth=2
	s_andn2_saveexec_b64 s[4:5], s[4:5]
	s_cbranch_execz .LBB121_31
; %bb.26:                               ;   in Loop: Header=BB121_7 Depth=2
	s_xor_b64 s[12:13], s[60:61], -1
	s_and_saveexec_b64 s[60:61], s[12:13]
	s_xor_b64 s[12:13], exec, s[60:61]
; %bb.27:                               ;   in Loop: Header=BB121_7 Depth=2
	ds_write_b128 v68, v[0:3] offset:8192
; %bb.28:                               ;   in Loop: Header=BB121_7 Depth=2
	s_andn2_saveexec_b64 s[12:13], s[12:13]
; %bb.29:                               ;   in Loop: Header=BB121_7 Depth=2
	ds_write_b128 v68, v[4:7] offset:8192
; %bb.30:                               ;   in Loop: Header=BB121_7 Depth=2
	s_or_b64 exec, exec, s[12:13]
.LBB121_31:                             ;   in Loop: Header=BB121_7 Depth=2
	s_or_b64 exec, exec, s[4:5]
	s_or_b64 s[4:5], s[8:9], s[10:11]
	s_or_b64 s[4:5], s[14:15], s[4:5]
	s_nor_b64 s[4:5], s[4:5], s[58:59]
	s_and_saveexec_b64 s[10:11], s[4:5]
	s_xor_b64 s[4:5], exec, s[10:11]
	s_cbranch_execz .LBB121_33
; %bb.32:                               ;   in Loop: Header=BB121_7 Depth=2
	global_load_dwordx4 v[8:11], v[10:11], off
	v_add_u32_e32 v12, 0x2100, v68
	s_waitcnt vmcnt(0)
	ds_write2_b64 v12, v[8:9], v[10:11] offset1:1
.LBB121_33:                             ;   in Loop: Header=BB121_7 Depth=2
	s_andn2_saveexec_b64 s[4:5], s[4:5]
	s_cbranch_execz .LBB121_39
; %bb.34:                               ;   in Loop: Header=BB121_7 Depth=2
	s_and_saveexec_b64 s[10:11], s[50:51]
	s_xor_b64 s[10:11], exec, s[10:11]
; %bb.35:                               ;   in Loop: Header=BB121_7 Depth=2
	ds_write_b128 v68, v[0:3] offset:8448
; %bb.36:                               ;   in Loop: Header=BB121_7 Depth=2
	s_andn2_saveexec_b64 s[10:11], s[10:11]
; %bb.37:                               ;   in Loop: Header=BB121_7 Depth=2
	ds_write_b128 v68, v[4:7] offset:8448
; %bb.38:                               ;   in Loop: Header=BB121_7 Depth=2
	s_or_b64 exec, exec, s[10:11]
.LBB121_39:                             ;   in Loop: Header=BB121_7 Depth=2
	s_or_b64 exec, exec, s[4:5]
	v_lshl_add_u64 v[8:9], v[22:23], 0, s[46:47]
	v_cmp_le_i64_e64 s[10:11], s[30:31], v[8:9]
	v_lshl_add_u64 v[10:11], v[32:33], 0, v[48:49]
	s_nor_b64 s[4:5], s[10:11], vcc
	s_and_saveexec_b64 s[12:13], s[4:5]
	s_xor_b64 s[4:5], exec, s[12:13]
	s_cbranch_execz .LBB121_41
; %bb.40:                               ;   in Loop: Header=BB121_7 Depth=2
	global_load_dwordx4 v[12:15], v[10:11], off offset:-256
	s_waitcnt vmcnt(0)
	ds_write2_b64 v70, v[12:13], v[14:15] offset1:1
.LBB121_41:                             ;   in Loop: Header=BB121_7 Depth=2
	s_andn2_saveexec_b64 s[4:5], s[4:5]
; %bb.42:                               ;   in Loop: Header=BB121_7 Depth=2
	ds_write_b128 v70, v[0:3]
; %bb.43:                               ;   in Loop: Header=BB121_7 Depth=2
	s_or_b64 exec, exec, s[4:5]
	s_nor_b64 s[4:5], s[10:11], s[0:1]
	s_and_saveexec_b64 s[10:11], s[4:5]
	s_xor_b64 s[4:5], exec, s[10:11]
	s_cbranch_execz .LBB121_45
; %bb.44:                               ;   in Loop: Header=BB121_7 Depth=2
	global_load_dwordx4 v[10:13], v[10:11], off
	v_add_u32_e32 v14, 0x100, v70
	s_waitcnt vmcnt(0)
	ds_write2_b64 v14, v[10:11], v[12:13] offset1:1
.LBB121_45:                             ;   in Loop: Header=BB121_7 Depth=2
	s_andn2_saveexec_b64 s[4:5], s[4:5]
; %bb.46:                               ;   in Loop: Header=BB121_7 Depth=2
	ds_write_b128 v70, v[0:3] offset:256
; %bb.47:                               ;   in Loop: Header=BB121_7 Depth=2
	s_or_b64 exec, exec, s[4:5]
	v_cmp_le_i64_e64 s[10:11], s[54:55], v[8:9]
	v_lshl_add_u64 v[8:9], v[40:41], 0, v[48:49]
	s_nor_b64 s[4:5], s[10:11], vcc
	s_and_saveexec_b64 s[12:13], s[4:5]
	s_xor_b64 s[4:5], exec, s[12:13]
	s_cbranch_execz .LBB121_49
; %bb.48:                               ;   in Loop: Header=BB121_7 Depth=2
	global_load_dwordx4 v[10:13], v[8:9], off
	v_add_u32_e32 v14, 0x2000, v70
	s_waitcnt vmcnt(0)
	ds_write2_b64 v14, v[10:11], v[12:13] offset1:1
.LBB121_49:                             ;   in Loop: Header=BB121_7 Depth=2
	s_andn2_saveexec_b64 s[4:5], s[4:5]
; %bb.50:                               ;   in Loop: Header=BB121_7 Depth=2
	ds_write_b128 v70, v[0:3] offset:8192
; %bb.51:                               ;   in Loop: Header=BB121_7 Depth=2
	s_or_b64 exec, exec, s[4:5]
	s_nor_b64 s[4:5], s[10:11], s[0:1]
	s_and_saveexec_b64 s[10:11], s[4:5]
	s_xor_b64 s[4:5], exec, s[10:11]
	s_cbranch_execz .LBB121_53
; %bb.52:                               ;   in Loop: Header=BB121_7 Depth=2
	global_load_dwordx4 v[8:11], v[8:9], off offset:256
	s_waitcnt vmcnt(0)
	ds_write2_b64 v71, v[8:9], v[10:11] offset1:1
.LBB121_53:                             ;   in Loop: Header=BB121_7 Depth=2
	s_andn2_saveexec_b64 s[4:5], s[4:5]
	s_cbranch_execz .LBB121_6
; %bb.54:                               ;   in Loop: Header=BB121_7 Depth=2
	ds_write_b128 v70, v[0:3] offset:8448
	s_branch .LBB121_6
.LBB121_55:                             ;   in Loop: Header=BB121_4 Depth=1
	v_mov_b64_e32 v[62:63], 0
	v_mov_b64_e32 v[64:65], 0
	;; [unrolled: 1-line block ×8, first 2 shown]
.LBB121_56:                             ;   in Loop: Header=BB121_4 Depth=1
	v_mul_lo_u32 v10, s21, v28
	v_mul_lo_u32 v11, s20, v29
	v_mad_u64_u32 v[8:9], s[4:5], s20, v28, 0
	v_cmp_gt_i32_e64 s[6:7], s30, v28
	v_add3_u32 v9, v9, v11, v10
	v_lshl_add_u64 v[8:9], v[8:9], 4, s[22:23]
	s_and_b64 s[8:9], s[16:17], s[6:7]
	s_and_saveexec_b64 s[4:5], s[8:9]
	s_cbranch_execz .LBB121_58
; %bb.57:                               ;   in Loop: Header=BB121_4 Depth=1
	v_lshl_add_u64 v[14:15], v[16:17], 4, v[8:9]
	global_load_dwordx4 v[10:13], v[14:15], off
	v_mul_f64 v[30:31], s[26:27], v[64:65]
	v_mul_f64 v[32:33], s[24:25], v[64:65]
	v_fma_f64 v[30:31], s[24:25], v[62:63], -v[30:31]
	v_fmac_f64_e32 v[32:33], s[26:27], v[62:63]
	s_waitcnt vmcnt(0)
	v_add_f64 v[10:11], v[10:11], v[30:31]
	v_add_f64 v[12:13], v[32:33], v[12:13]
	global_store_dwordx4 v[14:15], v[10:13], off
.LBB121_58:                             ;   in Loop: Header=BB121_4 Depth=1
	s_or_b64 exec, exec, s[4:5]
	s_and_b64 s[6:7], s[18:19], s[6:7]
	s_and_saveexec_b64 s[4:5], s[6:7]
	s_cbranch_execz .LBB121_60
; %bb.59:                               ;   in Loop: Header=BB121_4 Depth=1
	v_lshl_add_u64 v[12:13], v[18:19], 4, v[8:9]
	global_load_dwordx4 v[8:11], v[12:13], off
	v_mul_f64 v[14:15], s[26:27], v[60:61]
	v_mul_f64 v[30:31], s[24:25], v[60:61]
	v_fma_f64 v[14:15], s[24:25], v[58:59], -v[14:15]
	v_fmac_f64_e32 v[30:31], s[26:27], v[58:59]
	s_waitcnt vmcnt(0)
	v_add_f64 v[8:9], v[8:9], v[14:15]
	v_add_f64 v[10:11], v[30:31], v[10:11]
	global_store_dwordx4 v[12:13], v[8:11], off
.LBB121_60:                             ;   in Loop: Header=BB121_4 Depth=1
	s_or_b64 exec, exec, s[4:5]
	s_nop 0
	v_add_u32_e32 v8, 16, v28
	v_ashrrev_i32_e32 v9, 31, v8
	v_cmp_gt_i32_e64 s[6:7], s30, v8
	v_mul_lo_u32 v10, s20, v9
	v_mul_lo_u32 v11, s21, v8
	v_mad_u64_u32 v[8:9], s[4:5], s20, v8, 0
	v_add3_u32 v9, v9, v10, v11
	v_lshl_add_u64 v[8:9], v[8:9], 4, s[22:23]
	s_and_b64 s[8:9], s[16:17], s[6:7]
	s_and_saveexec_b64 s[4:5], s[8:9]
	s_cbranch_execz .LBB121_62
; %bb.61:                               ;   in Loop: Header=BB121_4 Depth=1
	v_lshl_add_u64 v[14:15], v[16:17], 4, v[8:9]
	global_load_dwordx4 v[10:13], v[14:15], off
	v_mul_f64 v[28:29], s[26:27], v[56:57]
	v_mul_f64 v[30:31], s[24:25], v[56:57]
	v_fma_f64 v[28:29], s[24:25], v[54:55], -v[28:29]
	v_fmac_f64_e32 v[30:31], s[26:27], v[54:55]
	s_waitcnt vmcnt(0)
	v_add_f64 v[10:11], v[10:11], v[28:29]
	v_add_f64 v[12:13], v[30:31], v[12:13]
	global_store_dwordx4 v[14:15], v[10:13], off
.LBB121_62:                             ;   in Loop: Header=BB121_4 Depth=1
	s_or_b64 exec, exec, s[4:5]
	s_and_b64 s[6:7], s[18:19], s[6:7]
	s_and_saveexec_b64 s[4:5], s[6:7]
	s_cbranch_execz .LBB121_3
; %bb.63:                               ;   in Loop: Header=BB121_4 Depth=1
	v_lshl_add_u64 v[12:13], v[18:19], 4, v[8:9]
	global_load_dwordx4 v[8:11], v[12:13], off
	v_mul_f64 v[14:15], s[26:27], v[50:51]
	v_mul_f64 v[28:29], s[24:25], v[50:51]
	v_fma_f64 v[14:15], s[24:25], v[52:53], -v[14:15]
	v_fmac_f64_e32 v[28:29], s[26:27], v[52:53]
	s_waitcnt vmcnt(0)
	v_add_f64 v[8:9], v[8:9], v[14:15]
	v_add_f64 v[10:11], v[28:29], v[10:11]
	global_store_dwordx4 v[12:13], v[8:11], off
	s_branch .LBB121_3
.LBB121_64:
	s_endpgm
	.section	.rodata,"a",@progbits
	.p2align	6, 0x0
	.amdhsa_kernel _ZL30rocblas_trmm_outofplace_kernelI19rocblas_complex_numIdELi32ELi2ELb0ELb0ELb0ELb0ES1_KS1_S1_Ev17rocblas_diagonal_iiT6_lPT7_lllS6_lllPT8_llli
		.amdhsa_group_segment_fixed_size 32768
		.amdhsa_private_segment_fixed_size 0
		.amdhsa_kernarg_size 400
		.amdhsa_user_sgpr_count 2
		.amdhsa_user_sgpr_dispatch_ptr 0
		.amdhsa_user_sgpr_queue_ptr 0
		.amdhsa_user_sgpr_kernarg_segment_ptr 1
		.amdhsa_user_sgpr_dispatch_id 0
		.amdhsa_user_sgpr_kernarg_preload_length 0
		.amdhsa_user_sgpr_kernarg_preload_offset 0
		.amdhsa_user_sgpr_private_segment_size 0
		.amdhsa_uses_dynamic_stack 0
		.amdhsa_enable_private_segment 0
		.amdhsa_system_sgpr_workgroup_id_x 1
		.amdhsa_system_sgpr_workgroup_id_y 1
		.amdhsa_system_sgpr_workgroup_id_z 1
		.amdhsa_system_sgpr_workgroup_info 0
		.amdhsa_system_vgpr_workitem_id 1
		.amdhsa_next_free_vgpr 94
		.amdhsa_next_free_sgpr 66
		.amdhsa_accum_offset 96
		.amdhsa_reserve_vcc 1
		.amdhsa_float_round_mode_32 0
		.amdhsa_float_round_mode_16_64 0
		.amdhsa_float_denorm_mode_32 3
		.amdhsa_float_denorm_mode_16_64 3
		.amdhsa_dx10_clamp 1
		.amdhsa_ieee_mode 1
		.amdhsa_fp16_overflow 0
		.amdhsa_tg_split 0
		.amdhsa_exception_fp_ieee_invalid_op 0
		.amdhsa_exception_fp_denorm_src 0
		.amdhsa_exception_fp_ieee_div_zero 0
		.amdhsa_exception_fp_ieee_overflow 0
		.amdhsa_exception_fp_ieee_underflow 0
		.amdhsa_exception_fp_ieee_inexact 0
		.amdhsa_exception_int_div_zero 0
	.end_amdhsa_kernel
	.section	.text._ZL30rocblas_trmm_outofplace_kernelI19rocblas_complex_numIdELi32ELi2ELb0ELb0ELb0ELb0ES1_KS1_S1_Ev17rocblas_diagonal_iiT6_lPT7_lllS6_lllPT8_llli,"axG",@progbits,_ZL30rocblas_trmm_outofplace_kernelI19rocblas_complex_numIdELi32ELi2ELb0ELb0ELb0ELb0ES1_KS1_S1_Ev17rocblas_diagonal_iiT6_lPT7_lllS6_lllPT8_llli,comdat
.Lfunc_end121:
	.size	_ZL30rocblas_trmm_outofplace_kernelI19rocblas_complex_numIdELi32ELi2ELb0ELb0ELb0ELb0ES1_KS1_S1_Ev17rocblas_diagonal_iiT6_lPT7_lllS6_lllPT8_llli, .Lfunc_end121-_ZL30rocblas_trmm_outofplace_kernelI19rocblas_complex_numIdELi32ELi2ELb0ELb0ELb0ELb0ES1_KS1_S1_Ev17rocblas_diagonal_iiT6_lPT7_lllS6_lllPT8_llli
                                        ; -- End function
	.set _ZL30rocblas_trmm_outofplace_kernelI19rocblas_complex_numIdELi32ELi2ELb0ELb0ELb0ELb0ES1_KS1_S1_Ev17rocblas_diagonal_iiT6_lPT7_lllS6_lllPT8_llli.num_vgpr, 94
	.set _ZL30rocblas_trmm_outofplace_kernelI19rocblas_complex_numIdELi32ELi2ELb0ELb0ELb0ELb0ES1_KS1_S1_Ev17rocblas_diagonal_iiT6_lPT7_lllS6_lllPT8_llli.num_agpr, 0
	.set _ZL30rocblas_trmm_outofplace_kernelI19rocblas_complex_numIdELi32ELi2ELb0ELb0ELb0ELb0ES1_KS1_S1_Ev17rocblas_diagonal_iiT6_lPT7_lllS6_lllPT8_llli.numbered_sgpr, 66
	.set _ZL30rocblas_trmm_outofplace_kernelI19rocblas_complex_numIdELi32ELi2ELb0ELb0ELb0ELb0ES1_KS1_S1_Ev17rocblas_diagonal_iiT6_lPT7_lllS6_lllPT8_llli.num_named_barrier, 0
	.set _ZL30rocblas_trmm_outofplace_kernelI19rocblas_complex_numIdELi32ELi2ELb0ELb0ELb0ELb0ES1_KS1_S1_Ev17rocblas_diagonal_iiT6_lPT7_lllS6_lllPT8_llli.private_seg_size, 0
	.set _ZL30rocblas_trmm_outofplace_kernelI19rocblas_complex_numIdELi32ELi2ELb0ELb0ELb0ELb0ES1_KS1_S1_Ev17rocblas_diagonal_iiT6_lPT7_lllS6_lllPT8_llli.uses_vcc, 1
	.set _ZL30rocblas_trmm_outofplace_kernelI19rocblas_complex_numIdELi32ELi2ELb0ELb0ELb0ELb0ES1_KS1_S1_Ev17rocblas_diagonal_iiT6_lPT7_lllS6_lllPT8_llli.uses_flat_scratch, 0
	.set _ZL30rocblas_trmm_outofplace_kernelI19rocblas_complex_numIdELi32ELi2ELb0ELb0ELb0ELb0ES1_KS1_S1_Ev17rocblas_diagonal_iiT6_lPT7_lllS6_lllPT8_llli.has_dyn_sized_stack, 0
	.set _ZL30rocblas_trmm_outofplace_kernelI19rocblas_complex_numIdELi32ELi2ELb0ELb0ELb0ELb0ES1_KS1_S1_Ev17rocblas_diagonal_iiT6_lPT7_lllS6_lllPT8_llli.has_recursion, 0
	.set _ZL30rocblas_trmm_outofplace_kernelI19rocblas_complex_numIdELi32ELi2ELb0ELb0ELb0ELb0ES1_KS1_S1_Ev17rocblas_diagonal_iiT6_lPT7_lllS6_lllPT8_llli.has_indirect_call, 0
	.section	.AMDGPU.csdata,"",@progbits
; Kernel info:
; codeLenInByte = 9084
; TotalNumSgprs: 72
; NumVgprs: 94
; NumAgprs: 0
; TotalNumVgprs: 94
; ScratchSize: 0
; MemoryBound: 0
; FloatMode: 240
; IeeeMode: 1
; LDSByteSize: 32768 bytes/workgroup (compile time only)
; SGPRBlocks: 8
; VGPRBlocks: 11
; NumSGPRsForWavesPerEU: 72
; NumVGPRsForWavesPerEU: 94
; AccumOffset: 96
; Occupancy: 5
; WaveLimiterHint : 0
; COMPUTE_PGM_RSRC2:SCRATCH_EN: 0
; COMPUTE_PGM_RSRC2:USER_SGPR: 2
; COMPUTE_PGM_RSRC2:TRAP_HANDLER: 0
; COMPUTE_PGM_RSRC2:TGID_X_EN: 1
; COMPUTE_PGM_RSRC2:TGID_Y_EN: 1
; COMPUTE_PGM_RSRC2:TGID_Z_EN: 1
; COMPUTE_PGM_RSRC2:TIDIG_COMP_CNT: 1
; COMPUTE_PGM_RSRC3_GFX90A:ACCUM_OFFSET: 23
; COMPUTE_PGM_RSRC3_GFX90A:TG_SPLIT: 0
	.section	.text._ZL30rocblas_trmm_outofplace_kernelI19rocblas_complex_numIdELi32ELi2ELb0ELb1ELb0ELb0EPKS1_S2_S1_Ev17rocblas_diagonal_iiT6_lPT7_lllS7_lllPT8_llli,"axG",@progbits,_ZL30rocblas_trmm_outofplace_kernelI19rocblas_complex_numIdELi32ELi2ELb0ELb1ELb0ELb0EPKS1_S2_S1_Ev17rocblas_diagonal_iiT6_lPT7_lllS7_lllPT8_llli,comdat
	.globl	_ZL30rocblas_trmm_outofplace_kernelI19rocblas_complex_numIdELi32ELi2ELb0ELb1ELb0ELb0EPKS1_S2_S1_Ev17rocblas_diagonal_iiT6_lPT7_lllS7_lllPT8_llli ; -- Begin function _ZL30rocblas_trmm_outofplace_kernelI19rocblas_complex_numIdELi32ELi2ELb0ELb1ELb0ELb0EPKS1_S2_S1_Ev17rocblas_diagonal_iiT6_lPT7_lllS7_lllPT8_llli
	.p2align	8
	.type	_ZL30rocblas_trmm_outofplace_kernelI19rocblas_complex_numIdELi32ELi2ELb0ELb1ELb0ELb0EPKS1_S2_S1_Ev17rocblas_diagonal_iiT6_lPT7_lllS7_lllPT8_llli,@function
_ZL30rocblas_trmm_outofplace_kernelI19rocblas_complex_numIdELi32ELi2ELb0ELb1ELb0ELb0EPKS1_S2_S1_Ev17rocblas_diagonal_iiT6_lPT7_lllS7_lllPT8_llli: ; @_ZL30rocblas_trmm_outofplace_kernelI19rocblas_complex_numIdELi32ELi2ELb0ELb1ELb0ELb0EPKS1_S2_S1_Ev17rocblas_diagonal_iiT6_lPT7_lllS7_lllPT8_llli
; %bb.0:
	s_load_dwordx16 s[16:31], s[0:1], 0x10
	s_waitcnt lgkmcnt(0)
	s_mul_i32 s5, s19, s4
	s_mul_hi_u32 s6, s18, s4
	s_add_i32 s7, s6, s5
	s_mul_i32 s6, s18, s4
	s_lshl_b64 s[6:7], s[6:7], 4
	s_add_u32 s6, s16, s6
	s_addc_u32 s7, s17, s7
	s_load_dwordx4 s[36:39], s[6:7], 0x0
	s_waitcnt lgkmcnt(0)
	v_cmp_eq_f64_e64 s[6:7], s[36:37], 0
	v_cmp_eq_f64_e64 s[8:9], s[38:39], 0
	s_and_b64 s[6:7], s[6:7], s[8:9]
	s_and_b64 vcc, exec, s[6:7]
	s_cbranch_vccnz .LBB122_63
; %bb.1:
	s_load_dwordx4 s[40:43], s[0:1], 0x0
	s_waitcnt lgkmcnt(0)
	s_add_i32 s5, s42, -1
	s_ashr_i32 s6, s5, 31
	s_lshr_b32 s6, s6, 27
	s_add_i32 s5, s5, s6
	s_ashr_i32 s33, s5, 5
	s_cmp_gt_i32 s3, s33
	s_cbranch_scc1 .LBB122_63
; %bb.2:
	s_load_dwordx8 s[8:15], s[0:1], 0x50
	s_load_dwordx4 s[44:47], s[0:1], 0x70
	s_load_dword s54, s[0:1], 0x8c
	v_and_b32_e32 v14, 0x3ff, v0
	v_lshl_add_u32 v16, s2, 5, v14
	s_waitcnt lgkmcnt(0)
	s_mul_i32 s5, s11, s4
	s_mul_hi_u32 s7, s10, s4
	s_mul_i32 s6, s10, s4
	s_add_i32 s7, s7, s5
	s_lshl_b64 s[6:7], s[6:7], 4
	s_add_u32 s5, s28, s6
	s_addc_u32 s10, s29, s7
	s_lshl_b64 s[6:7], s[30:31], 4
	s_add_u32 s6, s5, s6
	s_mul_i32 s0, s47, s4
	s_mul_hi_u32 s1, s46, s4
	s_addc_u32 s7, s10, s7
	s_add_i32 s1, s1, s0
	s_mul_i32 s0, s46, s4
	s_lshl_b64 s[0:1], s[0:1], 4
	s_add_u32 s5, s12, s0
	s_addc_u32 s10, s13, s1
	s_lshl_b64 s[0:1], s[14:15], 4
	s_add_u32 s28, s5, s0
	s_addc_u32 s29, s10, s1
	s_cmpk_eq_i32 s40, 0x84
	s_cselect_b64 s[30:31], -1, 0
	s_ashr_i32 s0, s41, 31
	v_bfe_u32 v12, v0, 10, 10
	v_ashrrev_i32_e32 v17, 31, v16
	v_mov_b32_e32 v1, s0
	v_sub_co_u32_e32 v0, vcc, s41, v16
	v_lshl_add_u64 v[18:19], v[16:17], 4, s[6:7]
	s_nop 0
	v_subb_co_u32_e32 v1, vcc, v1, v17, vcc
	v_sub_co_u32_e64 v24, s[6:7], 0, v14
	v_cmp_gt_i64_e32 vcc, 1, v[0:1]
	v_cmp_gt_i64_e64 s[0:1], 17, v[0:1]
	v_subb_co_u32_e64 v25, s[6:7], 0, 0, s[6:7]
	v_mad_u64_u32 v[0:1], s[6:7], s8, v12, 0
	v_mov_b32_e32 v2, v1
	s_ashr_i32 s43, s42, 31
	s_lshl_b64 s[34:35], s[8:9], 9
	v_mad_u64_u32 v[2:3], s[6:7], s9, v12, v[2:3]
	s_add_u32 s46, s42, -16
	s_mul_i32 s5, s27, s4
	s_mul_hi_u32 s6, s26, s4
	s_addc_u32 s47, s43, -1
	s_add_i32 s5, s6, s5
	s_mul_i32 s4, s26, s4
	s_lshl_b32 s2, s54, 5
	s_lshl_b64 s[4:5], s[4:5], 4
	s_lshl_b64 s[6:7], s[22:23], 4
	s_add_u32 s4, s4, s6
	s_addc_u32 s5, s5, s7
	v_mov_b32_e32 v1, v2
	v_mov_b64_e32 v[28:29], 0x100
	s_add_u32 s4, s20, s4
	v_lshl_add_u64 v[30:31], v[0:1], 4, v[28:29]
	s_addc_u32 s5, s21, s5
	v_mov_b32_e32 v0, 0x100
	s_add_u32 s20, s4, 0x100
	v_lshl_add_u32 v1, v12, 4, v0
	v_lshlrev_b32_e32 v20, 4, v14
	s_addc_u32 s21, s5, 0
	v_mad_u64_u32 v[32:33], s[4:5], s8, v1, 0
	v_lshlrev_b32_e32 v66, 9, v12
	v_or_b32_e32 v68, 0x4000, v20
	v_mov_b32_e32 v0, v33
	v_mov_b32_e32 v15, 0
	v_add_u32_e32 v67, v66, v20
	v_add_u32_e32 v69, v68, v66
	;; [unrolled: 1-line block ×3, first 2 shown]
	v_mad_u64_u32 v[0:1], s[4:5], s9, v1, v[0:1]
	v_mov_b32_e32 v13, v15
	v_add_u32_e32 v70, 0x100, v67
	v_add_u32_e32 v71, 0x2000, v67
	;; [unrolled: 1-line block ×6, first 2 shown]
	v_cmp_gt_i32_e64 s[16:17], s41, v16
	v_cmp_gt_i32_e64 s[18:19], s41, v22
	v_ashrrev_i32_e32 v23, 31, v22
	v_lshl_add_u32 v26, s3, 5, v12
	v_mov_b32_e32 v21, v15
	s_lshl_b64 s[22:23], s[24:25], 4
	v_mov_b32_e32 v33, v0
	s_mov_b64 s[26:27], 0x200
	v_mov_b32_e32 v76, v15
	v_mov_b32_e32 v77, v15
	;; [unrolled: 1-line block ×8, first 2 shown]
	s_branch .LBB122_4
.LBB122_3:                              ;   in Loop: Header=BB122_4 Depth=1
	s_or_b64 exec, exec, s[4:5]
	s_add_i32 s3, s54, s3
	s_cmp_le_i32 s3, s33
	v_add_u32_e32 v26, s2, v26
	s_cbranch_scc0 .LBB122_63
.LBB122_4:                              ; =>This Loop Header: Depth=1
                                        ;     Child Loop BB122_7 Depth 2
	s_lshl_b32 s55, s3, 5
	v_add_u32_e32 v34, s55, v12
	v_ashrrev_i32_e32 v35, 31, v34
	v_mov_b64_e32 v[62:63], 0
	s_cmp_lt_i32 s3, 0
	v_mov_b64_e32 v[64:65], 0
	v_mov_b64_e32 v[58:59], 0
	;; [unrolled: 1-line block ×7, first 2 shown]
	s_cbranch_scc1 .LBB122_55
; %bb.5:                                ;   in Loop: Header=BB122_4 Depth=1
	v_ashrrev_i32_e32 v27, 31, v26
	v_lshl_add_u64 v[4:5], v[26:27], 4, v[28:29]
	v_mov_b64_e32 v[6:7], s[20:21]
	v_mul_lo_u32 v5, s24, v5
	v_mul_lo_u32 v8, s25, v4
	v_mad_u64_u32 v[38:39], s[4:5], s24, v4, v[6:7]
	v_lshl_add_u64 v[36:37], v[24:25], 0, v[26:27]
	v_add3_u32 v39, v8, v39, v5
	v_mad_u64_u32 v[40:41], s[4:5], s22, v26, v[6:7]
	v_mul_lo_u32 v4, s23, v26
	v_mul_lo_u32 v5, s22, v27
	v_lshl_add_u64 v[42:43], v[34:35], 0, 16
	v_add3_u32 v41, v4, v41, v5
	v_cmp_le_i32_e64 s[6:7], s42, v34
	v_cmp_le_i64_e64 s[8:9], s[42:43], v[42:43]
	v_lshl_add_u64 v[44:45], v[36:37], 0, 16
	v_lshl_add_u64 v[46:47], v[36:37], 0, -16
	v_mov_b64_e32 v[50:51], 0
	s_mov_b64 s[40:41], 0
	v_mov_b64_e32 v[48:49], v[18:19]
	v_mov_b64_e32 v[52:53], 0
	;; [unrolled: 1-line block ×8, first 2 shown]
	s_branch .LBB122_7
.LBB122_6:                              ;   in Loop: Header=BB122_7 Depth=2
	s_or_b64 exec, exec, s[4:5]
	s_waitcnt lgkmcnt(0)
	s_barrier
	ds_read_b128 v[80:83], v68
	ds_read_b128 v[84:87], v66
	ds_read_b128 v[88:91], v66 offset:16
	ds_read_b128 v[8:11], v66 offset:32
	ds_read_b128 v[4:7], v66 offset:48
	ds_read_b128 v[92:95], v68 offset:256
	s_waitcnt lgkmcnt(4)
	v_mul_f64 v[96:97], v[86:87], v[82:83]
	v_fma_f64 v[96:97], v[84:85], v[80:81], -v[96:97]
	v_mul_f64 v[98:99], v[84:85], v[82:83]
	v_fmac_f64_e32 v[98:99], v[86:87], v[80:81]
	v_add_f64 v[96:97], v[62:63], v[96:97]
	s_waitcnt lgkmcnt(0)
	v_mul_f64 v[62:63], v[86:87], v[94:95]
	v_add_f64 v[98:99], v[98:99], v[64:65]
	v_fma_f64 v[100:101], v[84:85], v[92:93], -v[62:63]
	ds_read_b128 v[62:65], v66 offset:8192
	v_mul_f64 v[84:85], v[84:85], v[94:95]
	v_fmac_f64_e32 v[84:85], v[86:87], v[92:93]
	v_add_f64 v[86:87], v[58:59], v[100:101]
	v_add_f64 v[84:85], v[84:85], v[60:61]
	ds_read_b128 v[58:61], v66 offset:8208
	s_waitcnt lgkmcnt(1)
	v_mul_f64 v[100:101], v[64:65], v[82:83]
	v_fma_f64 v[100:101], v[62:63], v[80:81], -v[100:101]
	v_mul_f64 v[82:83], v[62:63], v[82:83]
	v_fmac_f64_e32 v[82:83], v[64:65], v[80:81]
	v_add_f64 v[80:81], v[54:55], v[100:101]
	v_mul_f64 v[54:55], v[64:65], v[94:95]
	v_add_f64 v[82:83], v[82:83], v[56:57]
	v_fma_f64 v[100:101], v[62:63], v[92:93], -v[54:55]
	v_mul_f64 v[62:63], v[62:63], v[94:95]
	ds_read_b128 v[54:57], v68 offset:512
	v_fmac_f64_e32 v[62:63], v[64:65], v[92:93]
	v_add_f64 v[64:65], v[52:53], v[100:101]
	v_add_f64 v[62:63], v[62:63], v[50:51]
	ds_read_b128 v[50:53], v68 offset:768
	s_waitcnt lgkmcnt(1)
	v_mul_f64 v[92:93], v[90:91], v[56:57]
	v_fma_f64 v[92:93], v[88:89], v[54:55], -v[92:93]
	v_add_f64 v[92:93], v[96:97], v[92:93]
	v_mul_f64 v[94:95], v[88:89], v[56:57]
	s_waitcnt lgkmcnt(0)
	v_mul_f64 v[96:97], v[90:91], v[52:53]
	v_fma_f64 v[96:97], v[88:89], v[50:51], -v[96:97]
	v_mul_f64 v[88:89], v[88:89], v[52:53]
	v_fmac_f64_e32 v[88:89], v[90:91], v[50:51]
	v_add_f64 v[84:85], v[88:89], v[84:85]
	v_mul_f64 v[88:89], v[60:61], v[56:57]
	v_mul_f64 v[56:57], v[58:59], v[56:57]
	v_fmac_f64_e32 v[94:95], v[90:91], v[54:55]
	v_fma_f64 v[88:89], v[58:59], v[54:55], -v[88:89]
	v_fmac_f64_e32 v[56:57], v[60:61], v[54:55]
	v_mul_f64 v[54:55], v[60:61], v[52:53]
	v_add_f64 v[82:83], v[56:57], v[82:83]
	v_fma_f64 v[56:57], v[58:59], v[50:51], -v[54:55]
	v_mul_f64 v[58:59], v[58:59], v[52:53]
	ds_read_b128 v[52:55], v68 offset:1024
	v_fmac_f64_e32 v[58:59], v[60:61], v[50:51]
	v_add_f64 v[80:81], v[80:81], v[88:89]
	v_add_f64 v[64:65], v[64:65], v[56:57]
	;; [unrolled: 1-line block ×3, first 2 shown]
	ds_read_b128 v[56:59], v68 offset:1280
	s_waitcnt lgkmcnt(1)
	v_mul_f64 v[50:51], v[10:11], v[54:55]
	v_mul_f64 v[60:61], v[8:9], v[54:55]
	v_add_f64 v[94:95], v[94:95], v[98:99]
	v_fma_f64 v[50:51], v[8:9], v[52:53], -v[50:51]
	v_fmac_f64_e32 v[60:61], v[10:11], v[52:53]
	v_add_f64 v[90:91], v[92:93], v[50:51]
	v_add_f64 v[92:93], v[60:61], v[94:95]
	ds_read_b128 v[60:63], v66 offset:8224
	s_waitcnt lgkmcnt(1)
	v_mul_f64 v[50:51], v[10:11], v[58:59]
	v_fma_f64 v[50:51], v[8:9], v[56:57], -v[50:51]
	v_mul_f64 v[8:9], v[8:9], v[58:59]
	v_add_f64 v[86:87], v[86:87], v[96:97]
	v_fmac_f64_e32 v[8:9], v[10:11], v[56:57]
	v_add_f64 v[86:87], v[86:87], v[50:51]
	v_add_f64 v[84:85], v[8:9], v[84:85]
	ds_read_b128 v[8:11], v66 offset:8240
	s_waitcnt lgkmcnt(1)
	v_mul_f64 v[50:51], v[62:63], v[54:55]
	v_fma_f64 v[50:51], v[60:61], v[52:53], -v[50:51]
	v_mul_f64 v[54:55], v[60:61], v[54:55]
	v_fmac_f64_e32 v[54:55], v[62:63], v[52:53]
	v_add_f64 v[80:81], v[80:81], v[50:51]
	v_mul_f64 v[50:51], v[62:63], v[58:59]
	v_add_f64 v[82:83], v[54:55], v[82:83]
	v_fma_f64 v[54:55], v[60:61], v[56:57], -v[50:51]
	v_mul_f64 v[58:59], v[60:61], v[58:59]
	ds_read_b128 v[50:53], v68 offset:1536
	v_fmac_f64_e32 v[58:59], v[62:63], v[56:57]
	v_add_f64 v[60:61], v[64:65], v[54:55]
	ds_read_b128 v[54:57], v68 offset:1792
	v_add_f64 v[58:59], v[58:59], v[88:89]
	s_waitcnt lgkmcnt(1)
	v_mul_f64 v[62:63], v[6:7], v[52:53]
	v_fma_f64 v[62:63], v[4:5], v[50:51], -v[62:63]
	v_mul_f64 v[64:65], v[4:5], v[52:53]
	s_waitcnt lgkmcnt(0)
	v_mul_f64 v[88:89], v[6:7], v[56:57]
	v_fma_f64 v[88:89], v[4:5], v[54:55], -v[88:89]
	v_mul_f64 v[4:5], v[4:5], v[56:57]
	v_fmac_f64_e32 v[4:5], v[6:7], v[54:55]
	v_add_f64 v[84:85], v[4:5], v[84:85]
	v_mul_f64 v[4:5], v[10:11], v[52:53]
	v_fmac_f64_e32 v[64:65], v[6:7], v[50:51]
	v_fma_f64 v[4:5], v[8:9], v[50:51], -v[4:5]
	v_mul_f64 v[6:7], v[8:9], v[52:53]
	v_fmac_f64_e32 v[6:7], v[10:11], v[50:51]
	v_add_f64 v[80:81], v[80:81], v[4:5]
	v_mul_f64 v[4:5], v[10:11], v[56:57]
	v_mul_f64 v[52:53], v[8:9], v[56:57]
	v_add_f64 v[82:83], v[6:7], v[82:83]
	v_fma_f64 v[50:51], v[8:9], v[54:55], -v[4:5]
	v_fmac_f64_e32 v[52:53], v[10:11], v[54:55]
	ds_read_b128 v[4:7], v66 offset:64
	ds_read_b128 v[8:11], v68 offset:2048
	v_add_f64 v[62:63], v[90:91], v[62:63]
	v_add_f64 v[86:87], v[86:87], v[88:89]
	;; [unrolled: 1-line block ×4, first 2 shown]
	ds_read_b128 v[50:53], v68 offset:2304
	ds_read_b128 v[54:57], v66 offset:80
	s_waitcnt lgkmcnt(2)
	v_mul_f64 v[58:59], v[6:7], v[10:11]
	v_fma_f64 v[58:59], v[4:5], v[8:9], -v[58:59]
	v_mul_f64 v[60:61], v[4:5], v[10:11]
	v_add_f64 v[64:65], v[64:65], v[92:93]
	v_fmac_f64_e32 v[60:61], v[6:7], v[8:9]
	v_add_f64 v[62:63], v[62:63], v[58:59]
	s_waitcnt lgkmcnt(1)
	v_mul_f64 v[58:59], v[6:7], v[52:53]
	v_add_f64 v[64:65], v[60:61], v[64:65]
	v_fma_f64 v[92:93], v[4:5], v[50:51], -v[58:59]
	ds_read_b128 v[58:61], v66 offset:8256
	v_mul_f64 v[4:5], v[4:5], v[52:53]
	v_fmac_f64_e32 v[4:5], v[6:7], v[50:51]
	v_add_f64 v[86:87], v[86:87], v[92:93]
	v_add_f64 v[84:85], v[4:5], v[84:85]
	ds_read_b128 v[4:7], v66 offset:8272
	s_waitcnt lgkmcnt(1)
	v_mul_f64 v[92:93], v[60:61], v[10:11]
	v_mul_f64 v[10:11], v[58:59], v[10:11]
	v_fma_f64 v[92:93], v[58:59], v[8:9], -v[92:93]
	v_fmac_f64_e32 v[10:11], v[60:61], v[8:9]
	v_mul_f64 v[8:9], v[60:61], v[52:53]
	v_add_f64 v[80:81], v[80:81], v[92:93]
	v_add_f64 v[82:83], v[10:11], v[82:83]
	v_fma_f64 v[92:93], v[58:59], v[50:51], -v[8:9]
	v_mul_f64 v[52:53], v[58:59], v[52:53]
	ds_read_b128 v[8:11], v68 offset:2560
	v_fmac_f64_e32 v[52:53], v[60:61], v[50:51]
	v_add_f64 v[60:61], v[52:53], v[90:91]
	ds_read_b128 v[50:53], v68 offset:2816
	v_add_f64 v[58:59], v[88:89], v[92:93]
	s_waitcnt lgkmcnt(1)
	v_mul_f64 v[88:89], v[56:57], v[10:11]
	v_fma_f64 v[88:89], v[54:55], v[8:9], -v[88:89]
	v_add_f64 v[62:63], v[62:63], v[88:89]
	s_waitcnt lgkmcnt(0)
	v_mul_f64 v[88:89], v[56:57], v[52:53]
	v_mul_f64 v[90:91], v[54:55], v[10:11]
	v_fma_f64 v[88:89], v[54:55], v[50:51], -v[88:89]
	v_mul_f64 v[54:55], v[54:55], v[52:53]
	v_fmac_f64_e32 v[54:55], v[56:57], v[50:51]
	v_add_f64 v[84:85], v[54:55], v[84:85]
	v_mul_f64 v[54:55], v[6:7], v[10:11]
	v_mul_f64 v[10:11], v[4:5], v[10:11]
	v_fmac_f64_e32 v[90:91], v[56:57], v[8:9]
	v_fma_f64 v[54:55], v[4:5], v[8:9], -v[54:55]
	v_fmac_f64_e32 v[10:11], v[6:7], v[8:9]
	v_mul_f64 v[8:9], v[6:7], v[52:53]
	v_mul_f64 v[52:53], v[4:5], v[52:53]
	v_add_f64 v[80:81], v[80:81], v[54:55]
	v_add_f64 v[82:83], v[10:11], v[82:83]
	v_fma_f64 v[54:55], v[4:5], v[50:51], -v[8:9]
	v_fmac_f64_e32 v[52:53], v[6:7], v[50:51]
	ds_read_b128 v[4:7], v66 offset:96
	ds_read_b128 v[8:11], v68 offset:3072
	v_add_f64 v[64:65], v[90:91], v[64:65]
	v_add_f64 v[86:87], v[86:87], v[88:89]
	v_add_f64 v[88:89], v[58:59], v[54:55]
	v_add_f64 v[90:91], v[52:53], v[60:61]
	ds_read_b128 v[50:53], v68 offset:3328
	ds_read_b128 v[54:57], v66 offset:112
	s_waitcnt lgkmcnt(2)
	v_mul_f64 v[58:59], v[6:7], v[10:11]
	v_fma_f64 v[58:59], v[4:5], v[8:9], -v[58:59]
	v_mul_f64 v[60:61], v[4:5], v[10:11]
	v_fmac_f64_e32 v[60:61], v[6:7], v[8:9]
	v_add_f64 v[62:63], v[62:63], v[58:59]
	s_waitcnt lgkmcnt(1)
	v_mul_f64 v[58:59], v[6:7], v[52:53]
	v_add_f64 v[64:65], v[60:61], v[64:65]
	v_fma_f64 v[92:93], v[4:5], v[50:51], -v[58:59]
	ds_read_b128 v[58:61], v66 offset:8288
	v_mul_f64 v[4:5], v[4:5], v[52:53]
	v_fmac_f64_e32 v[4:5], v[6:7], v[50:51]
	v_add_f64 v[86:87], v[86:87], v[92:93]
	v_add_f64 v[84:85], v[4:5], v[84:85]
	ds_read_b128 v[4:7], v66 offset:8304
	s_waitcnt lgkmcnt(1)
	v_mul_f64 v[92:93], v[60:61], v[10:11]
	v_mul_f64 v[10:11], v[58:59], v[10:11]
	v_fma_f64 v[92:93], v[58:59], v[8:9], -v[92:93]
	v_fmac_f64_e32 v[10:11], v[60:61], v[8:9]
	v_mul_f64 v[8:9], v[60:61], v[52:53]
	v_add_f64 v[80:81], v[80:81], v[92:93]
	v_add_f64 v[82:83], v[10:11], v[82:83]
	v_fma_f64 v[92:93], v[58:59], v[50:51], -v[8:9]
	v_mul_f64 v[52:53], v[58:59], v[52:53]
	ds_read_b128 v[8:11], v68 offset:3584
	v_fmac_f64_e32 v[52:53], v[60:61], v[50:51]
	v_add_f64 v[60:61], v[52:53], v[90:91]
	ds_read_b128 v[50:53], v68 offset:3840
	v_add_f64 v[58:59], v[88:89], v[92:93]
	s_waitcnt lgkmcnt(1)
	v_mul_f64 v[88:89], v[56:57], v[10:11]
	v_fma_f64 v[88:89], v[54:55], v[8:9], -v[88:89]
	v_add_f64 v[62:63], v[62:63], v[88:89]
	s_waitcnt lgkmcnt(0)
	v_mul_f64 v[88:89], v[56:57], v[52:53]
	v_mul_f64 v[90:91], v[54:55], v[10:11]
	v_fma_f64 v[88:89], v[54:55], v[50:51], -v[88:89]
	v_mul_f64 v[54:55], v[54:55], v[52:53]
	v_fmac_f64_e32 v[54:55], v[56:57], v[50:51]
	v_add_f64 v[84:85], v[54:55], v[84:85]
	v_mul_f64 v[54:55], v[6:7], v[10:11]
	v_mul_f64 v[10:11], v[4:5], v[10:11]
	v_fmac_f64_e32 v[90:91], v[56:57], v[8:9]
	v_fma_f64 v[54:55], v[4:5], v[8:9], -v[54:55]
	v_fmac_f64_e32 v[10:11], v[6:7], v[8:9]
	v_mul_f64 v[8:9], v[6:7], v[52:53]
	v_mul_f64 v[52:53], v[4:5], v[52:53]
	v_add_f64 v[80:81], v[80:81], v[54:55]
	v_add_f64 v[82:83], v[10:11], v[82:83]
	v_fma_f64 v[54:55], v[4:5], v[50:51], -v[8:9]
	v_fmac_f64_e32 v[52:53], v[6:7], v[50:51]
	ds_read_b128 v[4:7], v66 offset:128
	ds_read_b128 v[8:11], v68 offset:4096
	v_add_f64 v[64:65], v[90:91], v[64:65]
	v_add_f64 v[86:87], v[86:87], v[88:89]
	v_add_f64 v[88:89], v[58:59], v[54:55]
	v_add_f64 v[90:91], v[52:53], v[60:61]
	ds_read_b128 v[50:53], v68 offset:4352
	ds_read_b128 v[54:57], v66 offset:144
	s_waitcnt lgkmcnt(2)
	v_mul_f64 v[58:59], v[6:7], v[10:11]
	v_fma_f64 v[58:59], v[4:5], v[8:9], -v[58:59]
	v_mul_f64 v[60:61], v[4:5], v[10:11]
	v_fmac_f64_e32 v[60:61], v[6:7], v[8:9]
	v_add_f64 v[62:63], v[62:63], v[58:59]
	s_waitcnt lgkmcnt(1)
	v_mul_f64 v[58:59], v[6:7], v[52:53]
	v_add_f64 v[64:65], v[60:61], v[64:65]
	v_fma_f64 v[92:93], v[4:5], v[50:51], -v[58:59]
	ds_read_b128 v[58:61], v66 offset:8320
	v_mul_f64 v[4:5], v[4:5], v[52:53]
	v_fmac_f64_e32 v[4:5], v[6:7], v[50:51]
	v_add_f64 v[86:87], v[86:87], v[92:93]
	v_add_f64 v[84:85], v[4:5], v[84:85]
	ds_read_b128 v[4:7], v66 offset:8336
	s_waitcnt lgkmcnt(1)
	v_mul_f64 v[92:93], v[60:61], v[10:11]
	v_mul_f64 v[10:11], v[58:59], v[10:11]
	v_fma_f64 v[92:93], v[58:59], v[8:9], -v[92:93]
	v_fmac_f64_e32 v[10:11], v[60:61], v[8:9]
	v_mul_f64 v[8:9], v[60:61], v[52:53]
	v_add_f64 v[80:81], v[80:81], v[92:93]
	v_add_f64 v[82:83], v[10:11], v[82:83]
	v_fma_f64 v[92:93], v[58:59], v[50:51], -v[8:9]
	v_mul_f64 v[52:53], v[58:59], v[52:53]
	ds_read_b128 v[8:11], v68 offset:4608
	v_fmac_f64_e32 v[52:53], v[60:61], v[50:51]
	v_add_f64 v[60:61], v[52:53], v[90:91]
	ds_read_b128 v[50:53], v68 offset:4864
	v_add_f64 v[58:59], v[88:89], v[92:93]
	s_waitcnt lgkmcnt(1)
	v_mul_f64 v[88:89], v[56:57], v[10:11]
	v_fma_f64 v[88:89], v[54:55], v[8:9], -v[88:89]
	v_add_f64 v[62:63], v[62:63], v[88:89]
	s_waitcnt lgkmcnt(0)
	v_mul_f64 v[88:89], v[56:57], v[52:53]
	v_mul_f64 v[90:91], v[54:55], v[10:11]
	v_fma_f64 v[88:89], v[54:55], v[50:51], -v[88:89]
	v_mul_f64 v[54:55], v[54:55], v[52:53]
	v_fmac_f64_e32 v[54:55], v[56:57], v[50:51]
	v_add_f64 v[84:85], v[54:55], v[84:85]
	v_mul_f64 v[54:55], v[6:7], v[10:11]
	v_mul_f64 v[10:11], v[4:5], v[10:11]
	v_fmac_f64_e32 v[90:91], v[56:57], v[8:9]
	v_fma_f64 v[54:55], v[4:5], v[8:9], -v[54:55]
	v_fmac_f64_e32 v[10:11], v[6:7], v[8:9]
	v_mul_f64 v[8:9], v[6:7], v[52:53]
	v_mul_f64 v[52:53], v[4:5], v[52:53]
	v_add_f64 v[80:81], v[80:81], v[54:55]
	v_add_f64 v[82:83], v[10:11], v[82:83]
	v_fma_f64 v[54:55], v[4:5], v[50:51], -v[8:9]
	v_fmac_f64_e32 v[52:53], v[6:7], v[50:51]
	ds_read_b128 v[4:7], v66 offset:160
	ds_read_b128 v[8:11], v68 offset:5120
	v_add_f64 v[64:65], v[90:91], v[64:65]
	v_add_f64 v[86:87], v[86:87], v[88:89]
	v_add_f64 v[88:89], v[58:59], v[54:55]
	v_add_f64 v[90:91], v[52:53], v[60:61]
	ds_read_b128 v[50:53], v68 offset:5376
	ds_read_b128 v[54:57], v66 offset:176
	s_waitcnt lgkmcnt(2)
	v_mul_f64 v[58:59], v[6:7], v[10:11]
	v_fma_f64 v[58:59], v[4:5], v[8:9], -v[58:59]
	v_mul_f64 v[60:61], v[4:5], v[10:11]
	v_fmac_f64_e32 v[60:61], v[6:7], v[8:9]
	v_add_f64 v[62:63], v[62:63], v[58:59]
	s_waitcnt lgkmcnt(1)
	v_mul_f64 v[58:59], v[6:7], v[52:53]
	v_add_f64 v[64:65], v[60:61], v[64:65]
	v_fma_f64 v[92:93], v[4:5], v[50:51], -v[58:59]
	ds_read_b128 v[58:61], v66 offset:8352
	v_mul_f64 v[4:5], v[4:5], v[52:53]
	v_fmac_f64_e32 v[4:5], v[6:7], v[50:51]
	v_add_f64 v[86:87], v[86:87], v[92:93]
	v_add_f64 v[84:85], v[4:5], v[84:85]
	ds_read_b128 v[4:7], v66 offset:8368
	s_waitcnt lgkmcnt(1)
	v_mul_f64 v[92:93], v[60:61], v[10:11]
	v_mul_f64 v[10:11], v[58:59], v[10:11]
	v_fma_f64 v[92:93], v[58:59], v[8:9], -v[92:93]
	v_fmac_f64_e32 v[10:11], v[60:61], v[8:9]
	v_mul_f64 v[8:9], v[60:61], v[52:53]
	v_add_f64 v[80:81], v[80:81], v[92:93]
	v_add_f64 v[82:83], v[10:11], v[82:83]
	v_fma_f64 v[92:93], v[58:59], v[50:51], -v[8:9]
	v_mul_f64 v[52:53], v[58:59], v[52:53]
	ds_read_b128 v[8:11], v68 offset:5632
	v_fmac_f64_e32 v[52:53], v[60:61], v[50:51]
	v_add_f64 v[60:61], v[52:53], v[90:91]
	ds_read_b128 v[50:53], v68 offset:5888
	v_add_f64 v[58:59], v[88:89], v[92:93]
	s_waitcnt lgkmcnt(1)
	v_mul_f64 v[88:89], v[56:57], v[10:11]
	v_fma_f64 v[88:89], v[54:55], v[8:9], -v[88:89]
	v_add_f64 v[62:63], v[62:63], v[88:89]
	s_waitcnt lgkmcnt(0)
	v_mul_f64 v[88:89], v[56:57], v[52:53]
	v_mul_f64 v[90:91], v[54:55], v[10:11]
	v_fma_f64 v[88:89], v[54:55], v[50:51], -v[88:89]
	v_mul_f64 v[54:55], v[54:55], v[52:53]
	v_fmac_f64_e32 v[54:55], v[56:57], v[50:51]
	v_add_f64 v[84:85], v[54:55], v[84:85]
	v_mul_f64 v[54:55], v[6:7], v[10:11]
	v_mul_f64 v[10:11], v[4:5], v[10:11]
	v_fmac_f64_e32 v[90:91], v[56:57], v[8:9]
	v_fma_f64 v[54:55], v[4:5], v[8:9], -v[54:55]
	v_fmac_f64_e32 v[10:11], v[6:7], v[8:9]
	v_mul_f64 v[8:9], v[6:7], v[52:53]
	v_mul_f64 v[52:53], v[4:5], v[52:53]
	v_add_f64 v[80:81], v[80:81], v[54:55]
	v_add_f64 v[82:83], v[10:11], v[82:83]
	v_fma_f64 v[54:55], v[4:5], v[50:51], -v[8:9]
	v_fmac_f64_e32 v[52:53], v[6:7], v[50:51]
	ds_read_b128 v[4:7], v66 offset:192
	ds_read_b128 v[8:11], v68 offset:6144
	v_add_f64 v[64:65], v[90:91], v[64:65]
	v_add_f64 v[86:87], v[86:87], v[88:89]
	v_add_f64 v[88:89], v[58:59], v[54:55]
	v_add_f64 v[90:91], v[52:53], v[60:61]
	ds_read_b128 v[50:53], v68 offset:6400
	ds_read_b128 v[54:57], v66 offset:208
	s_waitcnt lgkmcnt(2)
	v_mul_f64 v[58:59], v[6:7], v[10:11]
	v_fma_f64 v[58:59], v[4:5], v[8:9], -v[58:59]
	v_mul_f64 v[60:61], v[4:5], v[10:11]
	v_fmac_f64_e32 v[60:61], v[6:7], v[8:9]
	v_add_f64 v[62:63], v[62:63], v[58:59]
	s_waitcnt lgkmcnt(1)
	v_mul_f64 v[58:59], v[6:7], v[52:53]
	v_add_f64 v[64:65], v[60:61], v[64:65]
	v_fma_f64 v[92:93], v[4:5], v[50:51], -v[58:59]
	ds_read_b128 v[58:61], v66 offset:8384
	v_mul_f64 v[4:5], v[4:5], v[52:53]
	v_fmac_f64_e32 v[4:5], v[6:7], v[50:51]
	v_add_f64 v[86:87], v[86:87], v[92:93]
	v_add_f64 v[84:85], v[4:5], v[84:85]
	ds_read_b128 v[4:7], v66 offset:8400
	s_waitcnt lgkmcnt(1)
	v_mul_f64 v[92:93], v[60:61], v[10:11]
	v_mul_f64 v[10:11], v[58:59], v[10:11]
	v_fma_f64 v[92:93], v[58:59], v[8:9], -v[92:93]
	v_fmac_f64_e32 v[10:11], v[60:61], v[8:9]
	v_mul_f64 v[8:9], v[60:61], v[52:53]
	v_add_f64 v[80:81], v[80:81], v[92:93]
	v_add_f64 v[82:83], v[10:11], v[82:83]
	v_fma_f64 v[92:93], v[58:59], v[50:51], -v[8:9]
	v_mul_f64 v[52:53], v[58:59], v[52:53]
	ds_read_b128 v[8:11], v68 offset:6656
	v_fmac_f64_e32 v[52:53], v[60:61], v[50:51]
	v_add_f64 v[60:61], v[52:53], v[90:91]
	ds_read_b128 v[50:53], v68 offset:6912
	v_add_f64 v[58:59], v[88:89], v[92:93]
	s_waitcnt lgkmcnt(1)
	v_mul_f64 v[88:89], v[56:57], v[10:11]
	v_fma_f64 v[88:89], v[54:55], v[8:9], -v[88:89]
	v_add_f64 v[62:63], v[62:63], v[88:89]
	s_waitcnt lgkmcnt(0)
	v_mul_f64 v[88:89], v[56:57], v[52:53]
	v_mul_f64 v[90:91], v[54:55], v[10:11]
	v_fma_f64 v[88:89], v[54:55], v[50:51], -v[88:89]
	v_mul_f64 v[54:55], v[54:55], v[52:53]
	v_fmac_f64_e32 v[54:55], v[56:57], v[50:51]
	v_add_f64 v[84:85], v[54:55], v[84:85]
	v_mul_f64 v[54:55], v[6:7], v[10:11]
	v_mul_f64 v[10:11], v[4:5], v[10:11]
	v_fmac_f64_e32 v[90:91], v[56:57], v[8:9]
	v_fma_f64 v[54:55], v[4:5], v[8:9], -v[54:55]
	v_fmac_f64_e32 v[10:11], v[6:7], v[8:9]
	v_mul_f64 v[8:9], v[6:7], v[52:53]
	v_mul_f64 v[52:53], v[4:5], v[52:53]
	v_add_f64 v[80:81], v[80:81], v[54:55]
	v_add_f64 v[82:83], v[10:11], v[82:83]
	v_fma_f64 v[54:55], v[4:5], v[50:51], -v[8:9]
	v_fmac_f64_e32 v[52:53], v[6:7], v[50:51]
	ds_read_b128 v[4:7], v66 offset:224
	ds_read_b128 v[8:11], v68 offset:7168
	v_add_f64 v[64:65], v[90:91], v[64:65]
	v_add_f64 v[86:87], v[86:87], v[88:89]
	v_add_f64 v[88:89], v[58:59], v[54:55]
	v_add_f64 v[90:91], v[52:53], v[60:61]
	ds_read_b128 v[50:53], v68 offset:7424
	ds_read_b128 v[54:57], v66 offset:240
	s_waitcnt lgkmcnt(2)
	v_mul_f64 v[58:59], v[6:7], v[10:11]
	v_fma_f64 v[58:59], v[4:5], v[8:9], -v[58:59]
	v_mul_f64 v[60:61], v[4:5], v[10:11]
	v_fmac_f64_e32 v[60:61], v[6:7], v[8:9]
	v_add_f64 v[62:63], v[62:63], v[58:59]
	s_waitcnt lgkmcnt(1)
	v_mul_f64 v[58:59], v[6:7], v[52:53]
	v_add_f64 v[64:65], v[60:61], v[64:65]
	v_fma_f64 v[92:93], v[4:5], v[50:51], -v[58:59]
	ds_read_b128 v[58:61], v66 offset:8416
	v_mul_f64 v[4:5], v[4:5], v[52:53]
	v_fmac_f64_e32 v[4:5], v[6:7], v[50:51]
	v_add_f64 v[86:87], v[86:87], v[92:93]
	v_add_f64 v[84:85], v[4:5], v[84:85]
	ds_read_b128 v[4:7], v66 offset:8432
	s_waitcnt lgkmcnt(1)
	v_mul_f64 v[92:93], v[60:61], v[10:11]
	v_mul_f64 v[10:11], v[58:59], v[10:11]
	v_fma_f64 v[92:93], v[58:59], v[8:9], -v[92:93]
	v_fmac_f64_e32 v[10:11], v[60:61], v[8:9]
	v_mul_f64 v[8:9], v[60:61], v[52:53]
	v_add_f64 v[80:81], v[80:81], v[92:93]
	v_add_f64 v[82:83], v[10:11], v[82:83]
	v_fma_f64 v[92:93], v[58:59], v[50:51], -v[8:9]
	v_mul_f64 v[52:53], v[58:59], v[52:53]
	ds_read_b128 v[8:11], v68 offset:7680
	v_fmac_f64_e32 v[52:53], v[60:61], v[50:51]
	v_add_f64 v[60:61], v[52:53], v[90:91]
	ds_read_b128 v[50:53], v68 offset:7936
	v_add_f64 v[58:59], v[88:89], v[92:93]
	s_waitcnt lgkmcnt(1)
	v_mul_f64 v[88:89], v[56:57], v[10:11]
	v_fma_f64 v[88:89], v[54:55], v[8:9], -v[88:89]
	v_add_f64 v[62:63], v[62:63], v[88:89]
	s_waitcnt lgkmcnt(0)
	v_mul_f64 v[88:89], v[56:57], v[52:53]
	v_mul_f64 v[90:91], v[54:55], v[10:11]
	v_fma_f64 v[88:89], v[54:55], v[50:51], -v[88:89]
	v_mul_f64 v[54:55], v[54:55], v[52:53]
	v_fmac_f64_e32 v[54:55], v[56:57], v[50:51]
	v_add_f64 v[84:85], v[54:55], v[84:85]
	v_mul_f64 v[54:55], v[6:7], v[10:11]
	v_mul_f64 v[10:11], v[4:5], v[10:11]
	v_fmac_f64_e32 v[90:91], v[56:57], v[8:9]
	v_fma_f64 v[54:55], v[4:5], v[8:9], -v[54:55]
	v_fmac_f64_e32 v[10:11], v[6:7], v[8:9]
	v_mul_f64 v[8:9], v[6:7], v[52:53]
	v_mul_f64 v[52:53], v[4:5], v[52:53]
	v_add_f64 v[80:81], v[80:81], v[54:55]
	v_add_f64 v[82:83], v[10:11], v[82:83]
	v_fma_f64 v[54:55], v[4:5], v[50:51], -v[8:9]
	v_fmac_f64_e32 v[52:53], v[6:7], v[50:51]
	ds_read_b128 v[4:7], v66 offset:256
	ds_read_b128 v[8:11], v68 offset:8192
	v_add_f64 v[64:65], v[90:91], v[64:65]
	v_add_f64 v[86:87], v[86:87], v[88:89]
	v_add_f64 v[88:89], v[58:59], v[54:55]
	v_add_f64 v[90:91], v[52:53], v[60:61]
	ds_read_b128 v[50:53], v68 offset:8448
	ds_read_b128 v[54:57], v66 offset:272
	s_waitcnt lgkmcnt(2)
	v_mul_f64 v[58:59], v[6:7], v[10:11]
	v_fma_f64 v[58:59], v[4:5], v[8:9], -v[58:59]
	v_mul_f64 v[60:61], v[4:5], v[10:11]
	v_fmac_f64_e32 v[60:61], v[6:7], v[8:9]
	v_add_f64 v[62:63], v[62:63], v[58:59]
	s_waitcnt lgkmcnt(1)
	v_mul_f64 v[58:59], v[6:7], v[52:53]
	v_add_f64 v[64:65], v[60:61], v[64:65]
	v_fma_f64 v[92:93], v[4:5], v[50:51], -v[58:59]
	ds_read_b128 v[58:61], v66 offset:8448
	v_mul_f64 v[4:5], v[4:5], v[52:53]
	v_fmac_f64_e32 v[4:5], v[6:7], v[50:51]
	v_add_f64 v[86:87], v[86:87], v[92:93]
	v_add_f64 v[84:85], v[4:5], v[84:85]
	ds_read_b128 v[4:7], v66 offset:8464
	s_waitcnt lgkmcnt(1)
	v_mul_f64 v[92:93], v[60:61], v[10:11]
	v_mul_f64 v[10:11], v[58:59], v[10:11]
	v_fma_f64 v[92:93], v[58:59], v[8:9], -v[92:93]
	v_fmac_f64_e32 v[10:11], v[60:61], v[8:9]
	v_mul_f64 v[8:9], v[60:61], v[52:53]
	v_add_f64 v[80:81], v[80:81], v[92:93]
	v_add_f64 v[82:83], v[10:11], v[82:83]
	v_fma_f64 v[92:93], v[58:59], v[50:51], -v[8:9]
	v_mul_f64 v[52:53], v[58:59], v[52:53]
	ds_read_b128 v[8:11], v68 offset:8704
	v_fmac_f64_e32 v[52:53], v[60:61], v[50:51]
	v_add_f64 v[60:61], v[52:53], v[90:91]
	ds_read_b128 v[50:53], v68 offset:8960
	v_add_f64 v[58:59], v[88:89], v[92:93]
	s_waitcnt lgkmcnt(1)
	v_mul_f64 v[88:89], v[56:57], v[10:11]
	v_fma_f64 v[88:89], v[54:55], v[8:9], -v[88:89]
	v_add_f64 v[62:63], v[62:63], v[88:89]
	s_waitcnt lgkmcnt(0)
	v_mul_f64 v[88:89], v[56:57], v[52:53]
	v_mul_f64 v[90:91], v[54:55], v[10:11]
	v_fma_f64 v[88:89], v[54:55], v[50:51], -v[88:89]
	v_mul_f64 v[54:55], v[54:55], v[52:53]
	v_fmac_f64_e32 v[54:55], v[56:57], v[50:51]
	v_add_f64 v[84:85], v[54:55], v[84:85]
	v_mul_f64 v[54:55], v[6:7], v[10:11]
	v_mul_f64 v[10:11], v[4:5], v[10:11]
	v_fmac_f64_e32 v[90:91], v[56:57], v[8:9]
	v_fma_f64 v[54:55], v[4:5], v[8:9], -v[54:55]
	v_fmac_f64_e32 v[10:11], v[6:7], v[8:9]
	v_mul_f64 v[8:9], v[6:7], v[52:53]
	v_mul_f64 v[52:53], v[4:5], v[52:53]
	v_add_f64 v[80:81], v[80:81], v[54:55]
	v_add_f64 v[82:83], v[10:11], v[82:83]
	v_fma_f64 v[54:55], v[4:5], v[50:51], -v[8:9]
	v_fmac_f64_e32 v[52:53], v[6:7], v[50:51]
	ds_read_b128 v[4:7], v66 offset:288
	ds_read_b128 v[8:11], v68 offset:9216
	v_add_f64 v[64:65], v[90:91], v[64:65]
	v_add_f64 v[86:87], v[86:87], v[88:89]
	v_add_f64 v[88:89], v[58:59], v[54:55]
	v_add_f64 v[90:91], v[52:53], v[60:61]
	ds_read_b128 v[50:53], v68 offset:9472
	ds_read_b128 v[54:57], v66 offset:304
	s_waitcnt lgkmcnt(2)
	v_mul_f64 v[58:59], v[6:7], v[10:11]
	v_fma_f64 v[58:59], v[4:5], v[8:9], -v[58:59]
	v_mul_f64 v[60:61], v[4:5], v[10:11]
	v_fmac_f64_e32 v[60:61], v[6:7], v[8:9]
	v_add_f64 v[62:63], v[62:63], v[58:59]
	s_waitcnt lgkmcnt(1)
	v_mul_f64 v[58:59], v[6:7], v[52:53]
	v_add_f64 v[64:65], v[60:61], v[64:65]
	v_fma_f64 v[92:93], v[4:5], v[50:51], -v[58:59]
	ds_read_b128 v[58:61], v66 offset:8480
	v_mul_f64 v[4:5], v[4:5], v[52:53]
	v_fmac_f64_e32 v[4:5], v[6:7], v[50:51]
	v_add_f64 v[86:87], v[86:87], v[92:93]
	v_add_f64 v[84:85], v[4:5], v[84:85]
	ds_read_b128 v[4:7], v66 offset:8496
	s_waitcnt lgkmcnt(1)
	v_mul_f64 v[92:93], v[60:61], v[10:11]
	v_mul_f64 v[10:11], v[58:59], v[10:11]
	v_fma_f64 v[92:93], v[58:59], v[8:9], -v[92:93]
	v_fmac_f64_e32 v[10:11], v[60:61], v[8:9]
	v_mul_f64 v[8:9], v[60:61], v[52:53]
	v_add_f64 v[80:81], v[80:81], v[92:93]
	v_add_f64 v[82:83], v[10:11], v[82:83]
	v_fma_f64 v[92:93], v[58:59], v[50:51], -v[8:9]
	v_mul_f64 v[52:53], v[58:59], v[52:53]
	ds_read_b128 v[8:11], v68 offset:9728
	v_fmac_f64_e32 v[52:53], v[60:61], v[50:51]
	v_add_f64 v[60:61], v[52:53], v[90:91]
	ds_read_b128 v[50:53], v68 offset:9984
	v_add_f64 v[58:59], v[88:89], v[92:93]
	s_waitcnt lgkmcnt(1)
	v_mul_f64 v[88:89], v[56:57], v[10:11]
	v_fma_f64 v[88:89], v[54:55], v[8:9], -v[88:89]
	v_add_f64 v[62:63], v[62:63], v[88:89]
	s_waitcnt lgkmcnt(0)
	v_mul_f64 v[88:89], v[56:57], v[52:53]
	v_mul_f64 v[90:91], v[54:55], v[10:11]
	v_fma_f64 v[88:89], v[54:55], v[50:51], -v[88:89]
	v_mul_f64 v[54:55], v[54:55], v[52:53]
	v_fmac_f64_e32 v[54:55], v[56:57], v[50:51]
	v_add_f64 v[84:85], v[54:55], v[84:85]
	v_mul_f64 v[54:55], v[6:7], v[10:11]
	v_mul_f64 v[10:11], v[4:5], v[10:11]
	v_fmac_f64_e32 v[90:91], v[56:57], v[8:9]
	v_fma_f64 v[54:55], v[4:5], v[8:9], -v[54:55]
	v_fmac_f64_e32 v[10:11], v[6:7], v[8:9]
	v_mul_f64 v[8:9], v[6:7], v[52:53]
	v_mul_f64 v[52:53], v[4:5], v[52:53]
	v_add_f64 v[80:81], v[80:81], v[54:55]
	v_add_f64 v[82:83], v[10:11], v[82:83]
	v_fma_f64 v[54:55], v[4:5], v[50:51], -v[8:9]
	v_fmac_f64_e32 v[52:53], v[6:7], v[50:51]
	ds_read_b128 v[4:7], v66 offset:320
	ds_read_b128 v[8:11], v68 offset:10240
	v_add_f64 v[64:65], v[90:91], v[64:65]
	v_add_f64 v[86:87], v[86:87], v[88:89]
	v_add_f64 v[88:89], v[58:59], v[54:55]
	v_add_f64 v[90:91], v[52:53], v[60:61]
	ds_read_b128 v[50:53], v68 offset:10496
	ds_read_b128 v[54:57], v66 offset:336
	s_waitcnt lgkmcnt(2)
	v_mul_f64 v[58:59], v[6:7], v[10:11]
	v_fma_f64 v[58:59], v[4:5], v[8:9], -v[58:59]
	v_mul_f64 v[60:61], v[4:5], v[10:11]
	v_fmac_f64_e32 v[60:61], v[6:7], v[8:9]
	v_add_f64 v[62:63], v[62:63], v[58:59]
	s_waitcnt lgkmcnt(1)
	v_mul_f64 v[58:59], v[6:7], v[52:53]
	v_add_f64 v[64:65], v[60:61], v[64:65]
	v_fma_f64 v[92:93], v[4:5], v[50:51], -v[58:59]
	ds_read_b128 v[58:61], v66 offset:8512
	v_mul_f64 v[4:5], v[4:5], v[52:53]
	v_fmac_f64_e32 v[4:5], v[6:7], v[50:51]
	v_add_f64 v[86:87], v[86:87], v[92:93]
	v_add_f64 v[84:85], v[4:5], v[84:85]
	ds_read_b128 v[4:7], v66 offset:8528
	s_waitcnt lgkmcnt(1)
	v_mul_f64 v[92:93], v[60:61], v[10:11]
	v_mul_f64 v[10:11], v[58:59], v[10:11]
	v_fma_f64 v[92:93], v[58:59], v[8:9], -v[92:93]
	v_fmac_f64_e32 v[10:11], v[60:61], v[8:9]
	v_mul_f64 v[8:9], v[60:61], v[52:53]
	v_add_f64 v[80:81], v[80:81], v[92:93]
	v_add_f64 v[82:83], v[10:11], v[82:83]
	v_fma_f64 v[92:93], v[58:59], v[50:51], -v[8:9]
	v_mul_f64 v[52:53], v[58:59], v[52:53]
	ds_read_b128 v[8:11], v68 offset:10752
	v_fmac_f64_e32 v[52:53], v[60:61], v[50:51]
	v_add_f64 v[60:61], v[52:53], v[90:91]
	ds_read_b128 v[50:53], v68 offset:11008
	v_add_f64 v[58:59], v[88:89], v[92:93]
	s_waitcnt lgkmcnt(1)
	v_mul_f64 v[88:89], v[56:57], v[10:11]
	v_fma_f64 v[88:89], v[54:55], v[8:9], -v[88:89]
	v_add_f64 v[62:63], v[62:63], v[88:89]
	s_waitcnt lgkmcnt(0)
	v_mul_f64 v[88:89], v[56:57], v[52:53]
	v_mul_f64 v[90:91], v[54:55], v[10:11]
	v_fma_f64 v[88:89], v[54:55], v[50:51], -v[88:89]
	v_mul_f64 v[54:55], v[54:55], v[52:53]
	v_fmac_f64_e32 v[54:55], v[56:57], v[50:51]
	v_add_f64 v[84:85], v[54:55], v[84:85]
	v_mul_f64 v[54:55], v[6:7], v[10:11]
	v_mul_f64 v[10:11], v[4:5], v[10:11]
	v_fmac_f64_e32 v[90:91], v[56:57], v[8:9]
	v_fma_f64 v[54:55], v[4:5], v[8:9], -v[54:55]
	v_fmac_f64_e32 v[10:11], v[6:7], v[8:9]
	v_mul_f64 v[8:9], v[6:7], v[52:53]
	v_mul_f64 v[52:53], v[4:5], v[52:53]
	v_add_f64 v[80:81], v[80:81], v[54:55]
	v_add_f64 v[82:83], v[10:11], v[82:83]
	v_fma_f64 v[54:55], v[4:5], v[50:51], -v[8:9]
	v_fmac_f64_e32 v[52:53], v[6:7], v[50:51]
	ds_read_b128 v[4:7], v66 offset:352
	ds_read_b128 v[8:11], v68 offset:11264
	v_add_f64 v[64:65], v[90:91], v[64:65]
	v_add_f64 v[86:87], v[86:87], v[88:89]
	v_add_f64 v[88:89], v[58:59], v[54:55]
	v_add_f64 v[90:91], v[52:53], v[60:61]
	ds_read_b128 v[50:53], v68 offset:11520
	ds_read_b128 v[54:57], v66 offset:368
	s_waitcnt lgkmcnt(2)
	v_mul_f64 v[58:59], v[6:7], v[10:11]
	v_fma_f64 v[58:59], v[4:5], v[8:9], -v[58:59]
	v_mul_f64 v[60:61], v[4:5], v[10:11]
	v_fmac_f64_e32 v[60:61], v[6:7], v[8:9]
	v_add_f64 v[62:63], v[62:63], v[58:59]
	s_waitcnt lgkmcnt(1)
	v_mul_f64 v[58:59], v[6:7], v[52:53]
	v_add_f64 v[64:65], v[60:61], v[64:65]
	v_fma_f64 v[92:93], v[4:5], v[50:51], -v[58:59]
	ds_read_b128 v[58:61], v66 offset:8544
	v_mul_f64 v[4:5], v[4:5], v[52:53]
	v_fmac_f64_e32 v[4:5], v[6:7], v[50:51]
	v_add_f64 v[86:87], v[86:87], v[92:93]
	v_add_f64 v[84:85], v[4:5], v[84:85]
	ds_read_b128 v[4:7], v66 offset:8560
	s_waitcnt lgkmcnt(1)
	v_mul_f64 v[92:93], v[60:61], v[10:11]
	v_mul_f64 v[10:11], v[58:59], v[10:11]
	v_fma_f64 v[92:93], v[58:59], v[8:9], -v[92:93]
	v_fmac_f64_e32 v[10:11], v[60:61], v[8:9]
	v_mul_f64 v[8:9], v[60:61], v[52:53]
	v_add_f64 v[80:81], v[80:81], v[92:93]
	v_add_f64 v[82:83], v[10:11], v[82:83]
	v_fma_f64 v[92:93], v[58:59], v[50:51], -v[8:9]
	v_mul_f64 v[52:53], v[58:59], v[52:53]
	ds_read_b128 v[8:11], v68 offset:11776
	v_fmac_f64_e32 v[52:53], v[60:61], v[50:51]
	v_add_f64 v[60:61], v[52:53], v[90:91]
	ds_read_b128 v[50:53], v68 offset:12032
	v_add_f64 v[58:59], v[88:89], v[92:93]
	s_waitcnt lgkmcnt(1)
	v_mul_f64 v[88:89], v[56:57], v[10:11]
	v_fma_f64 v[88:89], v[54:55], v[8:9], -v[88:89]
	v_add_f64 v[62:63], v[62:63], v[88:89]
	s_waitcnt lgkmcnt(0)
	v_mul_f64 v[88:89], v[56:57], v[52:53]
	v_mul_f64 v[90:91], v[54:55], v[10:11]
	v_fma_f64 v[88:89], v[54:55], v[50:51], -v[88:89]
	v_mul_f64 v[54:55], v[54:55], v[52:53]
	v_fmac_f64_e32 v[54:55], v[56:57], v[50:51]
	v_add_f64 v[84:85], v[54:55], v[84:85]
	v_mul_f64 v[54:55], v[6:7], v[10:11]
	v_mul_f64 v[10:11], v[4:5], v[10:11]
	v_fmac_f64_e32 v[90:91], v[56:57], v[8:9]
	v_fma_f64 v[54:55], v[4:5], v[8:9], -v[54:55]
	v_fmac_f64_e32 v[10:11], v[6:7], v[8:9]
	v_mul_f64 v[8:9], v[6:7], v[52:53]
	v_mul_f64 v[52:53], v[4:5], v[52:53]
	v_add_f64 v[80:81], v[80:81], v[54:55]
	v_add_f64 v[82:83], v[10:11], v[82:83]
	v_fma_f64 v[54:55], v[4:5], v[50:51], -v[8:9]
	v_fmac_f64_e32 v[52:53], v[6:7], v[50:51]
	ds_read_b128 v[4:7], v66 offset:384
	ds_read_b128 v[8:11], v68 offset:12288
	v_add_f64 v[64:65], v[90:91], v[64:65]
	v_add_f64 v[86:87], v[86:87], v[88:89]
	v_add_f64 v[88:89], v[58:59], v[54:55]
	v_add_f64 v[90:91], v[52:53], v[60:61]
	ds_read_b128 v[50:53], v68 offset:12544
	ds_read_b128 v[54:57], v66 offset:400
	s_waitcnt lgkmcnt(2)
	v_mul_f64 v[58:59], v[6:7], v[10:11]
	v_fma_f64 v[58:59], v[4:5], v[8:9], -v[58:59]
	v_mul_f64 v[60:61], v[4:5], v[10:11]
	v_fmac_f64_e32 v[60:61], v[6:7], v[8:9]
	v_add_f64 v[62:63], v[62:63], v[58:59]
	s_waitcnt lgkmcnt(1)
	v_mul_f64 v[58:59], v[6:7], v[52:53]
	v_add_f64 v[64:65], v[60:61], v[64:65]
	v_fma_f64 v[92:93], v[4:5], v[50:51], -v[58:59]
	ds_read_b128 v[58:61], v66 offset:8576
	v_mul_f64 v[4:5], v[4:5], v[52:53]
	v_fmac_f64_e32 v[4:5], v[6:7], v[50:51]
	v_add_f64 v[86:87], v[86:87], v[92:93]
	v_add_f64 v[84:85], v[4:5], v[84:85]
	ds_read_b128 v[4:7], v66 offset:8592
	s_waitcnt lgkmcnt(1)
	v_mul_f64 v[92:93], v[60:61], v[10:11]
	v_mul_f64 v[10:11], v[58:59], v[10:11]
	v_fma_f64 v[92:93], v[58:59], v[8:9], -v[92:93]
	v_fmac_f64_e32 v[10:11], v[60:61], v[8:9]
	v_mul_f64 v[8:9], v[60:61], v[52:53]
	v_add_f64 v[80:81], v[80:81], v[92:93]
	v_add_f64 v[82:83], v[10:11], v[82:83]
	v_fma_f64 v[92:93], v[58:59], v[50:51], -v[8:9]
	v_mul_f64 v[52:53], v[58:59], v[52:53]
	ds_read_b128 v[8:11], v68 offset:12800
	v_fmac_f64_e32 v[52:53], v[60:61], v[50:51]
	v_add_f64 v[60:61], v[52:53], v[90:91]
	ds_read_b128 v[50:53], v68 offset:13056
	v_add_f64 v[58:59], v[88:89], v[92:93]
	s_waitcnt lgkmcnt(1)
	v_mul_f64 v[88:89], v[56:57], v[10:11]
	v_fma_f64 v[88:89], v[54:55], v[8:9], -v[88:89]
	v_add_f64 v[62:63], v[62:63], v[88:89]
	s_waitcnt lgkmcnt(0)
	v_mul_f64 v[88:89], v[56:57], v[52:53]
	v_mul_f64 v[90:91], v[54:55], v[10:11]
	v_fma_f64 v[88:89], v[54:55], v[50:51], -v[88:89]
	v_mul_f64 v[54:55], v[54:55], v[52:53]
	v_fmac_f64_e32 v[54:55], v[56:57], v[50:51]
	v_add_f64 v[84:85], v[54:55], v[84:85]
	v_mul_f64 v[54:55], v[6:7], v[10:11]
	v_mul_f64 v[10:11], v[4:5], v[10:11]
	v_fmac_f64_e32 v[90:91], v[56:57], v[8:9]
	v_fma_f64 v[54:55], v[4:5], v[8:9], -v[54:55]
	v_fmac_f64_e32 v[10:11], v[6:7], v[8:9]
	v_mul_f64 v[8:9], v[6:7], v[52:53]
	v_mul_f64 v[52:53], v[4:5], v[52:53]
	v_add_f64 v[80:81], v[80:81], v[54:55]
	v_add_f64 v[82:83], v[10:11], v[82:83]
	v_fma_f64 v[54:55], v[4:5], v[50:51], -v[8:9]
	v_fmac_f64_e32 v[52:53], v[6:7], v[50:51]
	ds_read_b128 v[4:7], v66 offset:416
	ds_read_b128 v[8:11], v68 offset:13312
	v_add_f64 v[64:65], v[90:91], v[64:65]
	v_add_f64 v[86:87], v[86:87], v[88:89]
	v_add_f64 v[88:89], v[58:59], v[54:55]
	v_add_f64 v[90:91], v[52:53], v[60:61]
	ds_read_b128 v[50:53], v68 offset:13568
	ds_read_b128 v[54:57], v66 offset:432
	s_waitcnt lgkmcnt(2)
	v_mul_f64 v[58:59], v[6:7], v[10:11]
	v_fma_f64 v[58:59], v[4:5], v[8:9], -v[58:59]
	v_mul_f64 v[60:61], v[4:5], v[10:11]
	v_fmac_f64_e32 v[60:61], v[6:7], v[8:9]
	v_add_f64 v[62:63], v[62:63], v[58:59]
	s_waitcnt lgkmcnt(1)
	v_mul_f64 v[58:59], v[6:7], v[52:53]
	v_add_f64 v[64:65], v[60:61], v[64:65]
	v_fma_f64 v[92:93], v[4:5], v[50:51], -v[58:59]
	ds_read_b128 v[58:61], v66 offset:8608
	v_mul_f64 v[4:5], v[4:5], v[52:53]
	v_fmac_f64_e32 v[4:5], v[6:7], v[50:51]
	v_add_f64 v[86:87], v[86:87], v[92:93]
	v_add_f64 v[84:85], v[4:5], v[84:85]
	ds_read_b128 v[4:7], v66 offset:8624
	s_waitcnt lgkmcnt(1)
	v_mul_f64 v[92:93], v[60:61], v[10:11]
	v_mul_f64 v[10:11], v[58:59], v[10:11]
	v_fma_f64 v[92:93], v[58:59], v[8:9], -v[92:93]
	v_fmac_f64_e32 v[10:11], v[60:61], v[8:9]
	v_mul_f64 v[8:9], v[60:61], v[52:53]
	v_add_f64 v[80:81], v[80:81], v[92:93]
	v_add_f64 v[82:83], v[10:11], v[82:83]
	v_fma_f64 v[92:93], v[58:59], v[50:51], -v[8:9]
	v_mul_f64 v[52:53], v[58:59], v[52:53]
	ds_read_b128 v[8:11], v68 offset:13824
	v_fmac_f64_e32 v[52:53], v[60:61], v[50:51]
	v_add_f64 v[60:61], v[52:53], v[90:91]
	ds_read_b128 v[50:53], v68 offset:14080
	v_add_f64 v[58:59], v[88:89], v[92:93]
	s_waitcnt lgkmcnt(1)
	v_mul_f64 v[88:89], v[56:57], v[10:11]
	v_fma_f64 v[88:89], v[54:55], v[8:9], -v[88:89]
	v_add_f64 v[62:63], v[62:63], v[88:89]
	s_waitcnt lgkmcnt(0)
	v_mul_f64 v[88:89], v[56:57], v[52:53]
	v_mul_f64 v[90:91], v[54:55], v[10:11]
	v_fma_f64 v[88:89], v[54:55], v[50:51], -v[88:89]
	v_mul_f64 v[54:55], v[54:55], v[52:53]
	v_fmac_f64_e32 v[54:55], v[56:57], v[50:51]
	v_add_f64 v[84:85], v[54:55], v[84:85]
	v_mul_f64 v[54:55], v[6:7], v[10:11]
	v_mul_f64 v[10:11], v[4:5], v[10:11]
	v_fmac_f64_e32 v[90:91], v[56:57], v[8:9]
	v_fma_f64 v[54:55], v[4:5], v[8:9], -v[54:55]
	v_fmac_f64_e32 v[10:11], v[6:7], v[8:9]
	v_mul_f64 v[8:9], v[6:7], v[52:53]
	v_mul_f64 v[52:53], v[4:5], v[52:53]
	v_add_f64 v[80:81], v[80:81], v[54:55]
	v_add_f64 v[82:83], v[10:11], v[82:83]
	v_fma_f64 v[54:55], v[4:5], v[50:51], -v[8:9]
	v_fmac_f64_e32 v[52:53], v[6:7], v[50:51]
	ds_read_b128 v[4:7], v66 offset:448
	ds_read_b128 v[8:11], v68 offset:14336
	v_add_f64 v[64:65], v[90:91], v[64:65]
	v_add_f64 v[86:87], v[86:87], v[88:89]
	v_add_f64 v[88:89], v[58:59], v[54:55]
	v_add_f64 v[90:91], v[52:53], v[60:61]
	ds_read_b128 v[50:53], v68 offset:14592
	ds_read_b128 v[54:57], v66 offset:464
	s_waitcnt lgkmcnt(2)
	v_mul_f64 v[58:59], v[6:7], v[10:11]
	v_fma_f64 v[58:59], v[4:5], v[8:9], -v[58:59]
	v_mul_f64 v[60:61], v[4:5], v[10:11]
	v_fmac_f64_e32 v[60:61], v[6:7], v[8:9]
	v_add_f64 v[62:63], v[62:63], v[58:59]
	s_waitcnt lgkmcnt(1)
	v_mul_f64 v[58:59], v[6:7], v[52:53]
	v_add_f64 v[64:65], v[60:61], v[64:65]
	v_fma_f64 v[92:93], v[4:5], v[50:51], -v[58:59]
	ds_read_b128 v[58:61], v66 offset:8640
	v_mul_f64 v[4:5], v[4:5], v[52:53]
	v_fmac_f64_e32 v[4:5], v[6:7], v[50:51]
	v_add_f64 v[86:87], v[86:87], v[92:93]
	v_add_f64 v[84:85], v[4:5], v[84:85]
	ds_read_b128 v[4:7], v66 offset:8656
	s_waitcnt lgkmcnt(1)
	v_mul_f64 v[92:93], v[60:61], v[10:11]
	v_mul_f64 v[10:11], v[58:59], v[10:11]
	v_fma_f64 v[92:93], v[58:59], v[8:9], -v[92:93]
	v_fmac_f64_e32 v[10:11], v[60:61], v[8:9]
	v_mul_f64 v[8:9], v[60:61], v[52:53]
	v_add_f64 v[80:81], v[80:81], v[92:93]
	v_add_f64 v[82:83], v[10:11], v[82:83]
	v_fma_f64 v[92:93], v[58:59], v[50:51], -v[8:9]
	v_mul_f64 v[52:53], v[58:59], v[52:53]
	ds_read_b128 v[8:11], v68 offset:14848
	v_fmac_f64_e32 v[52:53], v[60:61], v[50:51]
	v_add_f64 v[60:61], v[52:53], v[90:91]
	ds_read_b128 v[50:53], v68 offset:15104
	v_add_f64 v[58:59], v[88:89], v[92:93]
	s_waitcnt lgkmcnt(1)
	v_mul_f64 v[88:89], v[56:57], v[10:11]
	v_fma_f64 v[88:89], v[54:55], v[8:9], -v[88:89]
	v_add_f64 v[62:63], v[62:63], v[88:89]
	s_waitcnt lgkmcnt(0)
	v_mul_f64 v[88:89], v[56:57], v[52:53]
	v_mul_f64 v[90:91], v[54:55], v[10:11]
	v_fma_f64 v[88:89], v[54:55], v[50:51], -v[88:89]
	v_mul_f64 v[54:55], v[54:55], v[52:53]
	v_fmac_f64_e32 v[54:55], v[56:57], v[50:51]
	v_add_f64 v[84:85], v[54:55], v[84:85]
	v_mul_f64 v[54:55], v[6:7], v[10:11]
	v_mul_f64 v[10:11], v[4:5], v[10:11]
	v_fmac_f64_e32 v[90:91], v[56:57], v[8:9]
	v_fma_f64 v[54:55], v[4:5], v[8:9], -v[54:55]
	v_fmac_f64_e32 v[10:11], v[6:7], v[8:9]
	v_mul_f64 v[8:9], v[6:7], v[52:53]
	v_mul_f64 v[52:53], v[4:5], v[52:53]
	v_add_f64 v[80:81], v[80:81], v[54:55]
	v_add_f64 v[82:83], v[10:11], v[82:83]
	v_fma_f64 v[54:55], v[4:5], v[50:51], -v[8:9]
	v_fmac_f64_e32 v[52:53], v[6:7], v[50:51]
	ds_read_b128 v[4:7], v66 offset:480
	ds_read_b128 v[8:11], v68 offset:15360
	v_add_f64 v[64:65], v[90:91], v[64:65]
	v_add_f64 v[86:87], v[86:87], v[88:89]
	v_add_f64 v[88:89], v[58:59], v[54:55]
	v_add_f64 v[90:91], v[52:53], v[60:61]
	ds_read_b128 v[50:53], v68 offset:15616
	ds_read_b128 v[54:57], v66 offset:496
	s_waitcnt lgkmcnt(2)
	v_mul_f64 v[58:59], v[6:7], v[10:11]
	v_fma_f64 v[58:59], v[4:5], v[8:9], -v[58:59]
	v_mul_f64 v[60:61], v[4:5], v[10:11]
	v_fmac_f64_e32 v[60:61], v[6:7], v[8:9]
	v_add_f64 v[62:63], v[62:63], v[58:59]
	s_waitcnt lgkmcnt(1)
	v_mul_f64 v[58:59], v[6:7], v[52:53]
	v_add_f64 v[64:65], v[60:61], v[64:65]
	v_fma_f64 v[92:93], v[4:5], v[50:51], -v[58:59]
	ds_read_b128 v[58:61], v66 offset:8672
	v_mul_f64 v[4:5], v[4:5], v[52:53]
	v_fmac_f64_e32 v[4:5], v[6:7], v[50:51]
	v_add_f64 v[86:87], v[86:87], v[92:93]
	v_add_f64 v[84:85], v[4:5], v[84:85]
	ds_read_b128 v[4:7], v66 offset:8688
	s_waitcnt lgkmcnt(1)
	v_mul_f64 v[92:93], v[60:61], v[10:11]
	v_mul_f64 v[10:11], v[58:59], v[10:11]
	v_fma_f64 v[92:93], v[58:59], v[8:9], -v[92:93]
	v_fmac_f64_e32 v[10:11], v[60:61], v[8:9]
	v_mul_f64 v[8:9], v[60:61], v[52:53]
	v_add_f64 v[80:81], v[80:81], v[92:93]
	v_add_f64 v[82:83], v[10:11], v[82:83]
	v_fma_f64 v[92:93], v[58:59], v[50:51], -v[8:9]
	v_mul_f64 v[52:53], v[58:59], v[52:53]
	ds_read_b128 v[8:11], v68 offset:15872
	v_fmac_f64_e32 v[52:53], v[60:61], v[50:51]
	v_add_f64 v[90:91], v[52:53], v[90:91]
	ds_read_b128 v[50:53], v68 offset:16128
	s_add_u32 s40, s40, 32
	s_waitcnt lgkmcnt(1)
	v_mul_f64 v[58:59], v[56:57], v[10:11]
	v_fma_f64 v[58:59], v[54:55], v[8:9], -v[58:59]
	v_add_f64 v[62:63], v[62:63], v[58:59]
	s_waitcnt lgkmcnt(0)
	v_mul_f64 v[58:59], v[56:57], v[52:53]
	v_mul_f64 v[60:61], v[54:55], v[10:11]
	v_fma_f64 v[58:59], v[54:55], v[50:51], -v[58:59]
	v_mul_f64 v[54:55], v[54:55], v[52:53]
	v_fmac_f64_e32 v[60:61], v[56:57], v[8:9]
	v_fmac_f64_e32 v[54:55], v[56:57], v[50:51]
	v_add_f64 v[64:65], v[60:61], v[64:65]
	v_add_f64 v[60:61], v[54:55], v[84:85]
	v_mul_f64 v[54:55], v[6:7], v[10:11]
	v_mul_f64 v[10:11], v[4:5], v[10:11]
	v_fma_f64 v[54:55], v[4:5], v[8:9], -v[54:55]
	v_fmac_f64_e32 v[10:11], v[6:7], v[8:9]
	v_mul_f64 v[8:9], v[6:7], v[52:53]
	v_fma_f64 v[8:9], v[4:5], v[50:51], -v[8:9]
	v_mul_f64 v[4:5], v[4:5], v[52:53]
	v_add_f64 v[88:89], v[88:89], v[92:93]
	v_fmac_f64_e32 v[4:5], v[6:7], v[50:51]
	s_addc_u32 s41, s41, 0
	s_sub_i32 s4, s40, 32
	v_add_f64 v[58:59], v[86:87], v[58:59]
	v_add_f64 v[54:55], v[80:81], v[54:55]
	;; [unrolled: 1-line block ×5, first 2 shown]
	v_lshl_add_u64 v[48:49], v[48:49], 0, s[34:35]
	v_lshl_add_u64 v[38:39], v[38:39], 0, s[26:27]
	s_cmp_ge_i32 s4, s55
	v_lshl_add_u64 v[40:41], v[40:41], 0, s[26:27]
	s_barrier
	s_cbranch_scc1 .LBB122_55
.LBB122_7:                              ;   Parent Loop BB122_4 Depth=1
                                        ; =>  This Inner Loop Header: Depth=2
	v_lshl_add_u64 v[4:5], v[14:15], 0, s[40:41]
	v_cmp_eq_u64_e64 s[4:5], s[40:41], v[36:37]
	v_cmp_gt_i64_e64 s[10:11], v[4:5], v[34:35]
	s_and_b64 s[50:51], s[30:31], s[4:5]
	s_or_b64 s[4:5], s[6:7], s[10:11]
	v_cmp_le_i64_e64 s[12:13], s[42:43], v[4:5]
	s_or_b64 s[4:5], s[4:5], s[50:51]
	v_lshl_add_u64 v[6:7], v[40:41], 0, v[20:21]
	s_nor_b64 s[4:5], s[12:13], s[4:5]
	s_and_saveexec_b64 s[14:15], s[4:5]
	s_xor_b64 s[4:5], exec, s[14:15]
	s_cbranch_execz .LBB122_9
; %bb.8:                                ;   in Loop: Header=BB122_7 Depth=2
	global_load_dwordx4 v[8:11], v[6:7], off offset:-256
	s_waitcnt vmcnt(0)
	ds_write2_b64 v67, v[8:9], v[10:11] offset1:1
.LBB122_9:                              ;   in Loop: Header=BB122_7 Depth=2
	s_or_saveexec_b64 s[4:5], s[4:5]
	s_xor_b64 s[48:49], s[50:51], -1
	s_xor_b64 exec, exec, s[4:5]
	s_cbranch_execz .LBB122_15
; %bb.10:                               ;   in Loop: Header=BB122_7 Depth=2
	s_and_saveexec_b64 s[14:15], s[48:49]
	s_xor_b64 s[14:15], exec, s[14:15]
; %bb.11:                               ;   in Loop: Header=BB122_7 Depth=2
	ds_write_b128 v67, v[76:79]
; %bb.12:                               ;   in Loop: Header=BB122_7 Depth=2
	s_andn2_saveexec_b64 s[14:15], s[14:15]
; %bb.13:                               ;   in Loop: Header=BB122_7 Depth=2
	ds_write_b128 v67, v[0:3]
; %bb.14:                               ;   in Loop: Header=BB122_7 Depth=2
	s_or_b64 exec, exec, s[14:15]
.LBB122_15:                             ;   in Loop: Header=BB122_7 Depth=2
	s_or_b64 exec, exec, s[4:5]
	v_lshl_add_u64 v[8:9], v[4:5], 0, 16
	v_cmp_eq_u64_e64 s[4:5], s[40:41], v[46:47]
	s_and_b64 s[52:53], s[30:31], s[4:5]
	v_cmp_gt_i64_e64 s[4:5], v[8:9], v[34:35]
	s_or_b64 s[4:5], s[6:7], s[4:5]
	v_cmp_le_i64_e64 s[14:15], s[42:43], v[8:9]
	s_or_b64 s[4:5], s[4:5], s[52:53]
	s_nor_b64 s[4:5], s[14:15], s[4:5]
	s_and_saveexec_b64 s[56:57], s[4:5]
	s_xor_b64 s[4:5], exec, s[56:57]
	s_cbranch_execz .LBB122_17
; %bb.16:                               ;   in Loop: Header=BB122_7 Depth=2
	global_load_dwordx4 v[6:9], v[6:7], off
	s_waitcnt vmcnt(0)
	ds_write2_b64 v70, v[6:7], v[8:9] offset1:1
.LBB122_17:                             ;   in Loop: Header=BB122_7 Depth=2
	s_andn2_saveexec_b64 s[4:5], s[4:5]
	s_cbranch_execz .LBB122_23
; %bb.18:                               ;   in Loop: Header=BB122_7 Depth=2
	s_xor_b64 s[52:53], s[52:53], -1
	s_and_saveexec_b64 s[56:57], s[52:53]
	s_xor_b64 s[52:53], exec, s[56:57]
; %bb.19:                               ;   in Loop: Header=BB122_7 Depth=2
	ds_write_b128 v67, v[76:79] offset:256
; %bb.20:                               ;   in Loop: Header=BB122_7 Depth=2
	s_andn2_saveexec_b64 s[52:53], s[52:53]
; %bb.21:                               ;   in Loop: Header=BB122_7 Depth=2
	ds_write_b128 v67, v[0:3] offset:256
; %bb.22:                               ;   in Loop: Header=BB122_7 Depth=2
	s_or_b64 exec, exec, s[52:53]
.LBB122_23:                             ;   in Loop: Header=BB122_7 Depth=2
	s_or_b64 exec, exec, s[4:5]
	v_cmp_eq_u64_e64 s[4:5], s[40:41], v[44:45]
	s_and_b64 s[52:53], s[30:31], s[4:5]
	v_cmp_gt_i64_e64 s[4:5], v[4:5], v[42:43]
	s_or_b64 s[4:5], s[8:9], s[4:5]
	s_or_b64 s[4:5], s[4:5], s[52:53]
	v_lshl_add_u64 v[6:7], v[38:39], 0, v[20:21]
	s_nor_b64 s[4:5], s[12:13], s[4:5]
	s_and_saveexec_b64 s[12:13], s[4:5]
	s_xor_b64 s[4:5], exec, s[12:13]
	s_cbranch_execz .LBB122_25
; %bb.24:                               ;   in Loop: Header=BB122_7 Depth=2
	global_load_dwordx4 v[8:11], v[6:7], off offset:-256
	s_waitcnt vmcnt(0)
	ds_write2_b64 v71, v[8:9], v[10:11] offset1:1
.LBB122_25:                             ;   in Loop: Header=BB122_7 Depth=2
	s_andn2_saveexec_b64 s[4:5], s[4:5]
	s_cbranch_execz .LBB122_31
; %bb.26:                               ;   in Loop: Header=BB122_7 Depth=2
	s_xor_b64 s[12:13], s[52:53], -1
	s_and_saveexec_b64 s[52:53], s[12:13]
	s_xor_b64 s[12:13], exec, s[52:53]
; %bb.27:                               ;   in Loop: Header=BB122_7 Depth=2
	ds_write_b128 v67, v[76:79] offset:8192
; %bb.28:                               ;   in Loop: Header=BB122_7 Depth=2
	s_andn2_saveexec_b64 s[12:13], s[12:13]
; %bb.29:                               ;   in Loop: Header=BB122_7 Depth=2
	ds_write_b128 v67, v[0:3] offset:8192
; %bb.30:                               ;   in Loop: Header=BB122_7 Depth=2
	s_or_b64 exec, exec, s[12:13]
.LBB122_31:                             ;   in Loop: Header=BB122_7 Depth=2
	s_or_b64 exec, exec, s[4:5]
	s_or_b64 s[4:5], s[8:9], s[10:11]
	s_or_b64 s[4:5], s[4:5], s[50:51]
	s_nor_b64 s[4:5], s[14:15], s[4:5]
	s_and_saveexec_b64 s[10:11], s[4:5]
	s_xor_b64 s[4:5], exec, s[10:11]
	s_cbranch_execz .LBB122_33
; %bb.32:                               ;   in Loop: Header=BB122_7 Depth=2
	global_load_dwordx4 v[4:7], v[6:7], off
	s_waitcnt vmcnt(0)
	ds_write2_b64 v72, v[4:5], v[6:7] offset1:1
.LBB122_33:                             ;   in Loop: Header=BB122_7 Depth=2
	s_andn2_saveexec_b64 s[4:5], s[4:5]
	s_cbranch_execz .LBB122_39
; %bb.34:                               ;   in Loop: Header=BB122_7 Depth=2
	s_and_saveexec_b64 s[10:11], s[48:49]
	s_xor_b64 s[10:11], exec, s[10:11]
; %bb.35:                               ;   in Loop: Header=BB122_7 Depth=2
	ds_write_b128 v67, v[76:79] offset:8448
; %bb.36:                               ;   in Loop: Header=BB122_7 Depth=2
	s_andn2_saveexec_b64 s[10:11], s[10:11]
; %bb.37:                               ;   in Loop: Header=BB122_7 Depth=2
	ds_write_b128 v67, v[0:3] offset:8448
; %bb.38:                               ;   in Loop: Header=BB122_7 Depth=2
	s_or_b64 exec, exec, s[10:11]
.LBB122_39:                             ;   in Loop: Header=BB122_7 Depth=2
	s_or_b64 exec, exec, s[4:5]
	v_lshl_add_u64 v[4:5], v[12:13], 0, s[40:41]
	v_cmp_le_i64_e64 s[10:11], s[42:43], v[4:5]
	v_lshl_add_u64 v[6:7], v[48:49], 0, v[30:31]
	s_nor_b64 s[4:5], s[10:11], vcc
	s_and_saveexec_b64 s[12:13], s[4:5]
	s_xor_b64 s[4:5], exec, s[12:13]
	s_cbranch_execz .LBB122_41
; %bb.40:                               ;   in Loop: Header=BB122_7 Depth=2
	global_load_dwordx4 v[8:11], v[6:7], off offset:-256
	s_waitcnt vmcnt(0)
	ds_write2_b64 v69, v[8:9], v[10:11] offset1:1
.LBB122_41:                             ;   in Loop: Header=BB122_7 Depth=2
	s_andn2_saveexec_b64 s[4:5], s[4:5]
; %bb.42:                               ;   in Loop: Header=BB122_7 Depth=2
	ds_write_b128 v69, v[76:79]
; %bb.43:                               ;   in Loop: Header=BB122_7 Depth=2
	s_or_b64 exec, exec, s[4:5]
	s_nor_b64 s[4:5], s[10:11], s[0:1]
	s_and_saveexec_b64 s[10:11], s[4:5]
	s_xor_b64 s[4:5], exec, s[10:11]
	s_cbranch_execz .LBB122_45
; %bb.44:                               ;   in Loop: Header=BB122_7 Depth=2
	global_load_dwordx4 v[6:9], v[6:7], off
	s_waitcnt vmcnt(0)
	ds_write2_b64 v73, v[6:7], v[8:9] offset1:1
.LBB122_45:                             ;   in Loop: Header=BB122_7 Depth=2
	s_andn2_saveexec_b64 s[4:5], s[4:5]
; %bb.46:                               ;   in Loop: Header=BB122_7 Depth=2
	ds_write_b128 v69, v[76:79] offset:256
; %bb.47:                               ;   in Loop: Header=BB122_7 Depth=2
	s_or_b64 exec, exec, s[4:5]
	v_cmp_le_i64_e64 s[10:11], s[46:47], v[4:5]
	v_lshl_add_u64 v[4:5], v[48:49], 0, v[32:33]
	s_nor_b64 s[4:5], s[10:11], vcc
	s_and_saveexec_b64 s[12:13], s[4:5]
	s_xor_b64 s[4:5], exec, s[12:13]
	s_cbranch_execz .LBB122_49
; %bb.48:                               ;   in Loop: Header=BB122_7 Depth=2
	global_load_dwordx4 v[6:9], v[4:5], off
	s_waitcnt vmcnt(0)
	ds_write2_b64 v74, v[6:7], v[8:9] offset1:1
.LBB122_49:                             ;   in Loop: Header=BB122_7 Depth=2
	s_andn2_saveexec_b64 s[4:5], s[4:5]
; %bb.50:                               ;   in Loop: Header=BB122_7 Depth=2
	ds_write_b128 v69, v[76:79] offset:8192
; %bb.51:                               ;   in Loop: Header=BB122_7 Depth=2
	s_or_b64 exec, exec, s[4:5]
	s_nor_b64 s[4:5], s[10:11], s[0:1]
	s_and_saveexec_b64 s[10:11], s[4:5]
	s_xor_b64 s[4:5], exec, s[10:11]
	s_cbranch_execz .LBB122_53
; %bb.52:                               ;   in Loop: Header=BB122_7 Depth=2
	global_load_dwordx4 v[4:7], v[4:5], off offset:256
	s_waitcnt vmcnt(0)
	ds_write2_b64 v75, v[4:5], v[6:7] offset1:1
.LBB122_53:                             ;   in Loop: Header=BB122_7 Depth=2
	s_andn2_saveexec_b64 s[4:5], s[4:5]
	s_cbranch_execz .LBB122_6
; %bb.54:                               ;   in Loop: Header=BB122_7 Depth=2
	ds_write_b128 v69, v[76:79] offset:8448
	s_branch .LBB122_6
.LBB122_55:                             ;   in Loop: Header=BB122_4 Depth=1
	v_mul_lo_u32 v6, s45, v34
	v_mul_lo_u32 v7, s44, v35
	v_mad_u64_u32 v[4:5], s[4:5], s44, v34, 0
	v_cmp_gt_i32_e64 s[6:7], s42, v34
	v_add3_u32 v5, v5, v7, v6
	v_lshl_add_u64 v[4:5], v[4:5], 4, s[28:29]
	s_and_b64 s[8:9], s[16:17], s[6:7]
	s_and_saveexec_b64 s[4:5], s[8:9]
	s_cbranch_execz .LBB122_57
; %bb.56:                               ;   in Loop: Header=BB122_4 Depth=1
	v_lshl_add_u64 v[10:11], v[16:17], 4, v[4:5]
	global_load_dwordx4 v[6:9], v[10:11], off
	v_mul_f64 v[36:37], s[38:39], v[64:65]
	v_mul_f64 v[38:39], s[36:37], v[64:65]
	v_fma_f64 v[36:37], s[36:37], v[62:63], -v[36:37]
	v_fmac_f64_e32 v[38:39], s[38:39], v[62:63]
	s_waitcnt vmcnt(0)
	v_add_f64 v[6:7], v[6:7], v[36:37]
	v_add_f64 v[8:9], v[38:39], v[8:9]
	global_store_dwordx4 v[10:11], v[6:9], off
.LBB122_57:                             ;   in Loop: Header=BB122_4 Depth=1
	s_or_b64 exec, exec, s[4:5]
	s_and_b64 s[6:7], s[18:19], s[6:7]
	s_and_saveexec_b64 s[4:5], s[6:7]
	s_cbranch_execz .LBB122_59
; %bb.58:                               ;   in Loop: Header=BB122_4 Depth=1
	v_lshl_add_u64 v[8:9], v[22:23], 4, v[4:5]
	global_load_dwordx4 v[4:7], v[8:9], off
	v_mul_f64 v[10:11], s[38:39], v[60:61]
	v_mul_f64 v[36:37], s[36:37], v[60:61]
	v_fma_f64 v[10:11], s[36:37], v[58:59], -v[10:11]
	v_fmac_f64_e32 v[36:37], s[38:39], v[58:59]
	s_waitcnt vmcnt(0)
	v_add_f64 v[4:5], v[4:5], v[10:11]
	v_add_f64 v[6:7], v[36:37], v[6:7]
	global_store_dwordx4 v[8:9], v[4:7], off
.LBB122_59:                             ;   in Loop: Header=BB122_4 Depth=1
	s_or_b64 exec, exec, s[4:5]
	s_nop 0
	v_add_u32_e32 v4, 16, v34
	v_ashrrev_i32_e32 v5, 31, v4
	v_cmp_gt_i32_e64 s[6:7], s42, v4
	v_mul_lo_u32 v6, s44, v5
	v_mul_lo_u32 v7, s45, v4
	v_mad_u64_u32 v[4:5], s[4:5], s44, v4, 0
	v_add3_u32 v5, v5, v6, v7
	v_lshl_add_u64 v[4:5], v[4:5], 4, s[28:29]
	s_and_b64 s[8:9], s[16:17], s[6:7]
	s_and_saveexec_b64 s[4:5], s[8:9]
	s_cbranch_execz .LBB122_61
; %bb.60:                               ;   in Loop: Header=BB122_4 Depth=1
	v_lshl_add_u64 v[10:11], v[16:17], 4, v[4:5]
	global_load_dwordx4 v[6:9], v[10:11], off
	v_mul_f64 v[34:35], s[38:39], v[56:57]
	v_mul_f64 v[36:37], s[36:37], v[56:57]
	v_fma_f64 v[34:35], s[36:37], v[54:55], -v[34:35]
	v_fmac_f64_e32 v[36:37], s[38:39], v[54:55]
	s_waitcnt vmcnt(0)
	v_add_f64 v[6:7], v[6:7], v[34:35]
	v_add_f64 v[8:9], v[36:37], v[8:9]
	global_store_dwordx4 v[10:11], v[6:9], off
.LBB122_61:                             ;   in Loop: Header=BB122_4 Depth=1
	s_or_b64 exec, exec, s[4:5]
	s_and_b64 s[6:7], s[18:19], s[6:7]
	s_and_saveexec_b64 s[4:5], s[6:7]
	s_cbranch_execz .LBB122_3
; %bb.62:                               ;   in Loop: Header=BB122_4 Depth=1
	v_lshl_add_u64 v[8:9], v[22:23], 4, v[4:5]
	global_load_dwordx4 v[4:7], v[8:9], off
	v_mul_f64 v[10:11], s[38:39], v[50:51]
	v_mul_f64 v[34:35], s[36:37], v[50:51]
	v_fma_f64 v[10:11], s[36:37], v[52:53], -v[10:11]
	v_fmac_f64_e32 v[34:35], s[38:39], v[52:53]
	s_waitcnt vmcnt(0)
	v_add_f64 v[4:5], v[4:5], v[10:11]
	v_add_f64 v[6:7], v[34:35], v[6:7]
	global_store_dwordx4 v[8:9], v[4:7], off
	s_branch .LBB122_3
.LBB122_63:
	s_endpgm
	.section	.rodata,"a",@progbits
	.p2align	6, 0x0
	.amdhsa_kernel _ZL30rocblas_trmm_outofplace_kernelI19rocblas_complex_numIdELi32ELi2ELb0ELb1ELb0ELb0EPKS1_S2_S1_Ev17rocblas_diagonal_iiT6_lPT7_lllS7_lllPT8_llli
		.amdhsa_group_segment_fixed_size 32768
		.amdhsa_private_segment_fixed_size 0
		.amdhsa_kernarg_size 392
		.amdhsa_user_sgpr_count 2
		.amdhsa_user_sgpr_dispatch_ptr 0
		.amdhsa_user_sgpr_queue_ptr 0
		.amdhsa_user_sgpr_kernarg_segment_ptr 1
		.amdhsa_user_sgpr_dispatch_id 0
		.amdhsa_user_sgpr_kernarg_preload_length 0
		.amdhsa_user_sgpr_kernarg_preload_offset 0
		.amdhsa_user_sgpr_private_segment_size 0
		.amdhsa_uses_dynamic_stack 0
		.amdhsa_enable_private_segment 0
		.amdhsa_system_sgpr_workgroup_id_x 1
		.amdhsa_system_sgpr_workgroup_id_y 1
		.amdhsa_system_sgpr_workgroup_id_z 1
		.amdhsa_system_sgpr_workgroup_info 0
		.amdhsa_system_vgpr_workitem_id 1
		.amdhsa_next_free_vgpr 102
		.amdhsa_next_free_sgpr 58
		.amdhsa_accum_offset 104
		.amdhsa_reserve_vcc 1
		.amdhsa_float_round_mode_32 0
		.amdhsa_float_round_mode_16_64 0
		.amdhsa_float_denorm_mode_32 3
		.amdhsa_float_denorm_mode_16_64 3
		.amdhsa_dx10_clamp 1
		.amdhsa_ieee_mode 1
		.amdhsa_fp16_overflow 0
		.amdhsa_tg_split 0
		.amdhsa_exception_fp_ieee_invalid_op 0
		.amdhsa_exception_fp_denorm_src 0
		.amdhsa_exception_fp_ieee_div_zero 0
		.amdhsa_exception_fp_ieee_overflow 0
		.amdhsa_exception_fp_ieee_underflow 0
		.amdhsa_exception_fp_ieee_inexact 0
		.amdhsa_exception_int_div_zero 0
	.end_amdhsa_kernel
	.section	.text._ZL30rocblas_trmm_outofplace_kernelI19rocblas_complex_numIdELi32ELi2ELb0ELb1ELb0ELb0EPKS1_S2_S1_Ev17rocblas_diagonal_iiT6_lPT7_lllS7_lllPT8_llli,"axG",@progbits,_ZL30rocblas_trmm_outofplace_kernelI19rocblas_complex_numIdELi32ELi2ELb0ELb1ELb0ELb0EPKS1_S2_S1_Ev17rocblas_diagonal_iiT6_lPT7_lllS7_lllPT8_llli,comdat
.Lfunc_end122:
	.size	_ZL30rocblas_trmm_outofplace_kernelI19rocblas_complex_numIdELi32ELi2ELb0ELb1ELb0ELb0EPKS1_S2_S1_Ev17rocblas_diagonal_iiT6_lPT7_lllS7_lllPT8_llli, .Lfunc_end122-_ZL30rocblas_trmm_outofplace_kernelI19rocblas_complex_numIdELi32ELi2ELb0ELb1ELb0ELb0EPKS1_S2_S1_Ev17rocblas_diagonal_iiT6_lPT7_lllS7_lllPT8_llli
                                        ; -- End function
	.set _ZL30rocblas_trmm_outofplace_kernelI19rocblas_complex_numIdELi32ELi2ELb0ELb1ELb0ELb0EPKS1_S2_S1_Ev17rocblas_diagonal_iiT6_lPT7_lllS7_lllPT8_llli.num_vgpr, 102
	.set _ZL30rocblas_trmm_outofplace_kernelI19rocblas_complex_numIdELi32ELi2ELb0ELb1ELb0ELb0EPKS1_S2_S1_Ev17rocblas_diagonal_iiT6_lPT7_lllS7_lllPT8_llli.num_agpr, 0
	.set _ZL30rocblas_trmm_outofplace_kernelI19rocblas_complex_numIdELi32ELi2ELb0ELb1ELb0ELb0EPKS1_S2_S1_Ev17rocblas_diagonal_iiT6_lPT7_lllS7_lllPT8_llli.numbered_sgpr, 58
	.set _ZL30rocblas_trmm_outofplace_kernelI19rocblas_complex_numIdELi32ELi2ELb0ELb1ELb0ELb0EPKS1_S2_S1_Ev17rocblas_diagonal_iiT6_lPT7_lllS7_lllPT8_llli.num_named_barrier, 0
	.set _ZL30rocblas_trmm_outofplace_kernelI19rocblas_complex_numIdELi32ELi2ELb0ELb1ELb0ELb0EPKS1_S2_S1_Ev17rocblas_diagonal_iiT6_lPT7_lllS7_lllPT8_llli.private_seg_size, 0
	.set _ZL30rocblas_trmm_outofplace_kernelI19rocblas_complex_numIdELi32ELi2ELb0ELb1ELb0ELb0EPKS1_S2_S1_Ev17rocblas_diagonal_iiT6_lPT7_lllS7_lllPT8_llli.uses_vcc, 1
	.set _ZL30rocblas_trmm_outofplace_kernelI19rocblas_complex_numIdELi32ELi2ELb0ELb1ELb0ELb0EPKS1_S2_S1_Ev17rocblas_diagonal_iiT6_lPT7_lllS7_lllPT8_llli.uses_flat_scratch, 0
	.set _ZL30rocblas_trmm_outofplace_kernelI19rocblas_complex_numIdELi32ELi2ELb0ELb1ELb0ELb0EPKS1_S2_S1_Ev17rocblas_diagonal_iiT6_lPT7_lllS7_lllPT8_llli.has_dyn_sized_stack, 0
	.set _ZL30rocblas_trmm_outofplace_kernelI19rocblas_complex_numIdELi32ELi2ELb0ELb1ELb0ELb0EPKS1_S2_S1_Ev17rocblas_diagonal_iiT6_lPT7_lllS7_lllPT8_llli.has_recursion, 0
	.set _ZL30rocblas_trmm_outofplace_kernelI19rocblas_complex_numIdELi32ELi2ELb0ELb1ELb0ELb0EPKS1_S2_S1_Ev17rocblas_diagonal_iiT6_lPT7_lllS7_lllPT8_llli.has_indirect_call, 0
	.section	.AMDGPU.csdata,"",@progbits
; Kernel info:
; codeLenInByte = 9112
; TotalNumSgprs: 64
; NumVgprs: 102
; NumAgprs: 0
; TotalNumVgprs: 102
; ScratchSize: 0
; MemoryBound: 0
; FloatMode: 240
; IeeeMode: 1
; LDSByteSize: 32768 bytes/workgroup (compile time only)
; SGPRBlocks: 7
; VGPRBlocks: 12
; NumSGPRsForWavesPerEU: 64
; NumVGPRsForWavesPerEU: 102
; AccumOffset: 104
; Occupancy: 4
; WaveLimiterHint : 0
; COMPUTE_PGM_RSRC2:SCRATCH_EN: 0
; COMPUTE_PGM_RSRC2:USER_SGPR: 2
; COMPUTE_PGM_RSRC2:TRAP_HANDLER: 0
; COMPUTE_PGM_RSRC2:TGID_X_EN: 1
; COMPUTE_PGM_RSRC2:TGID_Y_EN: 1
; COMPUTE_PGM_RSRC2:TGID_Z_EN: 1
; COMPUTE_PGM_RSRC2:TIDIG_COMP_CNT: 1
; COMPUTE_PGM_RSRC3_GFX90A:ACCUM_OFFSET: 25
; COMPUTE_PGM_RSRC3_GFX90A:TG_SPLIT: 0
	.section	.text._ZL30rocblas_trmm_outofplace_kernelI19rocblas_complex_numIdELi32ELi2ELb0ELb1ELb0ELb0ES1_KS1_S1_Ev17rocblas_diagonal_iiT6_lPT7_lllS6_lllPT8_llli,"axG",@progbits,_ZL30rocblas_trmm_outofplace_kernelI19rocblas_complex_numIdELi32ELi2ELb0ELb1ELb0ELb0ES1_KS1_S1_Ev17rocblas_diagonal_iiT6_lPT7_lllS6_lllPT8_llli,comdat
	.globl	_ZL30rocblas_trmm_outofplace_kernelI19rocblas_complex_numIdELi32ELi2ELb0ELb1ELb0ELb0ES1_KS1_S1_Ev17rocblas_diagonal_iiT6_lPT7_lllS6_lllPT8_llli ; -- Begin function _ZL30rocblas_trmm_outofplace_kernelI19rocblas_complex_numIdELi32ELi2ELb0ELb1ELb0ELb0ES1_KS1_S1_Ev17rocblas_diagonal_iiT6_lPT7_lllS6_lllPT8_llli
	.p2align	8
	.type	_ZL30rocblas_trmm_outofplace_kernelI19rocblas_complex_numIdELi32ELi2ELb0ELb1ELb0ELb0ES1_KS1_S1_Ev17rocblas_diagonal_iiT6_lPT7_lllS6_lllPT8_llli,@function
_ZL30rocblas_trmm_outofplace_kernelI19rocblas_complex_numIdELi32ELi2ELb0ELb1ELb0ELb0ES1_KS1_S1_Ev17rocblas_diagonal_iiT6_lPT7_lllS6_lllPT8_llli: ; @_ZL30rocblas_trmm_outofplace_kernelI19rocblas_complex_numIdELi32ELi2ELb0ELb1ELb0ELb0ES1_KS1_S1_Ev17rocblas_diagonal_iiT6_lPT7_lllS6_lllPT8_llli
; %bb.0:
	s_load_dwordx4 s[24:27], s[0:1], 0x10
	s_waitcnt lgkmcnt(0)
	v_cmp_eq_f64_e64 s[6:7], s[24:25], 0
	v_cmp_eq_f64_e64 s[8:9], s[26:27], 0
	s_and_b64 s[6:7], s[6:7], s[8:9]
	s_and_b64 vcc, exec, s[6:7]
	s_cbranch_vccnz .LBB123_63
; %bb.1:
	s_load_dwordx4 s[28:31], s[0:1], 0x0
	s_waitcnt lgkmcnt(0)
	s_add_i32 s5, s30, -1
	s_ashr_i32 s6, s5, 31
	s_lshr_b32 s6, s6, 27
	s_add_i32 s5, s5, s6
	s_ashr_i32 s33, s5, 5
	s_cmp_gt_i32 s3, s33
	s_cbranch_scc1 .LBB123_63
; %bb.2:
	s_load_dwordx16 s[36:51], s[0:1], 0x28
	s_load_dwordx8 s[16:23], s[0:1], 0x68
	v_and_b32_e32 v14, 0x3ff, v0
	v_lshl_add_u32 v16, s2, 5, v14
	v_bfe_u32 v12, v0, 10, 10
	s_waitcnt lgkmcnt(0)
	s_mul_i32 s5, s51, s4
	s_mul_hi_u32 s7, s50, s4
	s_mul_i32 s6, s50, s4
	s_add_i32 s7, s7, s5
	s_lshl_b64 s[6:7], s[6:7], 4
	s_add_u32 s5, s44, s6
	s_addc_u32 s8, s45, s7
	s_lshl_b64 s[6:7], s[46:47], 4
	s_add_u32 s6, s5, s6
	s_addc_u32 s7, s8, s7
	s_mul_i32 s5, s23, s4
	s_mul_hi_u32 s8, s22, s4
	s_add_i32 s9, s8, s5
	s_mul_i32 s8, s22, s4
	s_lshl_b64 s[8:9], s[8:9], 4
	s_add_u32 s5, s16, s8
	s_addc_u32 s10, s17, s9
	s_lshl_b64 s[8:9], s[18:19], 4
	s_add_u32 s22, s5, s8
	s_addc_u32 s23, s10, s9
	s_cmpk_eq_i32 s28, 0x84
	s_cselect_b64 s[34:35], -1, 0
	s_ashr_i32 s2, s29, 31
	v_ashrrev_i32_e32 v17, 31, v16
	v_mov_b32_e32 v1, s2
	v_sub_co_u32_e32 v0, vcc, s29, v16
	v_lshl_add_u64 v[18:19], v[16:17], 4, s[6:7]
	s_nop 0
	v_subb_co_u32_e32 v1, vcc, v1, v17, vcc
	v_sub_co_u32_e64 v24, s[6:7], 0, v14
	s_load_dword s2, s[0:1], 0x94
	v_cmp_gt_i64_e32 vcc, 1, v[0:1]
	v_cmp_gt_i64_e64 s[0:1], 17, v[0:1]
	v_subb_co_u32_e64 v25, s[6:7], 0, 0, s[6:7]
	v_mad_u64_u32 v[0:1], s[6:7], s48, v12, 0
	v_mov_b32_e32 v2, v1
	s_ashr_i32 s31, s30, 31
	s_lshl_b64 s[44:45], s[48:49], 9
	v_mad_u64_u32 v[2:3], s[6:7], s49, v12, v[2:3]
	s_add_u32 s46, s30, -16
	s_mul_i32 s5, s43, s4
	s_mul_hi_u32 s6, s42, s4
	s_addc_u32 s47, s31, -1
	s_add_i32 s5, s6, s5
	s_mul_i32 s4, s42, s4
	s_waitcnt lgkmcnt(0)
	s_lshl_b32 s54, s2, 5
	s_lshl_b64 s[4:5], s[4:5], 4
	s_lshl_b64 s[6:7], s[38:39], 4
	s_add_u32 s4, s4, s6
	s_addc_u32 s5, s5, s7
	v_mov_b32_e32 v1, v2
	v_mov_b64_e32 v[28:29], 0x100
	s_add_u32 s4, s36, s4
	v_lshl_add_u64 v[30:31], v[0:1], 4, v[28:29]
	s_addc_u32 s5, s37, s5
	v_mov_b32_e32 v0, 0x100
	v_add_u32_e32 v22, 16, v16
	s_add_u32 s28, s4, 0x100
	v_lshl_add_u32 v1, v12, 4, v0
	v_lshlrev_b32_e32 v20, 4, v14
	v_cmp_gt_i32_e64 s[16:17], s29, v16
	v_cmp_gt_i32_e64 s[18:19], s29, v22
	s_addc_u32 s29, s5, 0
	v_mad_u64_u32 v[32:33], s[4:5], s48, v1, 0
	v_lshlrev_b32_e32 v66, 9, v12
	v_or_b32_e32 v68, 0x4000, v20
	v_mov_b32_e32 v0, v33
	v_mov_b32_e32 v15, 0
	v_add_u32_e32 v67, v66, v20
	v_add_u32_e32 v69, v68, v66
	v_mad_u64_u32 v[0:1], s[4:5], s49, v1, v[0:1]
	v_mov_b32_e32 v13, v15
	v_add_u32_e32 v70, 0x100, v67
	v_add_u32_e32 v71, 0x2000, v67
	;; [unrolled: 1-line block ×6, first 2 shown]
	v_ashrrev_i32_e32 v23, 31, v22
	v_lshl_add_u32 v26, s3, 5, v12
	v_mov_b32_e32 v21, v15
	s_lshl_b64 s[36:37], s[40:41], 4
	v_mov_b32_e32 v33, v0
	s_mov_b64 s[38:39], 0x200
	v_mov_b32_e32 v76, v15
	v_mov_b32_e32 v77, v15
	;; [unrolled: 1-line block ×8, first 2 shown]
	s_branch .LBB123_4
.LBB123_3:                              ;   in Loop: Header=BB123_4 Depth=1
	s_or_b64 exec, exec, s[4:5]
	s_add_i32 s3, s2, s3
	s_cmp_le_i32 s3, s33
	v_add_u32_e32 v26, s54, v26
	s_cbranch_scc0 .LBB123_63
.LBB123_4:                              ; =>This Loop Header: Depth=1
                                        ;     Child Loop BB123_7 Depth 2
	s_lshl_b32 s55, s3, 5
	v_add_u32_e32 v34, s55, v12
	v_ashrrev_i32_e32 v35, 31, v34
	v_mov_b64_e32 v[62:63], 0
	s_cmp_lt_i32 s3, 0
	v_mov_b64_e32 v[64:65], 0
	v_mov_b64_e32 v[58:59], 0
	;; [unrolled: 1-line block ×7, first 2 shown]
	s_cbranch_scc1 .LBB123_55
; %bb.5:                                ;   in Loop: Header=BB123_4 Depth=1
	v_ashrrev_i32_e32 v27, 31, v26
	v_lshl_add_u64 v[4:5], v[26:27], 4, v[28:29]
	v_mov_b64_e32 v[6:7], s[28:29]
	v_mul_lo_u32 v5, s40, v5
	v_mul_lo_u32 v8, s41, v4
	v_mad_u64_u32 v[38:39], s[4:5], s40, v4, v[6:7]
	v_lshl_add_u64 v[36:37], v[24:25], 0, v[26:27]
	v_add3_u32 v39, v8, v39, v5
	v_mad_u64_u32 v[40:41], s[4:5], s36, v26, v[6:7]
	v_mul_lo_u32 v4, s37, v26
	v_mul_lo_u32 v5, s36, v27
	v_lshl_add_u64 v[42:43], v[34:35], 0, 16
	v_add3_u32 v41, v4, v41, v5
	v_cmp_le_i32_e64 s[6:7], s30, v34
	v_cmp_le_i64_e64 s[8:9], s[30:31], v[42:43]
	v_lshl_add_u64 v[44:45], v[36:37], 0, 16
	v_lshl_add_u64 v[46:47], v[36:37], 0, -16
	v_mov_b64_e32 v[50:51], 0
	s_mov_b64 s[42:43], 0
	v_mov_b64_e32 v[48:49], v[18:19]
	v_mov_b64_e32 v[52:53], 0
	v_mov_b64_e32 v[56:57], 0
	v_mov_b64_e32 v[54:55], 0
	v_mov_b64_e32 v[60:61], 0
	v_mov_b64_e32 v[58:59], 0
	v_mov_b64_e32 v[64:65], 0
	v_mov_b64_e32 v[62:63], 0
	s_branch .LBB123_7
.LBB123_6:                              ;   in Loop: Header=BB123_7 Depth=2
	s_or_b64 exec, exec, s[4:5]
	s_waitcnt lgkmcnt(0)
	s_barrier
	ds_read_b128 v[80:83], v68
	ds_read_b128 v[84:87], v66
	ds_read_b128 v[88:91], v66 offset:16
	ds_read_b128 v[8:11], v66 offset:32
	;; [unrolled: 1-line block ×4, first 2 shown]
	s_waitcnt lgkmcnt(4)
	v_mul_f64 v[96:97], v[86:87], v[82:83]
	v_fma_f64 v[96:97], v[84:85], v[80:81], -v[96:97]
	v_mul_f64 v[98:99], v[84:85], v[82:83]
	v_fmac_f64_e32 v[98:99], v[86:87], v[80:81]
	v_add_f64 v[96:97], v[62:63], v[96:97]
	s_waitcnt lgkmcnt(0)
	v_mul_f64 v[62:63], v[86:87], v[94:95]
	v_add_f64 v[98:99], v[98:99], v[64:65]
	v_fma_f64 v[100:101], v[84:85], v[92:93], -v[62:63]
	ds_read_b128 v[62:65], v66 offset:8192
	v_mul_f64 v[84:85], v[84:85], v[94:95]
	v_fmac_f64_e32 v[84:85], v[86:87], v[92:93]
	v_add_f64 v[86:87], v[58:59], v[100:101]
	v_add_f64 v[84:85], v[84:85], v[60:61]
	ds_read_b128 v[58:61], v66 offset:8208
	s_waitcnt lgkmcnt(1)
	v_mul_f64 v[100:101], v[64:65], v[82:83]
	v_fma_f64 v[100:101], v[62:63], v[80:81], -v[100:101]
	v_mul_f64 v[82:83], v[62:63], v[82:83]
	v_fmac_f64_e32 v[82:83], v[64:65], v[80:81]
	v_add_f64 v[80:81], v[54:55], v[100:101]
	v_mul_f64 v[54:55], v[64:65], v[94:95]
	v_add_f64 v[82:83], v[82:83], v[56:57]
	v_fma_f64 v[100:101], v[62:63], v[92:93], -v[54:55]
	v_mul_f64 v[62:63], v[62:63], v[94:95]
	ds_read_b128 v[54:57], v68 offset:512
	v_fmac_f64_e32 v[62:63], v[64:65], v[92:93]
	v_add_f64 v[64:65], v[52:53], v[100:101]
	v_add_f64 v[62:63], v[62:63], v[50:51]
	ds_read_b128 v[50:53], v68 offset:768
	s_waitcnt lgkmcnt(1)
	v_mul_f64 v[92:93], v[90:91], v[56:57]
	v_fma_f64 v[92:93], v[88:89], v[54:55], -v[92:93]
	v_add_f64 v[92:93], v[96:97], v[92:93]
	v_mul_f64 v[94:95], v[88:89], v[56:57]
	s_waitcnt lgkmcnt(0)
	v_mul_f64 v[96:97], v[90:91], v[52:53]
	v_fma_f64 v[96:97], v[88:89], v[50:51], -v[96:97]
	v_mul_f64 v[88:89], v[88:89], v[52:53]
	v_fmac_f64_e32 v[88:89], v[90:91], v[50:51]
	v_add_f64 v[84:85], v[88:89], v[84:85]
	v_mul_f64 v[88:89], v[60:61], v[56:57]
	v_mul_f64 v[56:57], v[58:59], v[56:57]
	v_fmac_f64_e32 v[94:95], v[90:91], v[54:55]
	v_fma_f64 v[88:89], v[58:59], v[54:55], -v[88:89]
	v_fmac_f64_e32 v[56:57], v[60:61], v[54:55]
	v_mul_f64 v[54:55], v[60:61], v[52:53]
	v_add_f64 v[82:83], v[56:57], v[82:83]
	v_fma_f64 v[56:57], v[58:59], v[50:51], -v[54:55]
	v_mul_f64 v[58:59], v[58:59], v[52:53]
	ds_read_b128 v[52:55], v68 offset:1024
	v_fmac_f64_e32 v[58:59], v[60:61], v[50:51]
	v_add_f64 v[80:81], v[80:81], v[88:89]
	v_add_f64 v[64:65], v[64:65], v[56:57]
	;; [unrolled: 1-line block ×3, first 2 shown]
	ds_read_b128 v[56:59], v68 offset:1280
	s_waitcnt lgkmcnt(1)
	v_mul_f64 v[50:51], v[10:11], v[54:55]
	v_mul_f64 v[60:61], v[8:9], v[54:55]
	v_add_f64 v[94:95], v[94:95], v[98:99]
	v_fma_f64 v[50:51], v[8:9], v[52:53], -v[50:51]
	v_fmac_f64_e32 v[60:61], v[10:11], v[52:53]
	v_add_f64 v[90:91], v[92:93], v[50:51]
	v_add_f64 v[92:93], v[60:61], v[94:95]
	ds_read_b128 v[60:63], v66 offset:8224
	s_waitcnt lgkmcnt(1)
	v_mul_f64 v[50:51], v[10:11], v[58:59]
	v_fma_f64 v[50:51], v[8:9], v[56:57], -v[50:51]
	v_mul_f64 v[8:9], v[8:9], v[58:59]
	v_add_f64 v[86:87], v[86:87], v[96:97]
	v_fmac_f64_e32 v[8:9], v[10:11], v[56:57]
	v_add_f64 v[86:87], v[86:87], v[50:51]
	v_add_f64 v[84:85], v[8:9], v[84:85]
	ds_read_b128 v[8:11], v66 offset:8240
	s_waitcnt lgkmcnt(1)
	v_mul_f64 v[50:51], v[62:63], v[54:55]
	v_fma_f64 v[50:51], v[60:61], v[52:53], -v[50:51]
	v_mul_f64 v[54:55], v[60:61], v[54:55]
	v_fmac_f64_e32 v[54:55], v[62:63], v[52:53]
	v_add_f64 v[80:81], v[80:81], v[50:51]
	v_mul_f64 v[50:51], v[62:63], v[58:59]
	v_add_f64 v[82:83], v[54:55], v[82:83]
	v_fma_f64 v[54:55], v[60:61], v[56:57], -v[50:51]
	v_mul_f64 v[58:59], v[60:61], v[58:59]
	ds_read_b128 v[50:53], v68 offset:1536
	v_fmac_f64_e32 v[58:59], v[62:63], v[56:57]
	v_add_f64 v[60:61], v[64:65], v[54:55]
	ds_read_b128 v[54:57], v68 offset:1792
	v_add_f64 v[58:59], v[58:59], v[88:89]
	s_waitcnt lgkmcnt(1)
	v_mul_f64 v[62:63], v[6:7], v[52:53]
	v_fma_f64 v[62:63], v[4:5], v[50:51], -v[62:63]
	v_mul_f64 v[64:65], v[4:5], v[52:53]
	s_waitcnt lgkmcnt(0)
	v_mul_f64 v[88:89], v[6:7], v[56:57]
	v_fma_f64 v[88:89], v[4:5], v[54:55], -v[88:89]
	v_mul_f64 v[4:5], v[4:5], v[56:57]
	v_fmac_f64_e32 v[4:5], v[6:7], v[54:55]
	v_add_f64 v[84:85], v[4:5], v[84:85]
	v_mul_f64 v[4:5], v[10:11], v[52:53]
	v_fmac_f64_e32 v[64:65], v[6:7], v[50:51]
	v_fma_f64 v[4:5], v[8:9], v[50:51], -v[4:5]
	v_mul_f64 v[6:7], v[8:9], v[52:53]
	v_fmac_f64_e32 v[6:7], v[10:11], v[50:51]
	v_add_f64 v[80:81], v[80:81], v[4:5]
	v_mul_f64 v[4:5], v[10:11], v[56:57]
	v_mul_f64 v[52:53], v[8:9], v[56:57]
	v_add_f64 v[82:83], v[6:7], v[82:83]
	v_fma_f64 v[50:51], v[8:9], v[54:55], -v[4:5]
	v_fmac_f64_e32 v[52:53], v[10:11], v[54:55]
	ds_read_b128 v[4:7], v66 offset:64
	ds_read_b128 v[8:11], v68 offset:2048
	v_add_f64 v[62:63], v[90:91], v[62:63]
	v_add_f64 v[86:87], v[86:87], v[88:89]
	;; [unrolled: 1-line block ×4, first 2 shown]
	ds_read_b128 v[50:53], v68 offset:2304
	ds_read_b128 v[54:57], v66 offset:80
	s_waitcnt lgkmcnt(2)
	v_mul_f64 v[58:59], v[6:7], v[10:11]
	v_fma_f64 v[58:59], v[4:5], v[8:9], -v[58:59]
	v_mul_f64 v[60:61], v[4:5], v[10:11]
	v_add_f64 v[64:65], v[64:65], v[92:93]
	v_fmac_f64_e32 v[60:61], v[6:7], v[8:9]
	v_add_f64 v[62:63], v[62:63], v[58:59]
	s_waitcnt lgkmcnt(1)
	v_mul_f64 v[58:59], v[6:7], v[52:53]
	v_add_f64 v[64:65], v[60:61], v[64:65]
	v_fma_f64 v[92:93], v[4:5], v[50:51], -v[58:59]
	ds_read_b128 v[58:61], v66 offset:8256
	v_mul_f64 v[4:5], v[4:5], v[52:53]
	v_fmac_f64_e32 v[4:5], v[6:7], v[50:51]
	v_add_f64 v[86:87], v[86:87], v[92:93]
	v_add_f64 v[84:85], v[4:5], v[84:85]
	ds_read_b128 v[4:7], v66 offset:8272
	s_waitcnt lgkmcnt(1)
	v_mul_f64 v[92:93], v[60:61], v[10:11]
	v_mul_f64 v[10:11], v[58:59], v[10:11]
	v_fma_f64 v[92:93], v[58:59], v[8:9], -v[92:93]
	v_fmac_f64_e32 v[10:11], v[60:61], v[8:9]
	v_mul_f64 v[8:9], v[60:61], v[52:53]
	v_add_f64 v[80:81], v[80:81], v[92:93]
	v_add_f64 v[82:83], v[10:11], v[82:83]
	v_fma_f64 v[92:93], v[58:59], v[50:51], -v[8:9]
	v_mul_f64 v[52:53], v[58:59], v[52:53]
	ds_read_b128 v[8:11], v68 offset:2560
	v_fmac_f64_e32 v[52:53], v[60:61], v[50:51]
	v_add_f64 v[60:61], v[52:53], v[90:91]
	ds_read_b128 v[50:53], v68 offset:2816
	v_add_f64 v[58:59], v[88:89], v[92:93]
	s_waitcnt lgkmcnt(1)
	v_mul_f64 v[88:89], v[56:57], v[10:11]
	v_fma_f64 v[88:89], v[54:55], v[8:9], -v[88:89]
	v_add_f64 v[62:63], v[62:63], v[88:89]
	s_waitcnt lgkmcnt(0)
	v_mul_f64 v[88:89], v[56:57], v[52:53]
	v_mul_f64 v[90:91], v[54:55], v[10:11]
	v_fma_f64 v[88:89], v[54:55], v[50:51], -v[88:89]
	v_mul_f64 v[54:55], v[54:55], v[52:53]
	v_fmac_f64_e32 v[54:55], v[56:57], v[50:51]
	v_add_f64 v[84:85], v[54:55], v[84:85]
	v_mul_f64 v[54:55], v[6:7], v[10:11]
	v_mul_f64 v[10:11], v[4:5], v[10:11]
	v_fmac_f64_e32 v[90:91], v[56:57], v[8:9]
	v_fma_f64 v[54:55], v[4:5], v[8:9], -v[54:55]
	v_fmac_f64_e32 v[10:11], v[6:7], v[8:9]
	v_mul_f64 v[8:9], v[6:7], v[52:53]
	v_mul_f64 v[52:53], v[4:5], v[52:53]
	v_add_f64 v[80:81], v[80:81], v[54:55]
	v_add_f64 v[82:83], v[10:11], v[82:83]
	v_fma_f64 v[54:55], v[4:5], v[50:51], -v[8:9]
	v_fmac_f64_e32 v[52:53], v[6:7], v[50:51]
	ds_read_b128 v[4:7], v66 offset:96
	ds_read_b128 v[8:11], v68 offset:3072
	v_add_f64 v[64:65], v[90:91], v[64:65]
	v_add_f64 v[86:87], v[86:87], v[88:89]
	v_add_f64 v[88:89], v[58:59], v[54:55]
	v_add_f64 v[90:91], v[52:53], v[60:61]
	ds_read_b128 v[50:53], v68 offset:3328
	ds_read_b128 v[54:57], v66 offset:112
	s_waitcnt lgkmcnt(2)
	v_mul_f64 v[58:59], v[6:7], v[10:11]
	v_fma_f64 v[58:59], v[4:5], v[8:9], -v[58:59]
	v_mul_f64 v[60:61], v[4:5], v[10:11]
	v_fmac_f64_e32 v[60:61], v[6:7], v[8:9]
	v_add_f64 v[62:63], v[62:63], v[58:59]
	s_waitcnt lgkmcnt(1)
	v_mul_f64 v[58:59], v[6:7], v[52:53]
	v_add_f64 v[64:65], v[60:61], v[64:65]
	v_fma_f64 v[92:93], v[4:5], v[50:51], -v[58:59]
	ds_read_b128 v[58:61], v66 offset:8288
	v_mul_f64 v[4:5], v[4:5], v[52:53]
	v_fmac_f64_e32 v[4:5], v[6:7], v[50:51]
	v_add_f64 v[86:87], v[86:87], v[92:93]
	v_add_f64 v[84:85], v[4:5], v[84:85]
	ds_read_b128 v[4:7], v66 offset:8304
	s_waitcnt lgkmcnt(1)
	v_mul_f64 v[92:93], v[60:61], v[10:11]
	v_mul_f64 v[10:11], v[58:59], v[10:11]
	v_fma_f64 v[92:93], v[58:59], v[8:9], -v[92:93]
	v_fmac_f64_e32 v[10:11], v[60:61], v[8:9]
	v_mul_f64 v[8:9], v[60:61], v[52:53]
	v_add_f64 v[80:81], v[80:81], v[92:93]
	v_add_f64 v[82:83], v[10:11], v[82:83]
	v_fma_f64 v[92:93], v[58:59], v[50:51], -v[8:9]
	v_mul_f64 v[52:53], v[58:59], v[52:53]
	ds_read_b128 v[8:11], v68 offset:3584
	v_fmac_f64_e32 v[52:53], v[60:61], v[50:51]
	v_add_f64 v[60:61], v[52:53], v[90:91]
	ds_read_b128 v[50:53], v68 offset:3840
	v_add_f64 v[58:59], v[88:89], v[92:93]
	s_waitcnt lgkmcnt(1)
	v_mul_f64 v[88:89], v[56:57], v[10:11]
	v_fma_f64 v[88:89], v[54:55], v[8:9], -v[88:89]
	v_add_f64 v[62:63], v[62:63], v[88:89]
	s_waitcnt lgkmcnt(0)
	v_mul_f64 v[88:89], v[56:57], v[52:53]
	v_mul_f64 v[90:91], v[54:55], v[10:11]
	v_fma_f64 v[88:89], v[54:55], v[50:51], -v[88:89]
	v_mul_f64 v[54:55], v[54:55], v[52:53]
	v_fmac_f64_e32 v[54:55], v[56:57], v[50:51]
	v_add_f64 v[84:85], v[54:55], v[84:85]
	v_mul_f64 v[54:55], v[6:7], v[10:11]
	v_mul_f64 v[10:11], v[4:5], v[10:11]
	v_fmac_f64_e32 v[90:91], v[56:57], v[8:9]
	v_fma_f64 v[54:55], v[4:5], v[8:9], -v[54:55]
	v_fmac_f64_e32 v[10:11], v[6:7], v[8:9]
	v_mul_f64 v[8:9], v[6:7], v[52:53]
	v_mul_f64 v[52:53], v[4:5], v[52:53]
	v_add_f64 v[80:81], v[80:81], v[54:55]
	v_add_f64 v[82:83], v[10:11], v[82:83]
	v_fma_f64 v[54:55], v[4:5], v[50:51], -v[8:9]
	v_fmac_f64_e32 v[52:53], v[6:7], v[50:51]
	ds_read_b128 v[4:7], v66 offset:128
	ds_read_b128 v[8:11], v68 offset:4096
	v_add_f64 v[64:65], v[90:91], v[64:65]
	v_add_f64 v[86:87], v[86:87], v[88:89]
	v_add_f64 v[88:89], v[58:59], v[54:55]
	v_add_f64 v[90:91], v[52:53], v[60:61]
	ds_read_b128 v[50:53], v68 offset:4352
	ds_read_b128 v[54:57], v66 offset:144
	s_waitcnt lgkmcnt(2)
	v_mul_f64 v[58:59], v[6:7], v[10:11]
	v_fma_f64 v[58:59], v[4:5], v[8:9], -v[58:59]
	v_mul_f64 v[60:61], v[4:5], v[10:11]
	;; [unrolled: 61-line block ×13, first 2 shown]
	v_fmac_f64_e32 v[60:61], v[6:7], v[8:9]
	v_add_f64 v[62:63], v[62:63], v[58:59]
	s_waitcnt lgkmcnt(1)
	v_mul_f64 v[58:59], v[6:7], v[52:53]
	v_add_f64 v[64:65], v[60:61], v[64:65]
	v_fma_f64 v[92:93], v[4:5], v[50:51], -v[58:59]
	ds_read_b128 v[58:61], v66 offset:8672
	v_mul_f64 v[4:5], v[4:5], v[52:53]
	v_fmac_f64_e32 v[4:5], v[6:7], v[50:51]
	v_add_f64 v[86:87], v[86:87], v[92:93]
	v_add_f64 v[84:85], v[4:5], v[84:85]
	ds_read_b128 v[4:7], v66 offset:8688
	s_waitcnt lgkmcnt(1)
	v_mul_f64 v[92:93], v[60:61], v[10:11]
	v_mul_f64 v[10:11], v[58:59], v[10:11]
	v_fma_f64 v[92:93], v[58:59], v[8:9], -v[92:93]
	v_fmac_f64_e32 v[10:11], v[60:61], v[8:9]
	v_mul_f64 v[8:9], v[60:61], v[52:53]
	v_add_f64 v[80:81], v[80:81], v[92:93]
	v_add_f64 v[82:83], v[10:11], v[82:83]
	v_fma_f64 v[92:93], v[58:59], v[50:51], -v[8:9]
	v_mul_f64 v[52:53], v[58:59], v[52:53]
	ds_read_b128 v[8:11], v68 offset:15872
	v_fmac_f64_e32 v[52:53], v[60:61], v[50:51]
	v_add_f64 v[90:91], v[52:53], v[90:91]
	ds_read_b128 v[50:53], v68 offset:16128
	s_add_u32 s42, s42, 32
	s_waitcnt lgkmcnt(1)
	v_mul_f64 v[58:59], v[56:57], v[10:11]
	v_fma_f64 v[58:59], v[54:55], v[8:9], -v[58:59]
	v_add_f64 v[62:63], v[62:63], v[58:59]
	s_waitcnt lgkmcnt(0)
	v_mul_f64 v[58:59], v[56:57], v[52:53]
	v_mul_f64 v[60:61], v[54:55], v[10:11]
	v_fma_f64 v[58:59], v[54:55], v[50:51], -v[58:59]
	v_mul_f64 v[54:55], v[54:55], v[52:53]
	v_fmac_f64_e32 v[60:61], v[56:57], v[8:9]
	v_fmac_f64_e32 v[54:55], v[56:57], v[50:51]
	v_add_f64 v[64:65], v[60:61], v[64:65]
	v_add_f64 v[60:61], v[54:55], v[84:85]
	v_mul_f64 v[54:55], v[6:7], v[10:11]
	v_mul_f64 v[10:11], v[4:5], v[10:11]
	v_fma_f64 v[54:55], v[4:5], v[8:9], -v[54:55]
	v_fmac_f64_e32 v[10:11], v[6:7], v[8:9]
	v_mul_f64 v[8:9], v[6:7], v[52:53]
	v_fma_f64 v[8:9], v[4:5], v[50:51], -v[8:9]
	v_mul_f64 v[4:5], v[4:5], v[52:53]
	v_add_f64 v[88:89], v[88:89], v[92:93]
	v_fmac_f64_e32 v[4:5], v[6:7], v[50:51]
	s_addc_u32 s43, s43, 0
	s_sub_i32 s4, s42, 32
	v_add_f64 v[58:59], v[86:87], v[58:59]
	v_add_f64 v[54:55], v[80:81], v[54:55]
	;; [unrolled: 1-line block ×5, first 2 shown]
	v_lshl_add_u64 v[48:49], v[48:49], 0, s[44:45]
	v_lshl_add_u64 v[38:39], v[38:39], 0, s[38:39]
	s_cmp_ge_i32 s4, s55
	v_lshl_add_u64 v[40:41], v[40:41], 0, s[38:39]
	s_barrier
	s_cbranch_scc1 .LBB123_55
.LBB123_7:                              ;   Parent Loop BB123_4 Depth=1
                                        ; =>  This Inner Loop Header: Depth=2
	v_lshl_add_u64 v[4:5], v[14:15], 0, s[42:43]
	v_cmp_eq_u64_e64 s[4:5], s[42:43], v[36:37]
	v_cmp_gt_i64_e64 s[10:11], v[4:5], v[34:35]
	s_and_b64 s[50:51], s[34:35], s[4:5]
	s_or_b64 s[4:5], s[6:7], s[10:11]
	v_cmp_le_i64_e64 s[12:13], s[30:31], v[4:5]
	s_or_b64 s[4:5], s[4:5], s[50:51]
	v_lshl_add_u64 v[6:7], v[40:41], 0, v[20:21]
	s_nor_b64 s[4:5], s[12:13], s[4:5]
	s_and_saveexec_b64 s[14:15], s[4:5]
	s_xor_b64 s[4:5], exec, s[14:15]
	s_cbranch_execz .LBB123_9
; %bb.8:                                ;   in Loop: Header=BB123_7 Depth=2
	global_load_dwordx4 v[8:11], v[6:7], off offset:-256
	s_waitcnt vmcnt(0)
	ds_write2_b64 v67, v[8:9], v[10:11] offset1:1
.LBB123_9:                              ;   in Loop: Header=BB123_7 Depth=2
	s_or_saveexec_b64 s[4:5], s[4:5]
	s_xor_b64 s[48:49], s[50:51], -1
	s_xor_b64 exec, exec, s[4:5]
	s_cbranch_execz .LBB123_15
; %bb.10:                               ;   in Loop: Header=BB123_7 Depth=2
	s_and_saveexec_b64 s[14:15], s[48:49]
	s_xor_b64 s[14:15], exec, s[14:15]
; %bb.11:                               ;   in Loop: Header=BB123_7 Depth=2
	ds_write_b128 v67, v[76:79]
; %bb.12:                               ;   in Loop: Header=BB123_7 Depth=2
	s_andn2_saveexec_b64 s[14:15], s[14:15]
; %bb.13:                               ;   in Loop: Header=BB123_7 Depth=2
	ds_write_b128 v67, v[0:3]
; %bb.14:                               ;   in Loop: Header=BB123_7 Depth=2
	s_or_b64 exec, exec, s[14:15]
.LBB123_15:                             ;   in Loop: Header=BB123_7 Depth=2
	s_or_b64 exec, exec, s[4:5]
	v_lshl_add_u64 v[8:9], v[4:5], 0, 16
	v_cmp_eq_u64_e64 s[4:5], s[42:43], v[46:47]
	s_and_b64 s[52:53], s[34:35], s[4:5]
	v_cmp_gt_i64_e64 s[4:5], v[8:9], v[34:35]
	s_or_b64 s[4:5], s[6:7], s[4:5]
	v_cmp_le_i64_e64 s[14:15], s[30:31], v[8:9]
	s_or_b64 s[4:5], s[4:5], s[52:53]
	s_nor_b64 s[4:5], s[14:15], s[4:5]
	s_and_saveexec_b64 s[56:57], s[4:5]
	s_xor_b64 s[4:5], exec, s[56:57]
	s_cbranch_execz .LBB123_17
; %bb.16:                               ;   in Loop: Header=BB123_7 Depth=2
	global_load_dwordx4 v[6:9], v[6:7], off
	s_waitcnt vmcnt(0)
	ds_write2_b64 v70, v[6:7], v[8:9] offset1:1
.LBB123_17:                             ;   in Loop: Header=BB123_7 Depth=2
	s_andn2_saveexec_b64 s[4:5], s[4:5]
	s_cbranch_execz .LBB123_23
; %bb.18:                               ;   in Loop: Header=BB123_7 Depth=2
	s_xor_b64 s[52:53], s[52:53], -1
	s_and_saveexec_b64 s[56:57], s[52:53]
	s_xor_b64 s[52:53], exec, s[56:57]
; %bb.19:                               ;   in Loop: Header=BB123_7 Depth=2
	ds_write_b128 v67, v[76:79] offset:256
; %bb.20:                               ;   in Loop: Header=BB123_7 Depth=2
	s_andn2_saveexec_b64 s[52:53], s[52:53]
; %bb.21:                               ;   in Loop: Header=BB123_7 Depth=2
	ds_write_b128 v67, v[0:3] offset:256
; %bb.22:                               ;   in Loop: Header=BB123_7 Depth=2
	s_or_b64 exec, exec, s[52:53]
.LBB123_23:                             ;   in Loop: Header=BB123_7 Depth=2
	s_or_b64 exec, exec, s[4:5]
	v_cmp_eq_u64_e64 s[4:5], s[42:43], v[44:45]
	s_and_b64 s[52:53], s[34:35], s[4:5]
	v_cmp_gt_i64_e64 s[4:5], v[4:5], v[42:43]
	s_or_b64 s[4:5], s[8:9], s[4:5]
	s_or_b64 s[4:5], s[4:5], s[52:53]
	v_lshl_add_u64 v[6:7], v[38:39], 0, v[20:21]
	s_nor_b64 s[4:5], s[12:13], s[4:5]
	s_and_saveexec_b64 s[12:13], s[4:5]
	s_xor_b64 s[4:5], exec, s[12:13]
	s_cbranch_execz .LBB123_25
; %bb.24:                               ;   in Loop: Header=BB123_7 Depth=2
	global_load_dwordx4 v[8:11], v[6:7], off offset:-256
	s_waitcnt vmcnt(0)
	ds_write2_b64 v71, v[8:9], v[10:11] offset1:1
.LBB123_25:                             ;   in Loop: Header=BB123_7 Depth=2
	s_andn2_saveexec_b64 s[4:5], s[4:5]
	s_cbranch_execz .LBB123_31
; %bb.26:                               ;   in Loop: Header=BB123_7 Depth=2
	s_xor_b64 s[12:13], s[52:53], -1
	s_and_saveexec_b64 s[52:53], s[12:13]
	s_xor_b64 s[12:13], exec, s[52:53]
; %bb.27:                               ;   in Loop: Header=BB123_7 Depth=2
	ds_write_b128 v67, v[76:79] offset:8192
; %bb.28:                               ;   in Loop: Header=BB123_7 Depth=2
	s_andn2_saveexec_b64 s[12:13], s[12:13]
; %bb.29:                               ;   in Loop: Header=BB123_7 Depth=2
	ds_write_b128 v67, v[0:3] offset:8192
; %bb.30:                               ;   in Loop: Header=BB123_7 Depth=2
	s_or_b64 exec, exec, s[12:13]
.LBB123_31:                             ;   in Loop: Header=BB123_7 Depth=2
	s_or_b64 exec, exec, s[4:5]
	s_or_b64 s[4:5], s[8:9], s[10:11]
	s_or_b64 s[4:5], s[4:5], s[50:51]
	s_nor_b64 s[4:5], s[14:15], s[4:5]
	s_and_saveexec_b64 s[10:11], s[4:5]
	s_xor_b64 s[4:5], exec, s[10:11]
	s_cbranch_execz .LBB123_33
; %bb.32:                               ;   in Loop: Header=BB123_7 Depth=2
	global_load_dwordx4 v[4:7], v[6:7], off
	s_waitcnt vmcnt(0)
	ds_write2_b64 v72, v[4:5], v[6:7] offset1:1
.LBB123_33:                             ;   in Loop: Header=BB123_7 Depth=2
	s_andn2_saveexec_b64 s[4:5], s[4:5]
	s_cbranch_execz .LBB123_39
; %bb.34:                               ;   in Loop: Header=BB123_7 Depth=2
	s_and_saveexec_b64 s[10:11], s[48:49]
	s_xor_b64 s[10:11], exec, s[10:11]
; %bb.35:                               ;   in Loop: Header=BB123_7 Depth=2
	ds_write_b128 v67, v[76:79] offset:8448
; %bb.36:                               ;   in Loop: Header=BB123_7 Depth=2
	s_andn2_saveexec_b64 s[10:11], s[10:11]
; %bb.37:                               ;   in Loop: Header=BB123_7 Depth=2
	ds_write_b128 v67, v[0:3] offset:8448
; %bb.38:                               ;   in Loop: Header=BB123_7 Depth=2
	s_or_b64 exec, exec, s[10:11]
.LBB123_39:                             ;   in Loop: Header=BB123_7 Depth=2
	s_or_b64 exec, exec, s[4:5]
	v_lshl_add_u64 v[4:5], v[12:13], 0, s[42:43]
	v_cmp_le_i64_e64 s[10:11], s[30:31], v[4:5]
	v_lshl_add_u64 v[6:7], v[48:49], 0, v[30:31]
	s_nor_b64 s[4:5], s[10:11], vcc
	s_and_saveexec_b64 s[12:13], s[4:5]
	s_xor_b64 s[4:5], exec, s[12:13]
	s_cbranch_execz .LBB123_41
; %bb.40:                               ;   in Loop: Header=BB123_7 Depth=2
	global_load_dwordx4 v[8:11], v[6:7], off offset:-256
	s_waitcnt vmcnt(0)
	ds_write2_b64 v69, v[8:9], v[10:11] offset1:1
.LBB123_41:                             ;   in Loop: Header=BB123_7 Depth=2
	s_andn2_saveexec_b64 s[4:5], s[4:5]
; %bb.42:                               ;   in Loop: Header=BB123_7 Depth=2
	ds_write_b128 v69, v[76:79]
; %bb.43:                               ;   in Loop: Header=BB123_7 Depth=2
	s_or_b64 exec, exec, s[4:5]
	s_nor_b64 s[4:5], s[10:11], s[0:1]
	s_and_saveexec_b64 s[10:11], s[4:5]
	s_xor_b64 s[4:5], exec, s[10:11]
	s_cbranch_execz .LBB123_45
; %bb.44:                               ;   in Loop: Header=BB123_7 Depth=2
	global_load_dwordx4 v[6:9], v[6:7], off
	s_waitcnt vmcnt(0)
	ds_write2_b64 v73, v[6:7], v[8:9] offset1:1
.LBB123_45:                             ;   in Loop: Header=BB123_7 Depth=2
	s_andn2_saveexec_b64 s[4:5], s[4:5]
; %bb.46:                               ;   in Loop: Header=BB123_7 Depth=2
	ds_write_b128 v69, v[76:79] offset:256
; %bb.47:                               ;   in Loop: Header=BB123_7 Depth=2
	s_or_b64 exec, exec, s[4:5]
	v_cmp_le_i64_e64 s[10:11], s[46:47], v[4:5]
	v_lshl_add_u64 v[4:5], v[48:49], 0, v[32:33]
	s_nor_b64 s[4:5], s[10:11], vcc
	s_and_saveexec_b64 s[12:13], s[4:5]
	s_xor_b64 s[4:5], exec, s[12:13]
	s_cbranch_execz .LBB123_49
; %bb.48:                               ;   in Loop: Header=BB123_7 Depth=2
	global_load_dwordx4 v[6:9], v[4:5], off
	s_waitcnt vmcnt(0)
	ds_write2_b64 v74, v[6:7], v[8:9] offset1:1
.LBB123_49:                             ;   in Loop: Header=BB123_7 Depth=2
	s_andn2_saveexec_b64 s[4:5], s[4:5]
; %bb.50:                               ;   in Loop: Header=BB123_7 Depth=2
	ds_write_b128 v69, v[76:79] offset:8192
; %bb.51:                               ;   in Loop: Header=BB123_7 Depth=2
	s_or_b64 exec, exec, s[4:5]
	s_nor_b64 s[4:5], s[10:11], s[0:1]
	s_and_saveexec_b64 s[10:11], s[4:5]
	s_xor_b64 s[4:5], exec, s[10:11]
	s_cbranch_execz .LBB123_53
; %bb.52:                               ;   in Loop: Header=BB123_7 Depth=2
	global_load_dwordx4 v[4:7], v[4:5], off offset:256
	s_waitcnt vmcnt(0)
	ds_write2_b64 v75, v[4:5], v[6:7] offset1:1
.LBB123_53:                             ;   in Loop: Header=BB123_7 Depth=2
	s_andn2_saveexec_b64 s[4:5], s[4:5]
	s_cbranch_execz .LBB123_6
; %bb.54:                               ;   in Loop: Header=BB123_7 Depth=2
	ds_write_b128 v69, v[76:79] offset:8448
	s_branch .LBB123_6
.LBB123_55:                             ;   in Loop: Header=BB123_4 Depth=1
	v_mul_lo_u32 v6, s21, v34
	v_mul_lo_u32 v7, s20, v35
	v_mad_u64_u32 v[4:5], s[4:5], s20, v34, 0
	v_cmp_gt_i32_e64 s[6:7], s30, v34
	v_add3_u32 v5, v5, v7, v6
	v_lshl_add_u64 v[4:5], v[4:5], 4, s[22:23]
	s_and_b64 s[8:9], s[16:17], s[6:7]
	s_and_saveexec_b64 s[4:5], s[8:9]
	s_cbranch_execz .LBB123_57
; %bb.56:                               ;   in Loop: Header=BB123_4 Depth=1
	v_lshl_add_u64 v[10:11], v[16:17], 4, v[4:5]
	global_load_dwordx4 v[6:9], v[10:11], off
	v_mul_f64 v[36:37], s[26:27], v[64:65]
	v_mul_f64 v[38:39], s[24:25], v[64:65]
	v_fma_f64 v[36:37], s[24:25], v[62:63], -v[36:37]
	v_fmac_f64_e32 v[38:39], s[26:27], v[62:63]
	s_waitcnt vmcnt(0)
	v_add_f64 v[6:7], v[6:7], v[36:37]
	v_add_f64 v[8:9], v[38:39], v[8:9]
	global_store_dwordx4 v[10:11], v[6:9], off
.LBB123_57:                             ;   in Loop: Header=BB123_4 Depth=1
	s_or_b64 exec, exec, s[4:5]
	s_and_b64 s[6:7], s[18:19], s[6:7]
	s_and_saveexec_b64 s[4:5], s[6:7]
	s_cbranch_execz .LBB123_59
; %bb.58:                               ;   in Loop: Header=BB123_4 Depth=1
	v_lshl_add_u64 v[8:9], v[22:23], 4, v[4:5]
	global_load_dwordx4 v[4:7], v[8:9], off
	v_mul_f64 v[10:11], s[26:27], v[60:61]
	v_mul_f64 v[36:37], s[24:25], v[60:61]
	v_fma_f64 v[10:11], s[24:25], v[58:59], -v[10:11]
	v_fmac_f64_e32 v[36:37], s[26:27], v[58:59]
	s_waitcnt vmcnt(0)
	v_add_f64 v[4:5], v[4:5], v[10:11]
	v_add_f64 v[6:7], v[36:37], v[6:7]
	global_store_dwordx4 v[8:9], v[4:7], off
.LBB123_59:                             ;   in Loop: Header=BB123_4 Depth=1
	s_or_b64 exec, exec, s[4:5]
	s_nop 0
	v_add_u32_e32 v4, 16, v34
	v_ashrrev_i32_e32 v5, 31, v4
	v_cmp_gt_i32_e64 s[6:7], s30, v4
	v_mul_lo_u32 v6, s20, v5
	v_mul_lo_u32 v7, s21, v4
	v_mad_u64_u32 v[4:5], s[4:5], s20, v4, 0
	v_add3_u32 v5, v5, v6, v7
	v_lshl_add_u64 v[4:5], v[4:5], 4, s[22:23]
	s_and_b64 s[8:9], s[16:17], s[6:7]
	s_and_saveexec_b64 s[4:5], s[8:9]
	s_cbranch_execz .LBB123_61
; %bb.60:                               ;   in Loop: Header=BB123_4 Depth=1
	v_lshl_add_u64 v[10:11], v[16:17], 4, v[4:5]
	global_load_dwordx4 v[6:9], v[10:11], off
	v_mul_f64 v[34:35], s[26:27], v[56:57]
	v_mul_f64 v[36:37], s[24:25], v[56:57]
	v_fma_f64 v[34:35], s[24:25], v[54:55], -v[34:35]
	v_fmac_f64_e32 v[36:37], s[26:27], v[54:55]
	s_waitcnt vmcnt(0)
	v_add_f64 v[6:7], v[6:7], v[34:35]
	v_add_f64 v[8:9], v[36:37], v[8:9]
	global_store_dwordx4 v[10:11], v[6:9], off
.LBB123_61:                             ;   in Loop: Header=BB123_4 Depth=1
	s_or_b64 exec, exec, s[4:5]
	s_and_b64 s[6:7], s[18:19], s[6:7]
	s_and_saveexec_b64 s[4:5], s[6:7]
	s_cbranch_execz .LBB123_3
; %bb.62:                               ;   in Loop: Header=BB123_4 Depth=1
	v_lshl_add_u64 v[8:9], v[22:23], 4, v[4:5]
	global_load_dwordx4 v[4:7], v[8:9], off
	v_mul_f64 v[10:11], s[26:27], v[50:51]
	v_mul_f64 v[34:35], s[24:25], v[50:51]
	v_fma_f64 v[10:11], s[24:25], v[52:53], -v[10:11]
	v_fmac_f64_e32 v[34:35], s[26:27], v[52:53]
	s_waitcnt vmcnt(0)
	v_add_f64 v[4:5], v[4:5], v[10:11]
	v_add_f64 v[6:7], v[34:35], v[6:7]
	global_store_dwordx4 v[8:9], v[4:7], off
	s_branch .LBB123_3
.LBB123_63:
	s_endpgm
	.section	.rodata,"a",@progbits
	.p2align	6, 0x0
	.amdhsa_kernel _ZL30rocblas_trmm_outofplace_kernelI19rocblas_complex_numIdELi32ELi2ELb0ELb1ELb0ELb0ES1_KS1_S1_Ev17rocblas_diagonal_iiT6_lPT7_lllS6_lllPT8_llli
		.amdhsa_group_segment_fixed_size 32768
		.amdhsa_private_segment_fixed_size 0
		.amdhsa_kernarg_size 400
		.amdhsa_user_sgpr_count 2
		.amdhsa_user_sgpr_dispatch_ptr 0
		.amdhsa_user_sgpr_queue_ptr 0
		.amdhsa_user_sgpr_kernarg_segment_ptr 1
		.amdhsa_user_sgpr_dispatch_id 0
		.amdhsa_user_sgpr_kernarg_preload_length 0
		.amdhsa_user_sgpr_kernarg_preload_offset 0
		.amdhsa_user_sgpr_private_segment_size 0
		.amdhsa_uses_dynamic_stack 0
		.amdhsa_enable_private_segment 0
		.amdhsa_system_sgpr_workgroup_id_x 1
		.amdhsa_system_sgpr_workgroup_id_y 1
		.amdhsa_system_sgpr_workgroup_id_z 1
		.amdhsa_system_sgpr_workgroup_info 0
		.amdhsa_system_vgpr_workitem_id 1
		.amdhsa_next_free_vgpr 102
		.amdhsa_next_free_sgpr 58
		.amdhsa_accum_offset 104
		.amdhsa_reserve_vcc 1
		.amdhsa_float_round_mode_32 0
		.amdhsa_float_round_mode_16_64 0
		.amdhsa_float_denorm_mode_32 3
		.amdhsa_float_denorm_mode_16_64 3
		.amdhsa_dx10_clamp 1
		.amdhsa_ieee_mode 1
		.amdhsa_fp16_overflow 0
		.amdhsa_tg_split 0
		.amdhsa_exception_fp_ieee_invalid_op 0
		.amdhsa_exception_fp_denorm_src 0
		.amdhsa_exception_fp_ieee_div_zero 0
		.amdhsa_exception_fp_ieee_overflow 0
		.amdhsa_exception_fp_ieee_underflow 0
		.amdhsa_exception_fp_ieee_inexact 0
		.amdhsa_exception_int_div_zero 0
	.end_amdhsa_kernel
	.section	.text._ZL30rocblas_trmm_outofplace_kernelI19rocblas_complex_numIdELi32ELi2ELb0ELb1ELb0ELb0ES1_KS1_S1_Ev17rocblas_diagonal_iiT6_lPT7_lllS6_lllPT8_llli,"axG",@progbits,_ZL30rocblas_trmm_outofplace_kernelI19rocblas_complex_numIdELi32ELi2ELb0ELb1ELb0ELb0ES1_KS1_S1_Ev17rocblas_diagonal_iiT6_lPT7_lllS6_lllPT8_llli,comdat
.Lfunc_end123:
	.size	_ZL30rocblas_trmm_outofplace_kernelI19rocblas_complex_numIdELi32ELi2ELb0ELb1ELb0ELb0ES1_KS1_S1_Ev17rocblas_diagonal_iiT6_lPT7_lllS6_lllPT8_llli, .Lfunc_end123-_ZL30rocblas_trmm_outofplace_kernelI19rocblas_complex_numIdELi32ELi2ELb0ELb1ELb0ELb0ES1_KS1_S1_Ev17rocblas_diagonal_iiT6_lPT7_lllS6_lllPT8_llli
                                        ; -- End function
	.set _ZL30rocblas_trmm_outofplace_kernelI19rocblas_complex_numIdELi32ELi2ELb0ELb1ELb0ELb0ES1_KS1_S1_Ev17rocblas_diagonal_iiT6_lPT7_lllS6_lllPT8_llli.num_vgpr, 102
	.set _ZL30rocblas_trmm_outofplace_kernelI19rocblas_complex_numIdELi32ELi2ELb0ELb1ELb0ELb0ES1_KS1_S1_Ev17rocblas_diagonal_iiT6_lPT7_lllS6_lllPT8_llli.num_agpr, 0
	.set _ZL30rocblas_trmm_outofplace_kernelI19rocblas_complex_numIdELi32ELi2ELb0ELb1ELb0ELb0ES1_KS1_S1_Ev17rocblas_diagonal_iiT6_lPT7_lllS6_lllPT8_llli.numbered_sgpr, 58
	.set _ZL30rocblas_trmm_outofplace_kernelI19rocblas_complex_numIdELi32ELi2ELb0ELb1ELb0ELb0ES1_KS1_S1_Ev17rocblas_diagonal_iiT6_lPT7_lllS6_lllPT8_llli.num_named_barrier, 0
	.set _ZL30rocblas_trmm_outofplace_kernelI19rocblas_complex_numIdELi32ELi2ELb0ELb1ELb0ELb0ES1_KS1_S1_Ev17rocblas_diagonal_iiT6_lPT7_lllS6_lllPT8_llli.private_seg_size, 0
	.set _ZL30rocblas_trmm_outofplace_kernelI19rocblas_complex_numIdELi32ELi2ELb0ELb1ELb0ELb0ES1_KS1_S1_Ev17rocblas_diagonal_iiT6_lPT7_lllS6_lllPT8_llli.uses_vcc, 1
	.set _ZL30rocblas_trmm_outofplace_kernelI19rocblas_complex_numIdELi32ELi2ELb0ELb1ELb0ELb0ES1_KS1_S1_Ev17rocblas_diagonal_iiT6_lPT7_lllS6_lllPT8_llli.uses_flat_scratch, 0
	.set _ZL30rocblas_trmm_outofplace_kernelI19rocblas_complex_numIdELi32ELi2ELb0ELb1ELb0ELb0ES1_KS1_S1_Ev17rocblas_diagonal_iiT6_lPT7_lllS6_lllPT8_llli.has_dyn_sized_stack, 0
	.set _ZL30rocblas_trmm_outofplace_kernelI19rocblas_complex_numIdELi32ELi2ELb0ELb1ELb0ELb0ES1_KS1_S1_Ev17rocblas_diagonal_iiT6_lPT7_lllS6_lllPT8_llli.has_recursion, 0
	.set _ZL30rocblas_trmm_outofplace_kernelI19rocblas_complex_numIdELi32ELi2ELb0ELb1ELb0ELb0ES1_KS1_S1_Ev17rocblas_diagonal_iiT6_lPT7_lllS6_lllPT8_llli.has_indirect_call, 0
	.section	.AMDGPU.csdata,"",@progbits
; Kernel info:
; codeLenInByte = 9076
; TotalNumSgprs: 64
; NumVgprs: 102
; NumAgprs: 0
; TotalNumVgprs: 102
; ScratchSize: 0
; MemoryBound: 0
; FloatMode: 240
; IeeeMode: 1
; LDSByteSize: 32768 bytes/workgroup (compile time only)
; SGPRBlocks: 7
; VGPRBlocks: 12
; NumSGPRsForWavesPerEU: 64
; NumVGPRsForWavesPerEU: 102
; AccumOffset: 104
; Occupancy: 4
; WaveLimiterHint : 0
; COMPUTE_PGM_RSRC2:SCRATCH_EN: 0
; COMPUTE_PGM_RSRC2:USER_SGPR: 2
; COMPUTE_PGM_RSRC2:TRAP_HANDLER: 0
; COMPUTE_PGM_RSRC2:TGID_X_EN: 1
; COMPUTE_PGM_RSRC2:TGID_Y_EN: 1
; COMPUTE_PGM_RSRC2:TGID_Z_EN: 1
; COMPUTE_PGM_RSRC2:TIDIG_COMP_CNT: 1
; COMPUTE_PGM_RSRC3_GFX90A:ACCUM_OFFSET: 25
; COMPUTE_PGM_RSRC3_GFX90A:TG_SPLIT: 0
	.section	.text._ZL30rocblas_trmm_outofplace_kernelI19rocblas_complex_numIdELi32ELi2ELb0ELb0ELb1ELb0EPKS1_S2_S1_Ev17rocblas_diagonal_iiT6_lPT7_lllS7_lllPT8_llli,"axG",@progbits,_ZL30rocblas_trmm_outofplace_kernelI19rocblas_complex_numIdELi32ELi2ELb0ELb0ELb1ELb0EPKS1_S2_S1_Ev17rocblas_diagonal_iiT6_lPT7_lllS7_lllPT8_llli,comdat
	.globl	_ZL30rocblas_trmm_outofplace_kernelI19rocblas_complex_numIdELi32ELi2ELb0ELb0ELb1ELb0EPKS1_S2_S1_Ev17rocblas_diagonal_iiT6_lPT7_lllS7_lllPT8_llli ; -- Begin function _ZL30rocblas_trmm_outofplace_kernelI19rocblas_complex_numIdELi32ELi2ELb0ELb0ELb1ELb0EPKS1_S2_S1_Ev17rocblas_diagonal_iiT6_lPT7_lllS7_lllPT8_llli
	.p2align	8
	.type	_ZL30rocblas_trmm_outofplace_kernelI19rocblas_complex_numIdELi32ELi2ELb0ELb0ELb1ELb0EPKS1_S2_S1_Ev17rocblas_diagonal_iiT6_lPT7_lllS7_lllPT8_llli,@function
_ZL30rocblas_trmm_outofplace_kernelI19rocblas_complex_numIdELi32ELi2ELb0ELb0ELb1ELb0EPKS1_S2_S1_Ev17rocblas_diagonal_iiT6_lPT7_lllS7_lllPT8_llli: ; @_ZL30rocblas_trmm_outofplace_kernelI19rocblas_complex_numIdELi32ELi2ELb0ELb0ELb1ELb0EPKS1_S2_S1_Ev17rocblas_diagonal_iiT6_lPT7_lllS7_lllPT8_llli
; %bb.0:
	s_load_dwordx16 s[16:31], s[0:1], 0x10
	s_waitcnt lgkmcnt(0)
	s_mul_i32 s5, s19, s4
	s_mul_hi_u32 s6, s18, s4
	s_add_i32 s7, s6, s5
	s_mul_i32 s6, s18, s4
	s_lshl_b64 s[6:7], s[6:7], 4
	s_add_u32 s6, s16, s6
	s_addc_u32 s7, s17, s7
	s_load_dwordx4 s[36:39], s[6:7], 0x0
	s_waitcnt lgkmcnt(0)
	v_cmp_eq_f64_e64 s[6:7], s[36:37], 0
	v_cmp_eq_f64_e64 s[8:9], s[38:39], 0
	s_and_b64 s[6:7], s[6:7], s[8:9]
	s_and_b64 vcc, exec, s[6:7]
	s_cbranch_vccnz .LBB124_63
; %bb.1:
	s_load_dwordx4 s[40:43], s[0:1], 0x0
	s_waitcnt lgkmcnt(0)
	s_add_i32 s5, s42, -1
	s_ashr_i32 s6, s5, 31
	s_lshr_b32 s6, s6, 27
	s_add_i32 s5, s5, s6
	s_ashr_i32 s33, s5, 5
	s_cmp_gt_i32 s3, s33
	s_cbranch_scc1 .LBB124_63
; %bb.2:
	s_load_dwordx8 s[8:15], s[0:1], 0x50
	s_load_dwordx4 s[44:47], s[0:1], 0x70
	s_load_dword s50, s[0:1], 0x8c
	v_and_b32_e32 v14, 0x3ff, v0
	v_lshl_add_u32 v16, s2, 5, v14
	s_waitcnt lgkmcnt(0)
	s_mul_i32 s5, s11, s4
	s_mul_hi_u32 s7, s10, s4
	s_mul_i32 s6, s10, s4
	s_add_i32 s7, s7, s5
	s_lshl_b64 s[6:7], s[6:7], 4
	s_add_u32 s5, s28, s6
	s_addc_u32 s10, s29, s7
	s_lshl_b64 s[6:7], s[30:31], 4
	s_add_u32 s6, s5, s6
	s_mul_i32 s0, s47, s4
	s_mul_hi_u32 s1, s46, s4
	s_addc_u32 s7, s10, s7
	s_add_i32 s1, s1, s0
	s_mul_i32 s0, s46, s4
	s_lshl_b64 s[0:1], s[0:1], 4
	s_add_u32 s5, s12, s0
	s_addc_u32 s10, s13, s1
	s_lshl_b64 s[0:1], s[14:15], 4
	s_add_u32 s28, s5, s0
	s_addc_u32 s29, s10, s1
	s_cmpk_eq_i32 s40, 0x84
	s_cselect_b64 s[30:31], -1, 0
	s_ashr_i32 s0, s41, 31
	v_bfe_u32 v12, v0, 10, 10
	v_ashrrev_i32_e32 v17, 31, v16
	v_mov_b32_e32 v1, s0
	v_sub_co_u32_e32 v0, vcc, s41, v16
	v_lshl_add_u64 v[18:19], v[16:17], 4, s[6:7]
	s_nop 0
	v_subb_co_u32_e32 v1, vcc, v1, v17, vcc
	v_sub_co_u32_e64 v22, s[6:7], 0, v14
	v_cmp_gt_i64_e32 vcc, 1, v[0:1]
	v_cmp_gt_i64_e64 s[0:1], 17, v[0:1]
	v_subb_co_u32_e64 v23, s[6:7], 0, 0, s[6:7]
	v_mad_u64_u32 v[0:1], s[6:7], s8, v12, 0
	v_mov_b32_e32 v2, v1
	s_ashr_i32 s43, s42, 31
	s_lshl_b64 s[34:35], s[24:25], 9
	s_lshl_b64 s[46:47], s[8:9], 9
	v_mad_u64_u32 v[2:3], s[6:7], s9, v12, v[2:3]
	s_add_u32 s48, s42, -16
	v_mov_b32_e32 v1, v2
	v_mov_b64_e32 v[2:3], 0x100
	s_mul_i32 s5, s27, s4
	s_mul_hi_u32 s10, s26, s4
	s_addc_u32 s49, s43, -1
	v_lshl_add_u64 v[26:27], v[0:1], 4, v[2:3]
	s_add_i32 s5, s10, s5
	v_mad_u64_u32 v[0:1], s[10:11], s24, v14, 0
	v_mov_b32_e32 v2, v1
	s_mul_i32 s4, s26, s4
	v_mad_u64_u32 v[2:3], s[10:11], s25, v14, v[2:3]
	s_lshl_b32 s2, s50, 5
	s_lshl_b64 s[4:5], s[4:5], 4
	s_lshl_b64 s[10:11], s[22:23], 4
	s_add_u32 s10, s20, s10
	s_addc_u32 s11, s21, s11
	s_add_u32 s4, s10, s4
	v_mov_b32_e32 v1, v2
	s_addc_u32 s5, s11, s5
	v_lshlrev_b32_e32 v4, 4, v14
	s_mov_b64 s[6:7], 0x100
	v_lshl_add_u64 v[0:1], v[0:1], 4, s[4:5]
	v_mov_b64_e32 v[2:3], s[4:5]
	v_lshl_add_u64 v[28:29], v[0:1], 0, s[6:7]
	v_add_u32_e32 v1, 0x100, v4
	v_mad_u64_u32 v[30:31], s[4:5], s24, v1, v[2:3]
	v_mov_b32_e32 v0, v31
	v_mad_u64_u32 v[0:1], s[4:5], s25, v1, v[0:1]
	v_mov_b32_e32 v31, v0
	v_mov_b32_e32 v0, 0x100
	v_lshl_add_u32 v1, v12, 4, v0
	v_mad_u64_u32 v[32:33], s[4:5], s8, v1, 0
	v_lshlrev_b32_e32 v68, 9, v12
	v_or_b32_e32 v70, 0x4000, v4
	v_mov_b32_e32 v0, v33
	v_mov_b32_e32 v15, 0
	v_add_u32_e32 v69, v68, v4
	v_add_u32_e32 v71, v70, v68
	v_add_u32_e32 v20, 16, v16
	v_mad_u64_u32 v[0:1], s[4:5], s9, v1, v[0:1]
	v_mov_b32_e32 v13, v15
	v_add_u32_e32 v72, 0x100, v69
	v_add_u32_e32 v73, 0x2000, v69
	;; [unrolled: 1-line block ×6, first 2 shown]
	v_cmp_gt_i32_e64 s[16:17], s41, v16
	v_cmp_gt_i32_e64 s[18:19], s41, v20
	v_ashrrev_i32_e32 v21, 31, v20
	v_lshl_add_u32 v24, s3, 5, v12
	v_mov_b32_e32 v33, v0
	v_mov_b32_e32 v78, v15
	;; [unrolled: 1-line block ×9, first 2 shown]
	s_branch .LBB124_4
.LBB124_3:                              ;   in Loop: Header=BB124_4 Depth=1
	s_or_b64 exec, exec, s[4:5]
	s_add_i32 s3, s50, s3
	s_cmp_le_i32 s3, s33
	v_add_u32_e32 v24, s2, v24
	s_cbranch_scc0 .LBB124_63
.LBB124_4:                              ; =>This Loop Header: Depth=1
                                        ;     Child Loop BB124_7 Depth 2
	s_lshl_b32 s40, s3, 5
	v_add_u32_e32 v34, s40, v12
	v_ashrrev_i32_e32 v35, 31, v34
	v_mov_b64_e32 v[64:65], 0
	s_cmp_lt_i32 s3, 0
	v_mov_b64_e32 v[66:67], 0
	v_mov_b64_e32 v[60:61], 0
	;; [unrolled: 1-line block ×7, first 2 shown]
	s_cbranch_scc1 .LBB124_55
; %bb.5:                                ;   in Loop: Header=BB124_4 Depth=1
	v_ashrrev_i32_e32 v25, 31, v24
	v_lshl_add_u64 v[36:37], v[22:23], 0, v[24:25]
	v_lshl_add_u64 v[40:41], v[34:35], 0, 16
	v_lshlrev_b64 v[38:39], 4, v[24:25]
	v_cmp_le_i32_e64 s[6:7], s42, v34
	v_cmp_le_i64_e64 s[8:9], s[42:43], v[40:41]
	v_lshl_add_u64 v[42:43], v[36:37], 0, 16
	v_lshl_add_u64 v[44:45], v[36:37], 0, -16
	v_mov_b64_e32 v[52:53], 0
	s_mov_b64 s[20:21], 0
	v_mov_b64_e32 v[46:47], v[30:31]
	v_mov_b64_e32 v[48:49], v[28:29]
	;; [unrolled: 1-line block ×10, first 2 shown]
	s_branch .LBB124_7
.LBB124_6:                              ;   in Loop: Header=BB124_7 Depth=2
	s_or_b64 exec, exec, s[4:5]
	s_waitcnt lgkmcnt(0)
	s_barrier
	ds_read_b128 v[82:85], v70
	ds_read_b128 v[86:89], v68
	ds_read_b128 v[90:93], v68 offset:16
	ds_read_b128 v[8:11], v68 offset:32
	;; [unrolled: 1-line block ×4, first 2 shown]
	s_waitcnt lgkmcnt(4)
	v_mul_f64 v[98:99], v[88:89], v[84:85]
	v_fma_f64 v[98:99], v[86:87], v[82:83], -v[98:99]
	v_mul_f64 v[100:101], v[86:87], v[84:85]
	v_fmac_f64_e32 v[100:101], v[88:89], v[82:83]
	v_add_f64 v[98:99], v[64:65], v[98:99]
	s_waitcnt lgkmcnt(0)
	v_mul_f64 v[64:65], v[88:89], v[96:97]
	v_add_f64 v[100:101], v[100:101], v[66:67]
	v_fma_f64 v[102:103], v[86:87], v[94:95], -v[64:65]
	ds_read_b128 v[64:67], v68 offset:8192
	v_mul_f64 v[86:87], v[86:87], v[96:97]
	v_fmac_f64_e32 v[86:87], v[88:89], v[94:95]
	v_add_f64 v[88:89], v[60:61], v[102:103]
	v_add_f64 v[86:87], v[86:87], v[62:63]
	ds_read_b128 v[60:63], v68 offset:8208
	s_waitcnt lgkmcnt(1)
	v_mul_f64 v[102:103], v[66:67], v[84:85]
	v_fma_f64 v[102:103], v[64:65], v[82:83], -v[102:103]
	v_mul_f64 v[84:85], v[64:65], v[84:85]
	v_fmac_f64_e32 v[84:85], v[66:67], v[82:83]
	v_add_f64 v[82:83], v[56:57], v[102:103]
	v_mul_f64 v[56:57], v[66:67], v[96:97]
	v_add_f64 v[84:85], v[84:85], v[58:59]
	v_fma_f64 v[102:103], v[64:65], v[94:95], -v[56:57]
	v_mul_f64 v[64:65], v[64:65], v[96:97]
	ds_read_b128 v[56:59], v70 offset:512
	v_fmac_f64_e32 v[64:65], v[66:67], v[94:95]
	v_add_f64 v[66:67], v[54:55], v[102:103]
	v_add_f64 v[64:65], v[64:65], v[52:53]
	ds_read_b128 v[52:55], v70 offset:768
	s_waitcnt lgkmcnt(1)
	v_mul_f64 v[94:95], v[92:93], v[58:59]
	v_fma_f64 v[94:95], v[90:91], v[56:57], -v[94:95]
	v_add_f64 v[94:95], v[98:99], v[94:95]
	v_mul_f64 v[96:97], v[90:91], v[58:59]
	s_waitcnt lgkmcnt(0)
	v_mul_f64 v[98:99], v[92:93], v[54:55]
	v_fma_f64 v[98:99], v[90:91], v[52:53], -v[98:99]
	v_mul_f64 v[90:91], v[90:91], v[54:55]
	v_fmac_f64_e32 v[90:91], v[92:93], v[52:53]
	v_add_f64 v[86:87], v[90:91], v[86:87]
	v_mul_f64 v[90:91], v[62:63], v[58:59]
	v_mul_f64 v[58:59], v[60:61], v[58:59]
	v_fmac_f64_e32 v[96:97], v[92:93], v[56:57]
	v_fma_f64 v[90:91], v[60:61], v[56:57], -v[90:91]
	v_fmac_f64_e32 v[58:59], v[62:63], v[56:57]
	v_mul_f64 v[56:57], v[62:63], v[54:55]
	v_add_f64 v[84:85], v[58:59], v[84:85]
	v_fma_f64 v[58:59], v[60:61], v[52:53], -v[56:57]
	v_mul_f64 v[60:61], v[60:61], v[54:55]
	ds_read_b128 v[54:57], v70 offset:1024
	v_fmac_f64_e32 v[60:61], v[62:63], v[52:53]
	v_add_f64 v[82:83], v[82:83], v[90:91]
	v_add_f64 v[66:67], v[66:67], v[58:59]
	;; [unrolled: 1-line block ×3, first 2 shown]
	ds_read_b128 v[58:61], v70 offset:1280
	s_waitcnt lgkmcnt(1)
	v_mul_f64 v[52:53], v[10:11], v[56:57]
	v_mul_f64 v[62:63], v[8:9], v[56:57]
	v_add_f64 v[96:97], v[96:97], v[100:101]
	v_fma_f64 v[52:53], v[8:9], v[54:55], -v[52:53]
	v_fmac_f64_e32 v[62:63], v[10:11], v[54:55]
	v_add_f64 v[92:93], v[94:95], v[52:53]
	v_add_f64 v[94:95], v[62:63], v[96:97]
	ds_read_b128 v[62:65], v68 offset:8224
	s_waitcnt lgkmcnt(1)
	v_mul_f64 v[52:53], v[10:11], v[60:61]
	v_fma_f64 v[52:53], v[8:9], v[58:59], -v[52:53]
	v_mul_f64 v[8:9], v[8:9], v[60:61]
	v_add_f64 v[88:89], v[88:89], v[98:99]
	v_fmac_f64_e32 v[8:9], v[10:11], v[58:59]
	v_add_f64 v[88:89], v[88:89], v[52:53]
	v_add_f64 v[86:87], v[8:9], v[86:87]
	ds_read_b128 v[8:11], v68 offset:8240
	s_waitcnt lgkmcnt(1)
	v_mul_f64 v[52:53], v[64:65], v[56:57]
	v_fma_f64 v[52:53], v[62:63], v[54:55], -v[52:53]
	v_mul_f64 v[56:57], v[62:63], v[56:57]
	v_fmac_f64_e32 v[56:57], v[64:65], v[54:55]
	v_add_f64 v[82:83], v[82:83], v[52:53]
	v_mul_f64 v[52:53], v[64:65], v[60:61]
	v_add_f64 v[84:85], v[56:57], v[84:85]
	v_fma_f64 v[56:57], v[62:63], v[58:59], -v[52:53]
	v_mul_f64 v[60:61], v[62:63], v[60:61]
	ds_read_b128 v[52:55], v70 offset:1536
	v_fmac_f64_e32 v[60:61], v[64:65], v[58:59]
	v_add_f64 v[62:63], v[66:67], v[56:57]
	ds_read_b128 v[56:59], v70 offset:1792
	v_add_f64 v[60:61], v[60:61], v[90:91]
	s_waitcnt lgkmcnt(1)
	v_mul_f64 v[64:65], v[6:7], v[54:55]
	v_fma_f64 v[64:65], v[4:5], v[52:53], -v[64:65]
	v_mul_f64 v[66:67], v[4:5], v[54:55]
	s_waitcnt lgkmcnt(0)
	v_mul_f64 v[90:91], v[6:7], v[58:59]
	v_fma_f64 v[90:91], v[4:5], v[56:57], -v[90:91]
	v_mul_f64 v[4:5], v[4:5], v[58:59]
	v_fmac_f64_e32 v[4:5], v[6:7], v[56:57]
	v_add_f64 v[86:87], v[4:5], v[86:87]
	v_mul_f64 v[4:5], v[10:11], v[54:55]
	v_fmac_f64_e32 v[66:67], v[6:7], v[52:53]
	v_fma_f64 v[4:5], v[8:9], v[52:53], -v[4:5]
	v_mul_f64 v[6:7], v[8:9], v[54:55]
	v_fmac_f64_e32 v[6:7], v[10:11], v[52:53]
	v_add_f64 v[82:83], v[82:83], v[4:5]
	v_mul_f64 v[4:5], v[10:11], v[58:59]
	v_mul_f64 v[54:55], v[8:9], v[58:59]
	v_add_f64 v[84:85], v[6:7], v[84:85]
	v_fma_f64 v[52:53], v[8:9], v[56:57], -v[4:5]
	v_fmac_f64_e32 v[54:55], v[10:11], v[56:57]
	ds_read_b128 v[4:7], v68 offset:64
	ds_read_b128 v[8:11], v70 offset:2048
	v_add_f64 v[64:65], v[92:93], v[64:65]
	v_add_f64 v[88:89], v[88:89], v[90:91]
	;; [unrolled: 1-line block ×4, first 2 shown]
	ds_read_b128 v[52:55], v70 offset:2304
	ds_read_b128 v[56:59], v68 offset:80
	s_waitcnt lgkmcnt(2)
	v_mul_f64 v[60:61], v[6:7], v[10:11]
	v_fma_f64 v[60:61], v[4:5], v[8:9], -v[60:61]
	v_mul_f64 v[62:63], v[4:5], v[10:11]
	v_add_f64 v[66:67], v[66:67], v[94:95]
	v_fmac_f64_e32 v[62:63], v[6:7], v[8:9]
	v_add_f64 v[64:65], v[64:65], v[60:61]
	s_waitcnt lgkmcnt(1)
	v_mul_f64 v[60:61], v[6:7], v[54:55]
	v_add_f64 v[66:67], v[62:63], v[66:67]
	v_fma_f64 v[94:95], v[4:5], v[52:53], -v[60:61]
	ds_read_b128 v[60:63], v68 offset:8256
	v_mul_f64 v[4:5], v[4:5], v[54:55]
	v_fmac_f64_e32 v[4:5], v[6:7], v[52:53]
	v_add_f64 v[88:89], v[88:89], v[94:95]
	v_add_f64 v[86:87], v[4:5], v[86:87]
	ds_read_b128 v[4:7], v68 offset:8272
	s_waitcnt lgkmcnt(1)
	v_mul_f64 v[94:95], v[62:63], v[10:11]
	v_mul_f64 v[10:11], v[60:61], v[10:11]
	v_fma_f64 v[94:95], v[60:61], v[8:9], -v[94:95]
	v_fmac_f64_e32 v[10:11], v[62:63], v[8:9]
	v_mul_f64 v[8:9], v[62:63], v[54:55]
	v_add_f64 v[82:83], v[82:83], v[94:95]
	v_add_f64 v[84:85], v[10:11], v[84:85]
	v_fma_f64 v[94:95], v[60:61], v[52:53], -v[8:9]
	v_mul_f64 v[54:55], v[60:61], v[54:55]
	ds_read_b128 v[8:11], v70 offset:2560
	v_fmac_f64_e32 v[54:55], v[62:63], v[52:53]
	v_add_f64 v[62:63], v[54:55], v[92:93]
	ds_read_b128 v[52:55], v70 offset:2816
	v_add_f64 v[60:61], v[90:91], v[94:95]
	s_waitcnt lgkmcnt(1)
	v_mul_f64 v[90:91], v[58:59], v[10:11]
	v_fma_f64 v[90:91], v[56:57], v[8:9], -v[90:91]
	v_add_f64 v[64:65], v[64:65], v[90:91]
	s_waitcnt lgkmcnt(0)
	v_mul_f64 v[90:91], v[58:59], v[54:55]
	v_mul_f64 v[92:93], v[56:57], v[10:11]
	v_fma_f64 v[90:91], v[56:57], v[52:53], -v[90:91]
	v_mul_f64 v[56:57], v[56:57], v[54:55]
	v_fmac_f64_e32 v[56:57], v[58:59], v[52:53]
	v_add_f64 v[86:87], v[56:57], v[86:87]
	v_mul_f64 v[56:57], v[6:7], v[10:11]
	v_mul_f64 v[10:11], v[4:5], v[10:11]
	v_fmac_f64_e32 v[92:93], v[58:59], v[8:9]
	v_fma_f64 v[56:57], v[4:5], v[8:9], -v[56:57]
	v_fmac_f64_e32 v[10:11], v[6:7], v[8:9]
	v_mul_f64 v[8:9], v[6:7], v[54:55]
	v_mul_f64 v[54:55], v[4:5], v[54:55]
	v_add_f64 v[82:83], v[82:83], v[56:57]
	v_add_f64 v[84:85], v[10:11], v[84:85]
	v_fma_f64 v[56:57], v[4:5], v[52:53], -v[8:9]
	v_fmac_f64_e32 v[54:55], v[6:7], v[52:53]
	ds_read_b128 v[4:7], v68 offset:96
	ds_read_b128 v[8:11], v70 offset:3072
	v_add_f64 v[66:67], v[92:93], v[66:67]
	v_add_f64 v[88:89], v[88:89], v[90:91]
	v_add_f64 v[90:91], v[60:61], v[56:57]
	v_add_f64 v[92:93], v[54:55], v[62:63]
	ds_read_b128 v[52:55], v70 offset:3328
	ds_read_b128 v[56:59], v68 offset:112
	s_waitcnt lgkmcnt(2)
	v_mul_f64 v[60:61], v[6:7], v[10:11]
	v_fma_f64 v[60:61], v[4:5], v[8:9], -v[60:61]
	v_mul_f64 v[62:63], v[4:5], v[10:11]
	v_fmac_f64_e32 v[62:63], v[6:7], v[8:9]
	v_add_f64 v[64:65], v[64:65], v[60:61]
	s_waitcnt lgkmcnt(1)
	v_mul_f64 v[60:61], v[6:7], v[54:55]
	v_add_f64 v[66:67], v[62:63], v[66:67]
	v_fma_f64 v[94:95], v[4:5], v[52:53], -v[60:61]
	ds_read_b128 v[60:63], v68 offset:8288
	v_mul_f64 v[4:5], v[4:5], v[54:55]
	v_fmac_f64_e32 v[4:5], v[6:7], v[52:53]
	v_add_f64 v[88:89], v[88:89], v[94:95]
	v_add_f64 v[86:87], v[4:5], v[86:87]
	ds_read_b128 v[4:7], v68 offset:8304
	s_waitcnt lgkmcnt(1)
	v_mul_f64 v[94:95], v[62:63], v[10:11]
	v_mul_f64 v[10:11], v[60:61], v[10:11]
	v_fma_f64 v[94:95], v[60:61], v[8:9], -v[94:95]
	v_fmac_f64_e32 v[10:11], v[62:63], v[8:9]
	v_mul_f64 v[8:9], v[62:63], v[54:55]
	v_add_f64 v[82:83], v[82:83], v[94:95]
	v_add_f64 v[84:85], v[10:11], v[84:85]
	v_fma_f64 v[94:95], v[60:61], v[52:53], -v[8:9]
	v_mul_f64 v[54:55], v[60:61], v[54:55]
	ds_read_b128 v[8:11], v70 offset:3584
	v_fmac_f64_e32 v[54:55], v[62:63], v[52:53]
	v_add_f64 v[62:63], v[54:55], v[92:93]
	ds_read_b128 v[52:55], v70 offset:3840
	v_add_f64 v[60:61], v[90:91], v[94:95]
	s_waitcnt lgkmcnt(1)
	v_mul_f64 v[90:91], v[58:59], v[10:11]
	v_fma_f64 v[90:91], v[56:57], v[8:9], -v[90:91]
	v_add_f64 v[64:65], v[64:65], v[90:91]
	s_waitcnt lgkmcnt(0)
	v_mul_f64 v[90:91], v[58:59], v[54:55]
	v_mul_f64 v[92:93], v[56:57], v[10:11]
	v_fma_f64 v[90:91], v[56:57], v[52:53], -v[90:91]
	v_mul_f64 v[56:57], v[56:57], v[54:55]
	v_fmac_f64_e32 v[56:57], v[58:59], v[52:53]
	v_add_f64 v[86:87], v[56:57], v[86:87]
	v_mul_f64 v[56:57], v[6:7], v[10:11]
	v_mul_f64 v[10:11], v[4:5], v[10:11]
	v_fmac_f64_e32 v[92:93], v[58:59], v[8:9]
	v_fma_f64 v[56:57], v[4:5], v[8:9], -v[56:57]
	v_fmac_f64_e32 v[10:11], v[6:7], v[8:9]
	v_mul_f64 v[8:9], v[6:7], v[54:55]
	v_mul_f64 v[54:55], v[4:5], v[54:55]
	v_add_f64 v[82:83], v[82:83], v[56:57]
	v_add_f64 v[84:85], v[10:11], v[84:85]
	v_fma_f64 v[56:57], v[4:5], v[52:53], -v[8:9]
	v_fmac_f64_e32 v[54:55], v[6:7], v[52:53]
	ds_read_b128 v[4:7], v68 offset:128
	ds_read_b128 v[8:11], v70 offset:4096
	v_add_f64 v[66:67], v[92:93], v[66:67]
	v_add_f64 v[88:89], v[88:89], v[90:91]
	v_add_f64 v[90:91], v[60:61], v[56:57]
	v_add_f64 v[92:93], v[54:55], v[62:63]
	ds_read_b128 v[52:55], v70 offset:4352
	ds_read_b128 v[56:59], v68 offset:144
	s_waitcnt lgkmcnt(2)
	v_mul_f64 v[60:61], v[6:7], v[10:11]
	v_fma_f64 v[60:61], v[4:5], v[8:9], -v[60:61]
	v_mul_f64 v[62:63], v[4:5], v[10:11]
	;; [unrolled: 61-line block ×13, first 2 shown]
	v_fmac_f64_e32 v[62:63], v[6:7], v[8:9]
	v_add_f64 v[64:65], v[64:65], v[60:61]
	s_waitcnt lgkmcnt(1)
	v_mul_f64 v[60:61], v[6:7], v[54:55]
	v_add_f64 v[66:67], v[62:63], v[66:67]
	v_fma_f64 v[94:95], v[4:5], v[52:53], -v[60:61]
	ds_read_b128 v[60:63], v68 offset:8672
	v_mul_f64 v[4:5], v[4:5], v[54:55]
	v_fmac_f64_e32 v[4:5], v[6:7], v[52:53]
	v_add_f64 v[88:89], v[88:89], v[94:95]
	v_add_f64 v[86:87], v[4:5], v[86:87]
	ds_read_b128 v[4:7], v68 offset:8688
	s_waitcnt lgkmcnt(1)
	v_mul_f64 v[94:95], v[62:63], v[10:11]
	v_mul_f64 v[10:11], v[60:61], v[10:11]
	v_fma_f64 v[94:95], v[60:61], v[8:9], -v[94:95]
	v_fmac_f64_e32 v[10:11], v[62:63], v[8:9]
	v_mul_f64 v[8:9], v[62:63], v[54:55]
	v_add_f64 v[82:83], v[82:83], v[94:95]
	v_add_f64 v[84:85], v[10:11], v[84:85]
	v_fma_f64 v[94:95], v[60:61], v[52:53], -v[8:9]
	v_mul_f64 v[54:55], v[60:61], v[54:55]
	ds_read_b128 v[8:11], v70 offset:15872
	v_fmac_f64_e32 v[54:55], v[62:63], v[52:53]
	v_add_f64 v[92:93], v[54:55], v[92:93]
	ds_read_b128 v[52:55], v70 offset:16128
	s_add_u32 s20, s20, 32
	s_waitcnt lgkmcnt(1)
	v_mul_f64 v[60:61], v[58:59], v[10:11]
	v_fma_f64 v[60:61], v[56:57], v[8:9], -v[60:61]
	v_add_f64 v[64:65], v[64:65], v[60:61]
	s_waitcnt lgkmcnt(0)
	v_mul_f64 v[60:61], v[58:59], v[54:55]
	v_mul_f64 v[62:63], v[56:57], v[10:11]
	v_fma_f64 v[60:61], v[56:57], v[52:53], -v[60:61]
	v_mul_f64 v[56:57], v[56:57], v[54:55]
	v_fmac_f64_e32 v[62:63], v[58:59], v[8:9]
	v_fmac_f64_e32 v[56:57], v[58:59], v[52:53]
	v_add_f64 v[66:67], v[62:63], v[66:67]
	v_add_f64 v[62:63], v[56:57], v[86:87]
	v_mul_f64 v[56:57], v[6:7], v[10:11]
	v_mul_f64 v[10:11], v[4:5], v[10:11]
	v_fma_f64 v[56:57], v[4:5], v[8:9], -v[56:57]
	v_fmac_f64_e32 v[10:11], v[6:7], v[8:9]
	v_mul_f64 v[8:9], v[6:7], v[54:55]
	v_fma_f64 v[8:9], v[4:5], v[52:53], -v[8:9]
	v_mul_f64 v[4:5], v[4:5], v[54:55]
	v_add_f64 v[90:91], v[90:91], v[94:95]
	v_fmac_f64_e32 v[4:5], v[6:7], v[52:53]
	s_addc_u32 s21, s21, 0
	s_sub_i32 s4, s20, 32
	v_add_f64 v[60:61], v[88:89], v[60:61]
	v_add_f64 v[56:57], v[82:83], v[56:57]
	;; [unrolled: 1-line block ×5, first 2 shown]
	v_lshl_add_u64 v[50:51], v[50:51], 0, s[46:47]
	v_lshl_add_u64 v[48:49], v[48:49], 0, s[34:35]
	s_cmp_ge_i32 s4, s40
	v_lshl_add_u64 v[46:47], v[46:47], 0, s[34:35]
	s_barrier
	s_cbranch_scc1 .LBB124_55
.LBB124_7:                              ;   Parent Loop BB124_4 Depth=1
                                        ; =>  This Inner Loop Header: Depth=2
	v_lshl_add_u64 v[6:7], v[14:15], 0, s[20:21]
	v_cmp_eq_u64_e64 s[4:5], s[20:21], v[36:37]
	v_cmp_gt_i64_e64 s[10:11], v[6:7], v[34:35]
	s_and_b64 s[24:25], s[30:31], s[4:5]
	s_or_b64 s[4:5], s[6:7], s[10:11]
	v_cmp_le_i64_e64 s[12:13], s[42:43], v[6:7]
	s_or_b64 s[4:5], s[4:5], s[24:25]
	v_lshl_add_u64 v[4:5], v[48:49], 0, v[38:39]
	s_nor_b64 s[4:5], s[12:13], s[4:5]
	s_and_saveexec_b64 s[14:15], s[4:5]
	s_xor_b64 s[4:5], exec, s[14:15]
	s_cbranch_execz .LBB124_9
; %bb.8:                                ;   in Loop: Header=BB124_7 Depth=2
	global_load_dwordx4 v[8:11], v[4:5], off offset:-256
	s_waitcnt vmcnt(0)
	ds_write2_b64 v69, v[8:9], v[10:11] offset1:1
.LBB124_9:                              ;   in Loop: Header=BB124_7 Depth=2
	s_or_saveexec_b64 s[4:5], s[4:5]
	s_xor_b64 s[22:23], s[24:25], -1
	s_xor_b64 exec, exec, s[4:5]
	s_cbranch_execz .LBB124_15
; %bb.10:                               ;   in Loop: Header=BB124_7 Depth=2
	s_and_saveexec_b64 s[14:15], s[22:23]
	s_xor_b64 s[14:15], exec, s[14:15]
; %bb.11:                               ;   in Loop: Header=BB124_7 Depth=2
	ds_write_b128 v69, v[78:81]
; %bb.12:                               ;   in Loop: Header=BB124_7 Depth=2
	s_andn2_saveexec_b64 s[14:15], s[14:15]
; %bb.13:                               ;   in Loop: Header=BB124_7 Depth=2
	ds_write_b128 v69, v[0:3]
; %bb.14:                               ;   in Loop: Header=BB124_7 Depth=2
	s_or_b64 exec, exec, s[14:15]
.LBB124_15:                             ;   in Loop: Header=BB124_7 Depth=2
	s_or_b64 exec, exec, s[4:5]
	v_lshl_add_u64 v[8:9], v[6:7], 0, 16
	v_cmp_eq_u64_e64 s[4:5], s[20:21], v[44:45]
	s_and_b64 s[26:27], s[30:31], s[4:5]
	v_cmp_gt_i64_e64 s[4:5], v[8:9], v[34:35]
	s_or_b64 s[4:5], s[6:7], s[4:5]
	v_cmp_le_i64_e64 s[14:15], s[42:43], v[8:9]
	s_or_b64 s[4:5], s[4:5], s[26:27]
	s_nor_b64 s[4:5], s[14:15], s[4:5]
	v_lshl_add_u64 v[8:9], v[46:47], 0, v[38:39]
	s_and_saveexec_b64 s[52:53], s[4:5]
	s_xor_b64 s[4:5], exec, s[52:53]
	s_cbranch_execz .LBB124_17
; %bb.16:                               ;   in Loop: Header=BB124_7 Depth=2
	global_load_dwordx4 v[82:85], v[8:9], off
	s_waitcnt vmcnt(0)
	ds_write2_b64 v72, v[82:83], v[84:85] offset1:1
.LBB124_17:                             ;   in Loop: Header=BB124_7 Depth=2
	s_andn2_saveexec_b64 s[4:5], s[4:5]
	s_cbranch_execz .LBB124_23
; %bb.18:                               ;   in Loop: Header=BB124_7 Depth=2
	s_xor_b64 s[26:27], s[26:27], -1
	s_and_saveexec_b64 s[52:53], s[26:27]
	s_xor_b64 s[26:27], exec, s[52:53]
; %bb.19:                               ;   in Loop: Header=BB124_7 Depth=2
	ds_write_b128 v69, v[78:81] offset:256
; %bb.20:                               ;   in Loop: Header=BB124_7 Depth=2
	s_andn2_saveexec_b64 s[26:27], s[26:27]
; %bb.21:                               ;   in Loop: Header=BB124_7 Depth=2
	ds_write_b128 v69, v[0:3] offset:256
; %bb.22:                               ;   in Loop: Header=BB124_7 Depth=2
	s_or_b64 exec, exec, s[26:27]
.LBB124_23:                             ;   in Loop: Header=BB124_7 Depth=2
	s_or_b64 exec, exec, s[4:5]
	v_cmp_eq_u64_e64 s[4:5], s[20:21], v[42:43]
	s_and_b64 s[26:27], s[30:31], s[4:5]
	v_cmp_gt_i64_e64 s[4:5], v[6:7], v[40:41]
	s_or_b64 s[4:5], s[8:9], s[4:5]
	s_or_b64 s[4:5], s[4:5], s[26:27]
	s_nor_b64 s[4:5], s[12:13], s[4:5]
	s_and_saveexec_b64 s[12:13], s[4:5]
	s_xor_b64 s[4:5], exec, s[12:13]
	s_cbranch_execz .LBB124_25
; %bb.24:                               ;   in Loop: Header=BB124_7 Depth=2
	global_load_dwordx4 v[4:7], v[4:5], off
	s_waitcnt vmcnt(0)
	ds_write2_b64 v73, v[4:5], v[6:7] offset1:1
.LBB124_25:                             ;   in Loop: Header=BB124_7 Depth=2
	s_andn2_saveexec_b64 s[4:5], s[4:5]
	s_cbranch_execz .LBB124_31
; %bb.26:                               ;   in Loop: Header=BB124_7 Depth=2
	s_xor_b64 s[12:13], s[26:27], -1
	s_and_saveexec_b64 s[26:27], s[12:13]
	s_xor_b64 s[12:13], exec, s[26:27]
; %bb.27:                               ;   in Loop: Header=BB124_7 Depth=2
	ds_write_b128 v69, v[78:81] offset:8192
; %bb.28:                               ;   in Loop: Header=BB124_7 Depth=2
	s_andn2_saveexec_b64 s[12:13], s[12:13]
; %bb.29:                               ;   in Loop: Header=BB124_7 Depth=2
	ds_write_b128 v69, v[0:3] offset:8192
; %bb.30:                               ;   in Loop: Header=BB124_7 Depth=2
	s_or_b64 exec, exec, s[12:13]
.LBB124_31:                             ;   in Loop: Header=BB124_7 Depth=2
	s_or_b64 exec, exec, s[4:5]
	s_or_b64 s[4:5], s[8:9], s[10:11]
	s_or_b64 s[4:5], s[4:5], s[24:25]
	s_nor_b64 s[4:5], s[14:15], s[4:5]
	s_and_saveexec_b64 s[10:11], s[4:5]
	s_xor_b64 s[4:5], exec, s[10:11]
	s_cbranch_execz .LBB124_33
; %bb.32:                               ;   in Loop: Header=BB124_7 Depth=2
	global_load_dwordx4 v[4:7], v[8:9], off offset:256
	s_waitcnt vmcnt(0)
	ds_write2_b64 v74, v[4:5], v[6:7] offset1:1
.LBB124_33:                             ;   in Loop: Header=BB124_7 Depth=2
	s_andn2_saveexec_b64 s[4:5], s[4:5]
	s_cbranch_execz .LBB124_39
; %bb.34:                               ;   in Loop: Header=BB124_7 Depth=2
	s_and_saveexec_b64 s[10:11], s[22:23]
	s_xor_b64 s[10:11], exec, s[10:11]
; %bb.35:                               ;   in Loop: Header=BB124_7 Depth=2
	ds_write_b128 v69, v[78:81] offset:8448
; %bb.36:                               ;   in Loop: Header=BB124_7 Depth=2
	s_andn2_saveexec_b64 s[10:11], s[10:11]
; %bb.37:                               ;   in Loop: Header=BB124_7 Depth=2
	ds_write_b128 v69, v[0:3] offset:8448
; %bb.38:                               ;   in Loop: Header=BB124_7 Depth=2
	s_or_b64 exec, exec, s[10:11]
.LBB124_39:                             ;   in Loop: Header=BB124_7 Depth=2
	s_or_b64 exec, exec, s[4:5]
	v_lshl_add_u64 v[4:5], v[12:13], 0, s[20:21]
	v_cmp_le_i64_e64 s[10:11], s[42:43], v[4:5]
	v_lshl_add_u64 v[6:7], v[50:51], 0, v[26:27]
	s_nor_b64 s[4:5], s[10:11], vcc
	s_and_saveexec_b64 s[12:13], s[4:5]
	s_xor_b64 s[4:5], exec, s[12:13]
	s_cbranch_execz .LBB124_41
; %bb.40:                               ;   in Loop: Header=BB124_7 Depth=2
	global_load_dwordx4 v[8:11], v[6:7], off offset:-256
	s_waitcnt vmcnt(0)
	ds_write2_b64 v71, v[8:9], v[10:11] offset1:1
.LBB124_41:                             ;   in Loop: Header=BB124_7 Depth=2
	s_andn2_saveexec_b64 s[4:5], s[4:5]
; %bb.42:                               ;   in Loop: Header=BB124_7 Depth=2
	ds_write_b128 v71, v[78:81]
; %bb.43:                               ;   in Loop: Header=BB124_7 Depth=2
	s_or_b64 exec, exec, s[4:5]
	s_nor_b64 s[4:5], s[10:11], s[0:1]
	s_and_saveexec_b64 s[10:11], s[4:5]
	s_xor_b64 s[4:5], exec, s[10:11]
	s_cbranch_execz .LBB124_45
; %bb.44:                               ;   in Loop: Header=BB124_7 Depth=2
	global_load_dwordx4 v[6:9], v[6:7], off
	s_waitcnt vmcnt(0)
	ds_write2_b64 v75, v[6:7], v[8:9] offset1:1
.LBB124_45:                             ;   in Loop: Header=BB124_7 Depth=2
	s_andn2_saveexec_b64 s[4:5], s[4:5]
; %bb.46:                               ;   in Loop: Header=BB124_7 Depth=2
	ds_write_b128 v71, v[78:81] offset:256
; %bb.47:                               ;   in Loop: Header=BB124_7 Depth=2
	s_or_b64 exec, exec, s[4:5]
	v_cmp_le_i64_e64 s[10:11], s[48:49], v[4:5]
	v_lshl_add_u64 v[4:5], v[50:51], 0, v[32:33]
	s_nor_b64 s[4:5], s[10:11], vcc
	s_and_saveexec_b64 s[12:13], s[4:5]
	s_xor_b64 s[4:5], exec, s[12:13]
	s_cbranch_execz .LBB124_49
; %bb.48:                               ;   in Loop: Header=BB124_7 Depth=2
	global_load_dwordx4 v[6:9], v[4:5], off
	s_waitcnt vmcnt(0)
	ds_write2_b64 v76, v[6:7], v[8:9] offset1:1
.LBB124_49:                             ;   in Loop: Header=BB124_7 Depth=2
	s_andn2_saveexec_b64 s[4:5], s[4:5]
; %bb.50:                               ;   in Loop: Header=BB124_7 Depth=2
	ds_write_b128 v71, v[78:81] offset:8192
; %bb.51:                               ;   in Loop: Header=BB124_7 Depth=2
	s_or_b64 exec, exec, s[4:5]
	s_nor_b64 s[4:5], s[10:11], s[0:1]
	s_and_saveexec_b64 s[10:11], s[4:5]
	s_xor_b64 s[4:5], exec, s[10:11]
	s_cbranch_execz .LBB124_53
; %bb.52:                               ;   in Loop: Header=BB124_7 Depth=2
	global_load_dwordx4 v[4:7], v[4:5], off offset:256
	s_waitcnt vmcnt(0)
	ds_write2_b64 v77, v[4:5], v[6:7] offset1:1
.LBB124_53:                             ;   in Loop: Header=BB124_7 Depth=2
	s_andn2_saveexec_b64 s[4:5], s[4:5]
	s_cbranch_execz .LBB124_6
; %bb.54:                               ;   in Loop: Header=BB124_7 Depth=2
	ds_write_b128 v71, v[78:81] offset:8448
	s_branch .LBB124_6
.LBB124_55:                             ;   in Loop: Header=BB124_4 Depth=1
	v_mul_lo_u32 v6, s45, v34
	v_mul_lo_u32 v7, s44, v35
	v_mad_u64_u32 v[4:5], s[4:5], s44, v34, 0
	v_cmp_gt_i32_e64 s[6:7], s42, v34
	v_add3_u32 v5, v5, v7, v6
	v_lshl_add_u64 v[4:5], v[4:5], 4, s[28:29]
	s_and_b64 s[8:9], s[16:17], s[6:7]
	s_and_saveexec_b64 s[4:5], s[8:9]
	s_cbranch_execz .LBB124_57
; %bb.56:                               ;   in Loop: Header=BB124_4 Depth=1
	v_lshl_add_u64 v[10:11], v[16:17], 4, v[4:5]
	global_load_dwordx4 v[6:9], v[10:11], off
	v_mul_f64 v[36:37], s[38:39], v[66:67]
	v_mul_f64 v[38:39], s[36:37], v[66:67]
	v_fma_f64 v[36:37], s[36:37], v[64:65], -v[36:37]
	v_fmac_f64_e32 v[38:39], s[38:39], v[64:65]
	s_waitcnt vmcnt(0)
	v_add_f64 v[6:7], v[6:7], v[36:37]
	v_add_f64 v[8:9], v[38:39], v[8:9]
	global_store_dwordx4 v[10:11], v[6:9], off
.LBB124_57:                             ;   in Loop: Header=BB124_4 Depth=1
	s_or_b64 exec, exec, s[4:5]
	s_and_b64 s[6:7], s[18:19], s[6:7]
	s_and_saveexec_b64 s[4:5], s[6:7]
	s_cbranch_execz .LBB124_59
; %bb.58:                               ;   in Loop: Header=BB124_4 Depth=1
	v_lshl_add_u64 v[8:9], v[20:21], 4, v[4:5]
	global_load_dwordx4 v[4:7], v[8:9], off
	v_mul_f64 v[10:11], s[38:39], v[62:63]
	v_mul_f64 v[36:37], s[36:37], v[62:63]
	v_fma_f64 v[10:11], s[36:37], v[60:61], -v[10:11]
	v_fmac_f64_e32 v[36:37], s[38:39], v[60:61]
	s_waitcnt vmcnt(0)
	v_add_f64 v[4:5], v[4:5], v[10:11]
	v_add_f64 v[6:7], v[36:37], v[6:7]
	global_store_dwordx4 v[8:9], v[4:7], off
.LBB124_59:                             ;   in Loop: Header=BB124_4 Depth=1
	s_or_b64 exec, exec, s[4:5]
	s_nop 0
	v_add_u32_e32 v4, 16, v34
	v_ashrrev_i32_e32 v5, 31, v4
	v_cmp_gt_i32_e64 s[6:7], s42, v4
	v_mul_lo_u32 v6, s44, v5
	v_mul_lo_u32 v7, s45, v4
	v_mad_u64_u32 v[4:5], s[4:5], s44, v4, 0
	v_add3_u32 v5, v5, v6, v7
	v_lshl_add_u64 v[4:5], v[4:5], 4, s[28:29]
	s_and_b64 s[8:9], s[16:17], s[6:7]
	s_and_saveexec_b64 s[4:5], s[8:9]
	s_cbranch_execz .LBB124_61
; %bb.60:                               ;   in Loop: Header=BB124_4 Depth=1
	v_lshl_add_u64 v[10:11], v[16:17], 4, v[4:5]
	global_load_dwordx4 v[6:9], v[10:11], off
	v_mul_f64 v[34:35], s[38:39], v[58:59]
	v_mul_f64 v[36:37], s[36:37], v[58:59]
	v_fma_f64 v[34:35], s[36:37], v[56:57], -v[34:35]
	v_fmac_f64_e32 v[36:37], s[38:39], v[56:57]
	s_waitcnt vmcnt(0)
	v_add_f64 v[6:7], v[6:7], v[34:35]
	v_add_f64 v[8:9], v[36:37], v[8:9]
	global_store_dwordx4 v[10:11], v[6:9], off
.LBB124_61:                             ;   in Loop: Header=BB124_4 Depth=1
	s_or_b64 exec, exec, s[4:5]
	s_and_b64 s[6:7], s[18:19], s[6:7]
	s_and_saveexec_b64 s[4:5], s[6:7]
	s_cbranch_execz .LBB124_3
; %bb.62:                               ;   in Loop: Header=BB124_4 Depth=1
	v_lshl_add_u64 v[8:9], v[20:21], 4, v[4:5]
	global_load_dwordx4 v[4:7], v[8:9], off
	v_mul_f64 v[10:11], s[38:39], v[52:53]
	v_mul_f64 v[34:35], s[36:37], v[52:53]
	v_fma_f64 v[10:11], s[36:37], v[54:55], -v[10:11]
	v_fmac_f64_e32 v[34:35], s[38:39], v[54:55]
	s_waitcnt vmcnt(0)
	v_add_f64 v[4:5], v[4:5], v[10:11]
	v_add_f64 v[6:7], v[34:35], v[6:7]
	global_store_dwordx4 v[8:9], v[4:7], off
	s_branch .LBB124_3
.LBB124_63:
	s_endpgm
	.section	.rodata,"a",@progbits
	.p2align	6, 0x0
	.amdhsa_kernel _ZL30rocblas_trmm_outofplace_kernelI19rocblas_complex_numIdELi32ELi2ELb0ELb0ELb1ELb0EPKS1_S2_S1_Ev17rocblas_diagonal_iiT6_lPT7_lllS7_lllPT8_llli
		.amdhsa_group_segment_fixed_size 32768
		.amdhsa_private_segment_fixed_size 0
		.amdhsa_kernarg_size 392
		.amdhsa_user_sgpr_count 2
		.amdhsa_user_sgpr_dispatch_ptr 0
		.amdhsa_user_sgpr_queue_ptr 0
		.amdhsa_user_sgpr_kernarg_segment_ptr 1
		.amdhsa_user_sgpr_dispatch_id 0
		.amdhsa_user_sgpr_kernarg_preload_length 0
		.amdhsa_user_sgpr_kernarg_preload_offset 0
		.amdhsa_user_sgpr_private_segment_size 0
		.amdhsa_uses_dynamic_stack 0
		.amdhsa_enable_private_segment 0
		.amdhsa_system_sgpr_workgroup_id_x 1
		.amdhsa_system_sgpr_workgroup_id_y 1
		.amdhsa_system_sgpr_workgroup_id_z 1
		.amdhsa_system_sgpr_workgroup_info 0
		.amdhsa_system_vgpr_workitem_id 1
		.amdhsa_next_free_vgpr 104
		.amdhsa_next_free_sgpr 54
		.amdhsa_accum_offset 104
		.amdhsa_reserve_vcc 1
		.amdhsa_float_round_mode_32 0
		.amdhsa_float_round_mode_16_64 0
		.amdhsa_float_denorm_mode_32 3
		.amdhsa_float_denorm_mode_16_64 3
		.amdhsa_dx10_clamp 1
		.amdhsa_ieee_mode 1
		.amdhsa_fp16_overflow 0
		.amdhsa_tg_split 0
		.amdhsa_exception_fp_ieee_invalid_op 0
		.amdhsa_exception_fp_denorm_src 0
		.amdhsa_exception_fp_ieee_div_zero 0
		.amdhsa_exception_fp_ieee_overflow 0
		.amdhsa_exception_fp_ieee_underflow 0
		.amdhsa_exception_fp_ieee_inexact 0
		.amdhsa_exception_int_div_zero 0
	.end_amdhsa_kernel
	.section	.text._ZL30rocblas_trmm_outofplace_kernelI19rocblas_complex_numIdELi32ELi2ELb0ELb0ELb1ELb0EPKS1_S2_S1_Ev17rocblas_diagonal_iiT6_lPT7_lllS7_lllPT8_llli,"axG",@progbits,_ZL30rocblas_trmm_outofplace_kernelI19rocblas_complex_numIdELi32ELi2ELb0ELb0ELb1ELb0EPKS1_S2_S1_Ev17rocblas_diagonal_iiT6_lPT7_lllS7_lllPT8_llli,comdat
.Lfunc_end124:
	.size	_ZL30rocblas_trmm_outofplace_kernelI19rocblas_complex_numIdELi32ELi2ELb0ELb0ELb1ELb0EPKS1_S2_S1_Ev17rocblas_diagonal_iiT6_lPT7_lllS7_lllPT8_llli, .Lfunc_end124-_ZL30rocblas_trmm_outofplace_kernelI19rocblas_complex_numIdELi32ELi2ELb0ELb0ELb1ELb0EPKS1_S2_S1_Ev17rocblas_diagonal_iiT6_lPT7_lllS7_lllPT8_llli
                                        ; -- End function
	.set _ZL30rocblas_trmm_outofplace_kernelI19rocblas_complex_numIdELi32ELi2ELb0ELb0ELb1ELb0EPKS1_S2_S1_Ev17rocblas_diagonal_iiT6_lPT7_lllS7_lllPT8_llli.num_vgpr, 104
	.set _ZL30rocblas_trmm_outofplace_kernelI19rocblas_complex_numIdELi32ELi2ELb0ELb0ELb1ELb0EPKS1_S2_S1_Ev17rocblas_diagonal_iiT6_lPT7_lllS7_lllPT8_llli.num_agpr, 0
	.set _ZL30rocblas_trmm_outofplace_kernelI19rocblas_complex_numIdELi32ELi2ELb0ELb0ELb1ELb0EPKS1_S2_S1_Ev17rocblas_diagonal_iiT6_lPT7_lllS7_lllPT8_llli.numbered_sgpr, 54
	.set _ZL30rocblas_trmm_outofplace_kernelI19rocblas_complex_numIdELi32ELi2ELb0ELb0ELb1ELb0EPKS1_S2_S1_Ev17rocblas_diagonal_iiT6_lPT7_lllS7_lllPT8_llli.num_named_barrier, 0
	.set _ZL30rocblas_trmm_outofplace_kernelI19rocblas_complex_numIdELi32ELi2ELb0ELb0ELb1ELb0EPKS1_S2_S1_Ev17rocblas_diagonal_iiT6_lPT7_lllS7_lllPT8_llli.private_seg_size, 0
	.set _ZL30rocblas_trmm_outofplace_kernelI19rocblas_complex_numIdELi32ELi2ELb0ELb0ELb1ELb0EPKS1_S2_S1_Ev17rocblas_diagonal_iiT6_lPT7_lllS7_lllPT8_llli.uses_vcc, 1
	.set _ZL30rocblas_trmm_outofplace_kernelI19rocblas_complex_numIdELi32ELi2ELb0ELb0ELb1ELb0EPKS1_S2_S1_Ev17rocblas_diagonal_iiT6_lPT7_lllS7_lllPT8_llli.uses_flat_scratch, 0
	.set _ZL30rocblas_trmm_outofplace_kernelI19rocblas_complex_numIdELi32ELi2ELb0ELb0ELb1ELb0EPKS1_S2_S1_Ev17rocblas_diagonal_iiT6_lPT7_lllS7_lllPT8_llli.has_dyn_sized_stack, 0
	.set _ZL30rocblas_trmm_outofplace_kernelI19rocblas_complex_numIdELi32ELi2ELb0ELb0ELb1ELb0EPKS1_S2_S1_Ev17rocblas_diagonal_iiT6_lPT7_lllS7_lllPT8_llli.has_recursion, 0
	.set _ZL30rocblas_trmm_outofplace_kernelI19rocblas_complex_numIdELi32ELi2ELb0ELb0ELb1ELb0EPKS1_S2_S1_Ev17rocblas_diagonal_iiT6_lPT7_lllS7_lllPT8_llli.has_indirect_call, 0
	.section	.AMDGPU.csdata,"",@progbits
; Kernel info:
; codeLenInByte = 9112
; TotalNumSgprs: 60
; NumVgprs: 104
; NumAgprs: 0
; TotalNumVgprs: 104
; ScratchSize: 0
; MemoryBound: 0
; FloatMode: 240
; IeeeMode: 1
; LDSByteSize: 32768 bytes/workgroup (compile time only)
; SGPRBlocks: 7
; VGPRBlocks: 12
; NumSGPRsForWavesPerEU: 60
; NumVGPRsForWavesPerEU: 104
; AccumOffset: 104
; Occupancy: 4
; WaveLimiterHint : 0
; COMPUTE_PGM_RSRC2:SCRATCH_EN: 0
; COMPUTE_PGM_RSRC2:USER_SGPR: 2
; COMPUTE_PGM_RSRC2:TRAP_HANDLER: 0
; COMPUTE_PGM_RSRC2:TGID_X_EN: 1
; COMPUTE_PGM_RSRC2:TGID_Y_EN: 1
; COMPUTE_PGM_RSRC2:TGID_Z_EN: 1
; COMPUTE_PGM_RSRC2:TIDIG_COMP_CNT: 1
; COMPUTE_PGM_RSRC3_GFX90A:ACCUM_OFFSET: 25
; COMPUTE_PGM_RSRC3_GFX90A:TG_SPLIT: 0
	.section	.text._ZL30rocblas_trmm_outofplace_kernelI19rocblas_complex_numIdELi32ELi2ELb0ELb0ELb1ELb0ES1_KS1_S1_Ev17rocblas_diagonal_iiT6_lPT7_lllS6_lllPT8_llli,"axG",@progbits,_ZL30rocblas_trmm_outofplace_kernelI19rocblas_complex_numIdELi32ELi2ELb0ELb0ELb1ELb0ES1_KS1_S1_Ev17rocblas_diagonal_iiT6_lPT7_lllS6_lllPT8_llli,comdat
	.globl	_ZL30rocblas_trmm_outofplace_kernelI19rocblas_complex_numIdELi32ELi2ELb0ELb0ELb1ELb0ES1_KS1_S1_Ev17rocblas_diagonal_iiT6_lPT7_lllS6_lllPT8_llli ; -- Begin function _ZL30rocblas_trmm_outofplace_kernelI19rocblas_complex_numIdELi32ELi2ELb0ELb0ELb1ELb0ES1_KS1_S1_Ev17rocblas_diagonal_iiT6_lPT7_lllS6_lllPT8_llli
	.p2align	8
	.type	_ZL30rocblas_trmm_outofplace_kernelI19rocblas_complex_numIdELi32ELi2ELb0ELb0ELb1ELb0ES1_KS1_S1_Ev17rocblas_diagonal_iiT6_lPT7_lllS6_lllPT8_llli,@function
_ZL30rocblas_trmm_outofplace_kernelI19rocblas_complex_numIdELi32ELi2ELb0ELb0ELb1ELb0ES1_KS1_S1_Ev17rocblas_diagonal_iiT6_lPT7_lllS6_lllPT8_llli: ; @_ZL30rocblas_trmm_outofplace_kernelI19rocblas_complex_numIdELi32ELi2ELb0ELb0ELb1ELb0ES1_KS1_S1_Ev17rocblas_diagonal_iiT6_lPT7_lllS6_lllPT8_llli
; %bb.0:
	s_load_dwordx4 s[36:39], s[0:1], 0x10
	s_waitcnt lgkmcnt(0)
	v_cmp_eq_f64_e64 s[6:7], s[36:37], 0
	v_cmp_eq_f64_e64 s[8:9], s[38:39], 0
	s_and_b64 s[6:7], s[6:7], s[8:9]
	s_and_b64 vcc, exec, s[6:7]
	s_cbranch_vccnz .LBB125_63
; %bb.1:
	s_load_dwordx4 s[40:43], s[0:1], 0x0
	s_waitcnt lgkmcnt(0)
	s_add_i32 s5, s42, -1
	s_ashr_i32 s6, s5, 31
	s_lshr_b32 s6, s6, 27
	s_add_i32 s5, s5, s6
	s_ashr_i32 s33, s5, 5
	s_cmp_gt_i32 s3, s33
	s_cbranch_scc1 .LBB125_63
; %bb.2:
	s_load_dwordx16 s[8:23], s[0:1], 0x28
	s_load_dwordx8 s[24:31], s[0:1], 0x68
	v_and_b32_e32 v14, 0x3ff, v0
	v_lshl_add_u32 v16, s2, 5, v14
	v_bfe_u32 v12, v0, 10, 10
	s_waitcnt lgkmcnt(0)
	s_mul_i32 s5, s23, s4
	s_mul_hi_u32 s7, s22, s4
	s_mul_i32 s6, s22, s4
	s_add_i32 s7, s7, s5
	s_lshl_b64 s[6:7], s[6:7], 4
	s_add_u32 s5, s16, s6
	s_addc_u32 s16, s17, s7
	s_lshl_b64 s[6:7], s[18:19], 4
	s_add_u32 s6, s5, s6
	s_addc_u32 s7, s16, s7
	s_mul_i32 s5, s31, s4
	s_mul_hi_u32 s16, s30, s4
	s_add_i32 s17, s16, s5
	s_mul_i32 s16, s30, s4
	s_lshl_b64 s[16:17], s[16:17], 4
	s_add_u32 s5, s24, s16
	s_addc_u32 s18, s25, s17
	s_lshl_b64 s[16:17], s[26:27], 4
	s_add_u32 s22, s5, s16
	s_addc_u32 s23, s18, s17
	s_cmpk_eq_i32 s40, 0x84
	s_cselect_b64 s[24:25], -1, 0
	s_ashr_i32 s2, s41, 31
	v_ashrrev_i32_e32 v17, 31, v16
	v_mov_b32_e32 v1, s2
	v_sub_co_u32_e32 v0, vcc, s41, v16
	s_load_dword s2, s[0:1], 0x94
	v_lshl_add_u64 v[18:19], v[16:17], 4, s[6:7]
	v_subb_co_u32_e32 v1, vcc, v1, v17, vcc
	v_sub_co_u32_e64 v22, s[6:7], 0, v14
	s_ashr_i32 s43, s42, 31
	s_lshl_b64 s[26:27], s[12:13], 9
	s_lshl_b64 s[30:31], s[20:21], 9
	v_cmp_gt_i64_e32 vcc, 1, v[0:1]
	v_cmp_gt_i64_e64 s[0:1], 17, v[0:1]
	v_subb_co_u32_e64 v23, s[6:7], 0, 0, s[6:7]
	v_mad_u64_u32 v[0:1], s[6:7], s20, v12, 0
	s_add_u32 s34, s42, -16
	v_mov_b32_e32 v2, v1
	s_mul_i32 s5, s15, s4
	s_mul_hi_u32 s15, s14, s4
	s_addc_u32 s35, s43, -1
	v_mad_u64_u32 v[2:3], s[6:7], s21, v12, v[2:3]
	s_add_i32 s5, s15, s5
	s_mul_i32 s4, s14, s4
	s_waitcnt lgkmcnt(0)
	s_lshl_b32 s48, s2, 5
	v_mov_b32_e32 v1, v2
	v_mov_b64_e32 v[2:3], 0x100
	s_lshl_b64 s[4:5], s[4:5], 4
	s_lshl_b64 s[10:11], s[10:11], 4
	v_lshl_add_u64 v[26:27], v[0:1], 4, v[2:3]
	v_mad_u64_u32 v[0:1], s[14:15], s12, v14, 0
	s_add_u32 s8, s8, s10
	v_mov_b32_e32 v2, v1
	s_addc_u32 s9, s9, s11
	v_mad_u64_u32 v[2:3], s[14:15], s13, v14, v[2:3]
	s_add_u32 s4, s8, s4
	v_mov_b32_e32 v1, v2
	s_addc_u32 s5, s9, s5
	v_lshlrev_b32_e32 v4, 4, v14
	s_mov_b64 s[6:7], 0x100
	v_lshl_add_u64 v[0:1], v[0:1], 4, s[4:5]
	v_mov_b64_e32 v[2:3], s[4:5]
	v_lshl_add_u64 v[28:29], v[0:1], 0, s[6:7]
	v_add_u32_e32 v1, 0x100, v4
	v_mad_u64_u32 v[30:31], s[4:5], s12, v1, v[2:3]
	v_mov_b32_e32 v0, v31
	v_mad_u64_u32 v[0:1], s[4:5], s13, v1, v[0:1]
	v_mov_b32_e32 v31, v0
	v_mov_b32_e32 v0, 0x100
	v_lshl_add_u32 v1, v12, 4, v0
	v_mad_u64_u32 v[32:33], s[4:5], s20, v1, 0
	v_lshlrev_b32_e32 v68, 9, v12
	v_or_b32_e32 v70, 0x4000, v4
	v_mov_b32_e32 v0, v33
	v_mov_b32_e32 v15, 0
	v_add_u32_e32 v69, v68, v4
	v_add_u32_e32 v71, v70, v68
	;; [unrolled: 1-line block ×3, first 2 shown]
	v_mad_u64_u32 v[0:1], s[4:5], s21, v1, v[0:1]
	v_mov_b32_e32 v13, v15
	v_add_u32_e32 v72, 0x100, v69
	v_add_u32_e32 v73, 0x2000, v69
	;; [unrolled: 1-line block ×6, first 2 shown]
	v_cmp_gt_i32_e64 s[16:17], s41, v16
	v_cmp_gt_i32_e64 s[18:19], s41, v20
	v_ashrrev_i32_e32 v21, 31, v20
	v_lshl_add_u32 v24, s3, 5, v12
	v_mov_b32_e32 v33, v0
	v_mov_b32_e32 v78, v15
	;; [unrolled: 1-line block ×9, first 2 shown]
	s_branch .LBB125_4
.LBB125_3:                              ;   in Loop: Header=BB125_4 Depth=1
	s_or_b64 exec, exec, s[4:5]
	s_add_i32 s3, s2, s3
	s_cmp_le_i32 s3, s33
	v_add_u32_e32 v24, s48, v24
	s_cbranch_scc0 .LBB125_63
.LBB125_4:                              ; =>This Loop Header: Depth=1
                                        ;     Child Loop BB125_7 Depth 2
	s_lshl_b32 s49, s3, 5
	v_add_u32_e32 v34, s49, v12
	v_ashrrev_i32_e32 v35, 31, v34
	v_mov_b64_e32 v[64:65], 0
	s_cmp_lt_i32 s3, 0
	v_mov_b64_e32 v[66:67], 0
	v_mov_b64_e32 v[60:61], 0
	;; [unrolled: 1-line block ×7, first 2 shown]
	s_cbranch_scc1 .LBB125_55
; %bb.5:                                ;   in Loop: Header=BB125_4 Depth=1
	v_ashrrev_i32_e32 v25, 31, v24
	v_lshl_add_u64 v[36:37], v[22:23], 0, v[24:25]
	v_lshl_add_u64 v[40:41], v[34:35], 0, 16
	v_lshlrev_b64 v[38:39], 4, v[24:25]
	v_cmp_le_i32_e64 s[6:7], s42, v34
	v_cmp_le_i64_e64 s[8:9], s[42:43], v[40:41]
	v_lshl_add_u64 v[42:43], v[36:37], 0, 16
	v_lshl_add_u64 v[44:45], v[36:37], 0, -16
	v_mov_b64_e32 v[52:53], 0
	s_mov_b64 s[20:21], 0
	v_mov_b64_e32 v[46:47], v[30:31]
	v_mov_b64_e32 v[48:49], v[28:29]
	;; [unrolled: 1-line block ×10, first 2 shown]
	s_branch .LBB125_7
.LBB125_6:                              ;   in Loop: Header=BB125_7 Depth=2
	s_or_b64 exec, exec, s[4:5]
	s_waitcnt lgkmcnt(0)
	s_barrier
	ds_read_b128 v[82:85], v70
	ds_read_b128 v[86:89], v68
	ds_read_b128 v[90:93], v68 offset:16
	ds_read_b128 v[8:11], v68 offset:32
	;; [unrolled: 1-line block ×4, first 2 shown]
	s_waitcnt lgkmcnt(4)
	v_mul_f64 v[98:99], v[88:89], v[84:85]
	v_fma_f64 v[98:99], v[86:87], v[82:83], -v[98:99]
	v_mul_f64 v[100:101], v[86:87], v[84:85]
	v_fmac_f64_e32 v[100:101], v[88:89], v[82:83]
	v_add_f64 v[98:99], v[64:65], v[98:99]
	s_waitcnt lgkmcnt(0)
	v_mul_f64 v[64:65], v[88:89], v[96:97]
	v_add_f64 v[100:101], v[100:101], v[66:67]
	v_fma_f64 v[102:103], v[86:87], v[94:95], -v[64:65]
	ds_read_b128 v[64:67], v68 offset:8192
	v_mul_f64 v[86:87], v[86:87], v[96:97]
	v_fmac_f64_e32 v[86:87], v[88:89], v[94:95]
	v_add_f64 v[88:89], v[60:61], v[102:103]
	v_add_f64 v[86:87], v[86:87], v[62:63]
	ds_read_b128 v[60:63], v68 offset:8208
	s_waitcnt lgkmcnt(1)
	v_mul_f64 v[102:103], v[66:67], v[84:85]
	v_fma_f64 v[102:103], v[64:65], v[82:83], -v[102:103]
	v_mul_f64 v[84:85], v[64:65], v[84:85]
	v_fmac_f64_e32 v[84:85], v[66:67], v[82:83]
	v_add_f64 v[82:83], v[56:57], v[102:103]
	v_mul_f64 v[56:57], v[66:67], v[96:97]
	v_add_f64 v[84:85], v[84:85], v[58:59]
	v_fma_f64 v[102:103], v[64:65], v[94:95], -v[56:57]
	v_mul_f64 v[64:65], v[64:65], v[96:97]
	ds_read_b128 v[56:59], v70 offset:512
	v_fmac_f64_e32 v[64:65], v[66:67], v[94:95]
	v_add_f64 v[66:67], v[54:55], v[102:103]
	v_add_f64 v[64:65], v[64:65], v[52:53]
	ds_read_b128 v[52:55], v70 offset:768
	s_waitcnt lgkmcnt(1)
	v_mul_f64 v[94:95], v[92:93], v[58:59]
	v_fma_f64 v[94:95], v[90:91], v[56:57], -v[94:95]
	v_add_f64 v[94:95], v[98:99], v[94:95]
	v_mul_f64 v[96:97], v[90:91], v[58:59]
	s_waitcnt lgkmcnt(0)
	v_mul_f64 v[98:99], v[92:93], v[54:55]
	v_fma_f64 v[98:99], v[90:91], v[52:53], -v[98:99]
	v_mul_f64 v[90:91], v[90:91], v[54:55]
	v_fmac_f64_e32 v[90:91], v[92:93], v[52:53]
	v_add_f64 v[86:87], v[90:91], v[86:87]
	v_mul_f64 v[90:91], v[62:63], v[58:59]
	v_mul_f64 v[58:59], v[60:61], v[58:59]
	v_fmac_f64_e32 v[96:97], v[92:93], v[56:57]
	v_fma_f64 v[90:91], v[60:61], v[56:57], -v[90:91]
	v_fmac_f64_e32 v[58:59], v[62:63], v[56:57]
	v_mul_f64 v[56:57], v[62:63], v[54:55]
	v_add_f64 v[84:85], v[58:59], v[84:85]
	v_fma_f64 v[58:59], v[60:61], v[52:53], -v[56:57]
	v_mul_f64 v[60:61], v[60:61], v[54:55]
	ds_read_b128 v[54:57], v70 offset:1024
	v_fmac_f64_e32 v[60:61], v[62:63], v[52:53]
	v_add_f64 v[82:83], v[82:83], v[90:91]
	v_add_f64 v[66:67], v[66:67], v[58:59]
	;; [unrolled: 1-line block ×3, first 2 shown]
	ds_read_b128 v[58:61], v70 offset:1280
	s_waitcnt lgkmcnt(1)
	v_mul_f64 v[52:53], v[10:11], v[56:57]
	v_mul_f64 v[62:63], v[8:9], v[56:57]
	v_add_f64 v[96:97], v[96:97], v[100:101]
	v_fma_f64 v[52:53], v[8:9], v[54:55], -v[52:53]
	v_fmac_f64_e32 v[62:63], v[10:11], v[54:55]
	v_add_f64 v[92:93], v[94:95], v[52:53]
	v_add_f64 v[94:95], v[62:63], v[96:97]
	ds_read_b128 v[62:65], v68 offset:8224
	s_waitcnt lgkmcnt(1)
	v_mul_f64 v[52:53], v[10:11], v[60:61]
	v_fma_f64 v[52:53], v[8:9], v[58:59], -v[52:53]
	v_mul_f64 v[8:9], v[8:9], v[60:61]
	v_add_f64 v[88:89], v[88:89], v[98:99]
	v_fmac_f64_e32 v[8:9], v[10:11], v[58:59]
	v_add_f64 v[88:89], v[88:89], v[52:53]
	v_add_f64 v[86:87], v[8:9], v[86:87]
	ds_read_b128 v[8:11], v68 offset:8240
	s_waitcnt lgkmcnt(1)
	v_mul_f64 v[52:53], v[64:65], v[56:57]
	v_fma_f64 v[52:53], v[62:63], v[54:55], -v[52:53]
	v_mul_f64 v[56:57], v[62:63], v[56:57]
	v_fmac_f64_e32 v[56:57], v[64:65], v[54:55]
	v_add_f64 v[82:83], v[82:83], v[52:53]
	v_mul_f64 v[52:53], v[64:65], v[60:61]
	v_add_f64 v[84:85], v[56:57], v[84:85]
	v_fma_f64 v[56:57], v[62:63], v[58:59], -v[52:53]
	v_mul_f64 v[60:61], v[62:63], v[60:61]
	ds_read_b128 v[52:55], v70 offset:1536
	v_fmac_f64_e32 v[60:61], v[64:65], v[58:59]
	v_add_f64 v[62:63], v[66:67], v[56:57]
	ds_read_b128 v[56:59], v70 offset:1792
	v_add_f64 v[60:61], v[60:61], v[90:91]
	s_waitcnt lgkmcnt(1)
	v_mul_f64 v[64:65], v[6:7], v[54:55]
	v_fma_f64 v[64:65], v[4:5], v[52:53], -v[64:65]
	v_mul_f64 v[66:67], v[4:5], v[54:55]
	s_waitcnt lgkmcnt(0)
	v_mul_f64 v[90:91], v[6:7], v[58:59]
	v_fma_f64 v[90:91], v[4:5], v[56:57], -v[90:91]
	v_mul_f64 v[4:5], v[4:5], v[58:59]
	v_fmac_f64_e32 v[4:5], v[6:7], v[56:57]
	v_add_f64 v[86:87], v[4:5], v[86:87]
	v_mul_f64 v[4:5], v[10:11], v[54:55]
	v_fmac_f64_e32 v[66:67], v[6:7], v[52:53]
	v_fma_f64 v[4:5], v[8:9], v[52:53], -v[4:5]
	v_mul_f64 v[6:7], v[8:9], v[54:55]
	v_fmac_f64_e32 v[6:7], v[10:11], v[52:53]
	v_add_f64 v[82:83], v[82:83], v[4:5]
	v_mul_f64 v[4:5], v[10:11], v[58:59]
	v_mul_f64 v[54:55], v[8:9], v[58:59]
	v_add_f64 v[84:85], v[6:7], v[84:85]
	v_fma_f64 v[52:53], v[8:9], v[56:57], -v[4:5]
	v_fmac_f64_e32 v[54:55], v[10:11], v[56:57]
	ds_read_b128 v[4:7], v68 offset:64
	ds_read_b128 v[8:11], v70 offset:2048
	v_add_f64 v[64:65], v[92:93], v[64:65]
	v_add_f64 v[88:89], v[88:89], v[90:91]
	;; [unrolled: 1-line block ×4, first 2 shown]
	ds_read_b128 v[52:55], v70 offset:2304
	ds_read_b128 v[56:59], v68 offset:80
	s_waitcnt lgkmcnt(2)
	v_mul_f64 v[60:61], v[6:7], v[10:11]
	v_fma_f64 v[60:61], v[4:5], v[8:9], -v[60:61]
	v_mul_f64 v[62:63], v[4:5], v[10:11]
	v_add_f64 v[66:67], v[66:67], v[94:95]
	v_fmac_f64_e32 v[62:63], v[6:7], v[8:9]
	v_add_f64 v[64:65], v[64:65], v[60:61]
	s_waitcnt lgkmcnt(1)
	v_mul_f64 v[60:61], v[6:7], v[54:55]
	v_add_f64 v[66:67], v[62:63], v[66:67]
	v_fma_f64 v[94:95], v[4:5], v[52:53], -v[60:61]
	ds_read_b128 v[60:63], v68 offset:8256
	v_mul_f64 v[4:5], v[4:5], v[54:55]
	v_fmac_f64_e32 v[4:5], v[6:7], v[52:53]
	v_add_f64 v[88:89], v[88:89], v[94:95]
	v_add_f64 v[86:87], v[4:5], v[86:87]
	ds_read_b128 v[4:7], v68 offset:8272
	s_waitcnt lgkmcnt(1)
	v_mul_f64 v[94:95], v[62:63], v[10:11]
	v_mul_f64 v[10:11], v[60:61], v[10:11]
	v_fma_f64 v[94:95], v[60:61], v[8:9], -v[94:95]
	v_fmac_f64_e32 v[10:11], v[62:63], v[8:9]
	v_mul_f64 v[8:9], v[62:63], v[54:55]
	v_add_f64 v[82:83], v[82:83], v[94:95]
	v_add_f64 v[84:85], v[10:11], v[84:85]
	v_fma_f64 v[94:95], v[60:61], v[52:53], -v[8:9]
	v_mul_f64 v[54:55], v[60:61], v[54:55]
	ds_read_b128 v[8:11], v70 offset:2560
	v_fmac_f64_e32 v[54:55], v[62:63], v[52:53]
	v_add_f64 v[62:63], v[54:55], v[92:93]
	ds_read_b128 v[52:55], v70 offset:2816
	v_add_f64 v[60:61], v[90:91], v[94:95]
	s_waitcnt lgkmcnt(1)
	v_mul_f64 v[90:91], v[58:59], v[10:11]
	v_fma_f64 v[90:91], v[56:57], v[8:9], -v[90:91]
	v_add_f64 v[64:65], v[64:65], v[90:91]
	s_waitcnt lgkmcnt(0)
	v_mul_f64 v[90:91], v[58:59], v[54:55]
	v_mul_f64 v[92:93], v[56:57], v[10:11]
	v_fma_f64 v[90:91], v[56:57], v[52:53], -v[90:91]
	v_mul_f64 v[56:57], v[56:57], v[54:55]
	v_fmac_f64_e32 v[56:57], v[58:59], v[52:53]
	v_add_f64 v[86:87], v[56:57], v[86:87]
	v_mul_f64 v[56:57], v[6:7], v[10:11]
	v_mul_f64 v[10:11], v[4:5], v[10:11]
	v_fmac_f64_e32 v[92:93], v[58:59], v[8:9]
	v_fma_f64 v[56:57], v[4:5], v[8:9], -v[56:57]
	v_fmac_f64_e32 v[10:11], v[6:7], v[8:9]
	v_mul_f64 v[8:9], v[6:7], v[54:55]
	v_mul_f64 v[54:55], v[4:5], v[54:55]
	v_add_f64 v[82:83], v[82:83], v[56:57]
	v_add_f64 v[84:85], v[10:11], v[84:85]
	v_fma_f64 v[56:57], v[4:5], v[52:53], -v[8:9]
	v_fmac_f64_e32 v[54:55], v[6:7], v[52:53]
	ds_read_b128 v[4:7], v68 offset:96
	ds_read_b128 v[8:11], v70 offset:3072
	v_add_f64 v[66:67], v[92:93], v[66:67]
	v_add_f64 v[88:89], v[88:89], v[90:91]
	v_add_f64 v[90:91], v[60:61], v[56:57]
	v_add_f64 v[92:93], v[54:55], v[62:63]
	ds_read_b128 v[52:55], v70 offset:3328
	ds_read_b128 v[56:59], v68 offset:112
	s_waitcnt lgkmcnt(2)
	v_mul_f64 v[60:61], v[6:7], v[10:11]
	v_fma_f64 v[60:61], v[4:5], v[8:9], -v[60:61]
	v_mul_f64 v[62:63], v[4:5], v[10:11]
	v_fmac_f64_e32 v[62:63], v[6:7], v[8:9]
	v_add_f64 v[64:65], v[64:65], v[60:61]
	s_waitcnt lgkmcnt(1)
	v_mul_f64 v[60:61], v[6:7], v[54:55]
	v_add_f64 v[66:67], v[62:63], v[66:67]
	v_fma_f64 v[94:95], v[4:5], v[52:53], -v[60:61]
	ds_read_b128 v[60:63], v68 offset:8288
	v_mul_f64 v[4:5], v[4:5], v[54:55]
	v_fmac_f64_e32 v[4:5], v[6:7], v[52:53]
	v_add_f64 v[88:89], v[88:89], v[94:95]
	v_add_f64 v[86:87], v[4:5], v[86:87]
	ds_read_b128 v[4:7], v68 offset:8304
	s_waitcnt lgkmcnt(1)
	v_mul_f64 v[94:95], v[62:63], v[10:11]
	v_mul_f64 v[10:11], v[60:61], v[10:11]
	v_fma_f64 v[94:95], v[60:61], v[8:9], -v[94:95]
	v_fmac_f64_e32 v[10:11], v[62:63], v[8:9]
	v_mul_f64 v[8:9], v[62:63], v[54:55]
	v_add_f64 v[82:83], v[82:83], v[94:95]
	v_add_f64 v[84:85], v[10:11], v[84:85]
	v_fma_f64 v[94:95], v[60:61], v[52:53], -v[8:9]
	v_mul_f64 v[54:55], v[60:61], v[54:55]
	ds_read_b128 v[8:11], v70 offset:3584
	v_fmac_f64_e32 v[54:55], v[62:63], v[52:53]
	v_add_f64 v[62:63], v[54:55], v[92:93]
	ds_read_b128 v[52:55], v70 offset:3840
	v_add_f64 v[60:61], v[90:91], v[94:95]
	s_waitcnt lgkmcnt(1)
	v_mul_f64 v[90:91], v[58:59], v[10:11]
	v_fma_f64 v[90:91], v[56:57], v[8:9], -v[90:91]
	v_add_f64 v[64:65], v[64:65], v[90:91]
	s_waitcnt lgkmcnt(0)
	v_mul_f64 v[90:91], v[58:59], v[54:55]
	v_mul_f64 v[92:93], v[56:57], v[10:11]
	v_fma_f64 v[90:91], v[56:57], v[52:53], -v[90:91]
	v_mul_f64 v[56:57], v[56:57], v[54:55]
	v_fmac_f64_e32 v[56:57], v[58:59], v[52:53]
	v_add_f64 v[86:87], v[56:57], v[86:87]
	v_mul_f64 v[56:57], v[6:7], v[10:11]
	v_mul_f64 v[10:11], v[4:5], v[10:11]
	v_fmac_f64_e32 v[92:93], v[58:59], v[8:9]
	v_fma_f64 v[56:57], v[4:5], v[8:9], -v[56:57]
	v_fmac_f64_e32 v[10:11], v[6:7], v[8:9]
	v_mul_f64 v[8:9], v[6:7], v[54:55]
	v_mul_f64 v[54:55], v[4:5], v[54:55]
	v_add_f64 v[82:83], v[82:83], v[56:57]
	v_add_f64 v[84:85], v[10:11], v[84:85]
	v_fma_f64 v[56:57], v[4:5], v[52:53], -v[8:9]
	v_fmac_f64_e32 v[54:55], v[6:7], v[52:53]
	ds_read_b128 v[4:7], v68 offset:128
	ds_read_b128 v[8:11], v70 offset:4096
	v_add_f64 v[66:67], v[92:93], v[66:67]
	v_add_f64 v[88:89], v[88:89], v[90:91]
	v_add_f64 v[90:91], v[60:61], v[56:57]
	v_add_f64 v[92:93], v[54:55], v[62:63]
	ds_read_b128 v[52:55], v70 offset:4352
	ds_read_b128 v[56:59], v68 offset:144
	s_waitcnt lgkmcnt(2)
	v_mul_f64 v[60:61], v[6:7], v[10:11]
	v_fma_f64 v[60:61], v[4:5], v[8:9], -v[60:61]
	v_mul_f64 v[62:63], v[4:5], v[10:11]
	;; [unrolled: 61-line block ×13, first 2 shown]
	v_fmac_f64_e32 v[62:63], v[6:7], v[8:9]
	v_add_f64 v[64:65], v[64:65], v[60:61]
	s_waitcnt lgkmcnt(1)
	v_mul_f64 v[60:61], v[6:7], v[54:55]
	v_add_f64 v[66:67], v[62:63], v[66:67]
	v_fma_f64 v[94:95], v[4:5], v[52:53], -v[60:61]
	ds_read_b128 v[60:63], v68 offset:8672
	v_mul_f64 v[4:5], v[4:5], v[54:55]
	v_fmac_f64_e32 v[4:5], v[6:7], v[52:53]
	v_add_f64 v[88:89], v[88:89], v[94:95]
	v_add_f64 v[86:87], v[4:5], v[86:87]
	ds_read_b128 v[4:7], v68 offset:8688
	s_waitcnt lgkmcnt(1)
	v_mul_f64 v[94:95], v[62:63], v[10:11]
	v_mul_f64 v[10:11], v[60:61], v[10:11]
	v_fma_f64 v[94:95], v[60:61], v[8:9], -v[94:95]
	v_fmac_f64_e32 v[10:11], v[62:63], v[8:9]
	v_mul_f64 v[8:9], v[62:63], v[54:55]
	v_add_f64 v[82:83], v[82:83], v[94:95]
	v_add_f64 v[84:85], v[10:11], v[84:85]
	v_fma_f64 v[94:95], v[60:61], v[52:53], -v[8:9]
	v_mul_f64 v[54:55], v[60:61], v[54:55]
	ds_read_b128 v[8:11], v70 offset:15872
	v_fmac_f64_e32 v[54:55], v[62:63], v[52:53]
	v_add_f64 v[92:93], v[54:55], v[92:93]
	ds_read_b128 v[52:55], v70 offset:16128
	s_add_u32 s20, s20, 32
	s_waitcnt lgkmcnt(1)
	v_mul_f64 v[60:61], v[58:59], v[10:11]
	v_fma_f64 v[60:61], v[56:57], v[8:9], -v[60:61]
	v_add_f64 v[64:65], v[64:65], v[60:61]
	s_waitcnt lgkmcnt(0)
	v_mul_f64 v[60:61], v[58:59], v[54:55]
	v_mul_f64 v[62:63], v[56:57], v[10:11]
	v_fma_f64 v[60:61], v[56:57], v[52:53], -v[60:61]
	v_mul_f64 v[56:57], v[56:57], v[54:55]
	v_fmac_f64_e32 v[62:63], v[58:59], v[8:9]
	v_fmac_f64_e32 v[56:57], v[58:59], v[52:53]
	v_add_f64 v[66:67], v[62:63], v[66:67]
	v_add_f64 v[62:63], v[56:57], v[86:87]
	v_mul_f64 v[56:57], v[6:7], v[10:11]
	v_mul_f64 v[10:11], v[4:5], v[10:11]
	v_fma_f64 v[56:57], v[4:5], v[8:9], -v[56:57]
	v_fmac_f64_e32 v[10:11], v[6:7], v[8:9]
	v_mul_f64 v[8:9], v[6:7], v[54:55]
	v_fma_f64 v[8:9], v[4:5], v[52:53], -v[8:9]
	v_mul_f64 v[4:5], v[4:5], v[54:55]
	v_add_f64 v[90:91], v[90:91], v[94:95]
	v_fmac_f64_e32 v[4:5], v[6:7], v[52:53]
	s_addc_u32 s21, s21, 0
	s_sub_i32 s4, s20, 32
	v_add_f64 v[60:61], v[88:89], v[60:61]
	v_add_f64 v[56:57], v[82:83], v[56:57]
	;; [unrolled: 1-line block ×5, first 2 shown]
	v_lshl_add_u64 v[50:51], v[50:51], 0, s[30:31]
	v_lshl_add_u64 v[48:49], v[48:49], 0, s[26:27]
	s_cmp_ge_i32 s4, s49
	v_lshl_add_u64 v[46:47], v[46:47], 0, s[26:27]
	s_barrier
	s_cbranch_scc1 .LBB125_55
.LBB125_7:                              ;   Parent Loop BB125_4 Depth=1
                                        ; =>  This Inner Loop Header: Depth=2
	v_lshl_add_u64 v[6:7], v[14:15], 0, s[20:21]
	v_cmp_eq_u64_e64 s[4:5], s[20:21], v[36:37]
	v_cmp_gt_i64_e64 s[10:11], v[6:7], v[34:35]
	s_and_b64 s[44:45], s[24:25], s[4:5]
	s_or_b64 s[4:5], s[6:7], s[10:11]
	v_cmp_le_i64_e64 s[12:13], s[42:43], v[6:7]
	s_or_b64 s[4:5], s[4:5], s[44:45]
	v_lshl_add_u64 v[4:5], v[48:49], 0, v[38:39]
	s_nor_b64 s[4:5], s[12:13], s[4:5]
	s_and_saveexec_b64 s[14:15], s[4:5]
	s_xor_b64 s[4:5], exec, s[14:15]
	s_cbranch_execz .LBB125_9
; %bb.8:                                ;   in Loop: Header=BB125_7 Depth=2
	global_load_dwordx4 v[8:11], v[4:5], off offset:-256
	s_waitcnt vmcnt(0)
	ds_write2_b64 v69, v[8:9], v[10:11] offset1:1
.LBB125_9:                              ;   in Loop: Header=BB125_7 Depth=2
	s_or_saveexec_b64 s[4:5], s[4:5]
	s_xor_b64 s[40:41], s[44:45], -1
	s_xor_b64 exec, exec, s[4:5]
	s_cbranch_execz .LBB125_15
; %bb.10:                               ;   in Loop: Header=BB125_7 Depth=2
	s_and_saveexec_b64 s[14:15], s[40:41]
	s_xor_b64 s[14:15], exec, s[14:15]
; %bb.11:                               ;   in Loop: Header=BB125_7 Depth=2
	ds_write_b128 v69, v[78:81]
; %bb.12:                               ;   in Loop: Header=BB125_7 Depth=2
	s_andn2_saveexec_b64 s[14:15], s[14:15]
; %bb.13:                               ;   in Loop: Header=BB125_7 Depth=2
	ds_write_b128 v69, v[0:3]
; %bb.14:                               ;   in Loop: Header=BB125_7 Depth=2
	s_or_b64 exec, exec, s[14:15]
.LBB125_15:                             ;   in Loop: Header=BB125_7 Depth=2
	s_or_b64 exec, exec, s[4:5]
	v_lshl_add_u64 v[8:9], v[6:7], 0, 16
	v_cmp_eq_u64_e64 s[4:5], s[20:21], v[44:45]
	s_and_b64 s[46:47], s[24:25], s[4:5]
	v_cmp_gt_i64_e64 s[4:5], v[8:9], v[34:35]
	s_or_b64 s[4:5], s[6:7], s[4:5]
	v_cmp_le_i64_e64 s[14:15], s[42:43], v[8:9]
	s_or_b64 s[4:5], s[4:5], s[46:47]
	s_nor_b64 s[4:5], s[14:15], s[4:5]
	v_lshl_add_u64 v[8:9], v[46:47], 0, v[38:39]
	s_and_saveexec_b64 s[50:51], s[4:5]
	s_xor_b64 s[4:5], exec, s[50:51]
	s_cbranch_execz .LBB125_17
; %bb.16:                               ;   in Loop: Header=BB125_7 Depth=2
	global_load_dwordx4 v[82:85], v[8:9], off
	s_waitcnt vmcnt(0)
	ds_write2_b64 v72, v[82:83], v[84:85] offset1:1
.LBB125_17:                             ;   in Loop: Header=BB125_7 Depth=2
	s_andn2_saveexec_b64 s[4:5], s[4:5]
	s_cbranch_execz .LBB125_23
; %bb.18:                               ;   in Loop: Header=BB125_7 Depth=2
	s_xor_b64 s[46:47], s[46:47], -1
	s_and_saveexec_b64 s[50:51], s[46:47]
	s_xor_b64 s[46:47], exec, s[50:51]
; %bb.19:                               ;   in Loop: Header=BB125_7 Depth=2
	ds_write_b128 v69, v[78:81] offset:256
; %bb.20:                               ;   in Loop: Header=BB125_7 Depth=2
	s_andn2_saveexec_b64 s[46:47], s[46:47]
; %bb.21:                               ;   in Loop: Header=BB125_7 Depth=2
	ds_write_b128 v69, v[0:3] offset:256
; %bb.22:                               ;   in Loop: Header=BB125_7 Depth=2
	s_or_b64 exec, exec, s[46:47]
.LBB125_23:                             ;   in Loop: Header=BB125_7 Depth=2
	s_or_b64 exec, exec, s[4:5]
	v_cmp_eq_u64_e64 s[4:5], s[20:21], v[42:43]
	s_and_b64 s[46:47], s[24:25], s[4:5]
	v_cmp_gt_i64_e64 s[4:5], v[6:7], v[40:41]
	s_or_b64 s[4:5], s[8:9], s[4:5]
	s_or_b64 s[4:5], s[4:5], s[46:47]
	s_nor_b64 s[4:5], s[12:13], s[4:5]
	s_and_saveexec_b64 s[12:13], s[4:5]
	s_xor_b64 s[4:5], exec, s[12:13]
	s_cbranch_execz .LBB125_25
; %bb.24:                               ;   in Loop: Header=BB125_7 Depth=2
	global_load_dwordx4 v[4:7], v[4:5], off
	s_waitcnt vmcnt(0)
	ds_write2_b64 v73, v[4:5], v[6:7] offset1:1
.LBB125_25:                             ;   in Loop: Header=BB125_7 Depth=2
	s_andn2_saveexec_b64 s[4:5], s[4:5]
	s_cbranch_execz .LBB125_31
; %bb.26:                               ;   in Loop: Header=BB125_7 Depth=2
	s_xor_b64 s[12:13], s[46:47], -1
	s_and_saveexec_b64 s[46:47], s[12:13]
	s_xor_b64 s[12:13], exec, s[46:47]
; %bb.27:                               ;   in Loop: Header=BB125_7 Depth=2
	ds_write_b128 v69, v[78:81] offset:8192
; %bb.28:                               ;   in Loop: Header=BB125_7 Depth=2
	s_andn2_saveexec_b64 s[12:13], s[12:13]
; %bb.29:                               ;   in Loop: Header=BB125_7 Depth=2
	ds_write_b128 v69, v[0:3] offset:8192
; %bb.30:                               ;   in Loop: Header=BB125_7 Depth=2
	s_or_b64 exec, exec, s[12:13]
.LBB125_31:                             ;   in Loop: Header=BB125_7 Depth=2
	s_or_b64 exec, exec, s[4:5]
	s_or_b64 s[4:5], s[8:9], s[10:11]
	s_or_b64 s[4:5], s[4:5], s[44:45]
	s_nor_b64 s[4:5], s[14:15], s[4:5]
	s_and_saveexec_b64 s[10:11], s[4:5]
	s_xor_b64 s[4:5], exec, s[10:11]
	s_cbranch_execz .LBB125_33
; %bb.32:                               ;   in Loop: Header=BB125_7 Depth=2
	global_load_dwordx4 v[4:7], v[8:9], off offset:256
	s_waitcnt vmcnt(0)
	ds_write2_b64 v74, v[4:5], v[6:7] offset1:1
.LBB125_33:                             ;   in Loop: Header=BB125_7 Depth=2
	s_andn2_saveexec_b64 s[4:5], s[4:5]
	s_cbranch_execz .LBB125_39
; %bb.34:                               ;   in Loop: Header=BB125_7 Depth=2
	s_and_saveexec_b64 s[10:11], s[40:41]
	s_xor_b64 s[10:11], exec, s[10:11]
; %bb.35:                               ;   in Loop: Header=BB125_7 Depth=2
	ds_write_b128 v69, v[78:81] offset:8448
; %bb.36:                               ;   in Loop: Header=BB125_7 Depth=2
	s_andn2_saveexec_b64 s[10:11], s[10:11]
; %bb.37:                               ;   in Loop: Header=BB125_7 Depth=2
	ds_write_b128 v69, v[0:3] offset:8448
; %bb.38:                               ;   in Loop: Header=BB125_7 Depth=2
	s_or_b64 exec, exec, s[10:11]
.LBB125_39:                             ;   in Loop: Header=BB125_7 Depth=2
	s_or_b64 exec, exec, s[4:5]
	v_lshl_add_u64 v[4:5], v[12:13], 0, s[20:21]
	v_cmp_le_i64_e64 s[10:11], s[42:43], v[4:5]
	v_lshl_add_u64 v[6:7], v[50:51], 0, v[26:27]
	s_nor_b64 s[4:5], s[10:11], vcc
	s_and_saveexec_b64 s[12:13], s[4:5]
	s_xor_b64 s[4:5], exec, s[12:13]
	s_cbranch_execz .LBB125_41
; %bb.40:                               ;   in Loop: Header=BB125_7 Depth=2
	global_load_dwordx4 v[8:11], v[6:7], off offset:-256
	s_waitcnt vmcnt(0)
	ds_write2_b64 v71, v[8:9], v[10:11] offset1:1
.LBB125_41:                             ;   in Loop: Header=BB125_7 Depth=2
	s_andn2_saveexec_b64 s[4:5], s[4:5]
; %bb.42:                               ;   in Loop: Header=BB125_7 Depth=2
	ds_write_b128 v71, v[78:81]
; %bb.43:                               ;   in Loop: Header=BB125_7 Depth=2
	s_or_b64 exec, exec, s[4:5]
	s_nor_b64 s[4:5], s[10:11], s[0:1]
	s_and_saveexec_b64 s[10:11], s[4:5]
	s_xor_b64 s[4:5], exec, s[10:11]
	s_cbranch_execz .LBB125_45
; %bb.44:                               ;   in Loop: Header=BB125_7 Depth=2
	global_load_dwordx4 v[6:9], v[6:7], off
	s_waitcnt vmcnt(0)
	ds_write2_b64 v75, v[6:7], v[8:9] offset1:1
.LBB125_45:                             ;   in Loop: Header=BB125_7 Depth=2
	s_andn2_saveexec_b64 s[4:5], s[4:5]
; %bb.46:                               ;   in Loop: Header=BB125_7 Depth=2
	ds_write_b128 v71, v[78:81] offset:256
; %bb.47:                               ;   in Loop: Header=BB125_7 Depth=2
	s_or_b64 exec, exec, s[4:5]
	v_cmp_le_i64_e64 s[10:11], s[34:35], v[4:5]
	v_lshl_add_u64 v[4:5], v[50:51], 0, v[32:33]
	s_nor_b64 s[4:5], s[10:11], vcc
	s_and_saveexec_b64 s[12:13], s[4:5]
	s_xor_b64 s[4:5], exec, s[12:13]
	s_cbranch_execz .LBB125_49
; %bb.48:                               ;   in Loop: Header=BB125_7 Depth=2
	global_load_dwordx4 v[6:9], v[4:5], off
	s_waitcnt vmcnt(0)
	ds_write2_b64 v76, v[6:7], v[8:9] offset1:1
.LBB125_49:                             ;   in Loop: Header=BB125_7 Depth=2
	s_andn2_saveexec_b64 s[4:5], s[4:5]
; %bb.50:                               ;   in Loop: Header=BB125_7 Depth=2
	ds_write_b128 v71, v[78:81] offset:8192
; %bb.51:                               ;   in Loop: Header=BB125_7 Depth=2
	s_or_b64 exec, exec, s[4:5]
	s_nor_b64 s[4:5], s[10:11], s[0:1]
	s_and_saveexec_b64 s[10:11], s[4:5]
	s_xor_b64 s[4:5], exec, s[10:11]
	s_cbranch_execz .LBB125_53
; %bb.52:                               ;   in Loop: Header=BB125_7 Depth=2
	global_load_dwordx4 v[4:7], v[4:5], off offset:256
	s_waitcnt vmcnt(0)
	ds_write2_b64 v77, v[4:5], v[6:7] offset1:1
.LBB125_53:                             ;   in Loop: Header=BB125_7 Depth=2
	s_andn2_saveexec_b64 s[4:5], s[4:5]
	s_cbranch_execz .LBB125_6
; %bb.54:                               ;   in Loop: Header=BB125_7 Depth=2
	ds_write_b128 v71, v[78:81] offset:8448
	s_branch .LBB125_6
.LBB125_55:                             ;   in Loop: Header=BB125_4 Depth=1
	v_mul_lo_u32 v6, s29, v34
	v_mul_lo_u32 v7, s28, v35
	v_mad_u64_u32 v[4:5], s[4:5], s28, v34, 0
	v_cmp_gt_i32_e64 s[6:7], s42, v34
	v_add3_u32 v5, v5, v7, v6
	v_lshl_add_u64 v[4:5], v[4:5], 4, s[22:23]
	s_and_b64 s[8:9], s[16:17], s[6:7]
	s_and_saveexec_b64 s[4:5], s[8:9]
	s_cbranch_execz .LBB125_57
; %bb.56:                               ;   in Loop: Header=BB125_4 Depth=1
	v_lshl_add_u64 v[10:11], v[16:17], 4, v[4:5]
	global_load_dwordx4 v[6:9], v[10:11], off
	v_mul_f64 v[36:37], s[38:39], v[66:67]
	v_mul_f64 v[38:39], s[36:37], v[66:67]
	v_fma_f64 v[36:37], s[36:37], v[64:65], -v[36:37]
	v_fmac_f64_e32 v[38:39], s[38:39], v[64:65]
	s_waitcnt vmcnt(0)
	v_add_f64 v[6:7], v[6:7], v[36:37]
	v_add_f64 v[8:9], v[38:39], v[8:9]
	global_store_dwordx4 v[10:11], v[6:9], off
.LBB125_57:                             ;   in Loop: Header=BB125_4 Depth=1
	s_or_b64 exec, exec, s[4:5]
	s_and_b64 s[6:7], s[18:19], s[6:7]
	s_and_saveexec_b64 s[4:5], s[6:7]
	s_cbranch_execz .LBB125_59
; %bb.58:                               ;   in Loop: Header=BB125_4 Depth=1
	v_lshl_add_u64 v[8:9], v[20:21], 4, v[4:5]
	global_load_dwordx4 v[4:7], v[8:9], off
	v_mul_f64 v[10:11], s[38:39], v[62:63]
	v_mul_f64 v[36:37], s[36:37], v[62:63]
	v_fma_f64 v[10:11], s[36:37], v[60:61], -v[10:11]
	v_fmac_f64_e32 v[36:37], s[38:39], v[60:61]
	s_waitcnt vmcnt(0)
	v_add_f64 v[4:5], v[4:5], v[10:11]
	v_add_f64 v[6:7], v[36:37], v[6:7]
	global_store_dwordx4 v[8:9], v[4:7], off
.LBB125_59:                             ;   in Loop: Header=BB125_4 Depth=1
	s_or_b64 exec, exec, s[4:5]
	s_nop 0
	v_add_u32_e32 v4, 16, v34
	v_ashrrev_i32_e32 v5, 31, v4
	v_cmp_gt_i32_e64 s[6:7], s42, v4
	v_mul_lo_u32 v6, s28, v5
	v_mul_lo_u32 v7, s29, v4
	v_mad_u64_u32 v[4:5], s[4:5], s28, v4, 0
	v_add3_u32 v5, v5, v6, v7
	v_lshl_add_u64 v[4:5], v[4:5], 4, s[22:23]
	s_and_b64 s[8:9], s[16:17], s[6:7]
	s_and_saveexec_b64 s[4:5], s[8:9]
	s_cbranch_execz .LBB125_61
; %bb.60:                               ;   in Loop: Header=BB125_4 Depth=1
	v_lshl_add_u64 v[10:11], v[16:17], 4, v[4:5]
	global_load_dwordx4 v[6:9], v[10:11], off
	v_mul_f64 v[34:35], s[38:39], v[58:59]
	v_mul_f64 v[36:37], s[36:37], v[58:59]
	v_fma_f64 v[34:35], s[36:37], v[56:57], -v[34:35]
	v_fmac_f64_e32 v[36:37], s[38:39], v[56:57]
	s_waitcnt vmcnt(0)
	v_add_f64 v[6:7], v[6:7], v[34:35]
	v_add_f64 v[8:9], v[36:37], v[8:9]
	global_store_dwordx4 v[10:11], v[6:9], off
.LBB125_61:                             ;   in Loop: Header=BB125_4 Depth=1
	s_or_b64 exec, exec, s[4:5]
	s_and_b64 s[6:7], s[18:19], s[6:7]
	s_and_saveexec_b64 s[4:5], s[6:7]
	s_cbranch_execz .LBB125_3
; %bb.62:                               ;   in Loop: Header=BB125_4 Depth=1
	v_lshl_add_u64 v[8:9], v[20:21], 4, v[4:5]
	global_load_dwordx4 v[4:7], v[8:9], off
	v_mul_f64 v[10:11], s[38:39], v[52:53]
	v_mul_f64 v[34:35], s[36:37], v[52:53]
	v_fma_f64 v[10:11], s[36:37], v[54:55], -v[10:11]
	v_fmac_f64_e32 v[34:35], s[38:39], v[54:55]
	s_waitcnt vmcnt(0)
	v_add_f64 v[4:5], v[4:5], v[10:11]
	v_add_f64 v[6:7], v[34:35], v[6:7]
	global_store_dwordx4 v[8:9], v[4:7], off
	s_branch .LBB125_3
.LBB125_63:
	s_endpgm
	.section	.rodata,"a",@progbits
	.p2align	6, 0x0
	.amdhsa_kernel _ZL30rocblas_trmm_outofplace_kernelI19rocblas_complex_numIdELi32ELi2ELb0ELb0ELb1ELb0ES1_KS1_S1_Ev17rocblas_diagonal_iiT6_lPT7_lllS6_lllPT8_llli
		.amdhsa_group_segment_fixed_size 32768
		.amdhsa_private_segment_fixed_size 0
		.amdhsa_kernarg_size 400
		.amdhsa_user_sgpr_count 2
		.amdhsa_user_sgpr_dispatch_ptr 0
		.amdhsa_user_sgpr_queue_ptr 0
		.amdhsa_user_sgpr_kernarg_segment_ptr 1
		.amdhsa_user_sgpr_dispatch_id 0
		.amdhsa_user_sgpr_kernarg_preload_length 0
		.amdhsa_user_sgpr_kernarg_preload_offset 0
		.amdhsa_user_sgpr_private_segment_size 0
		.amdhsa_uses_dynamic_stack 0
		.amdhsa_enable_private_segment 0
		.amdhsa_system_sgpr_workgroup_id_x 1
		.amdhsa_system_sgpr_workgroup_id_y 1
		.amdhsa_system_sgpr_workgroup_id_z 1
		.amdhsa_system_sgpr_workgroup_info 0
		.amdhsa_system_vgpr_workitem_id 1
		.amdhsa_next_free_vgpr 104
		.amdhsa_next_free_sgpr 52
		.amdhsa_accum_offset 104
		.amdhsa_reserve_vcc 1
		.amdhsa_float_round_mode_32 0
		.amdhsa_float_round_mode_16_64 0
		.amdhsa_float_denorm_mode_32 3
		.amdhsa_float_denorm_mode_16_64 3
		.amdhsa_dx10_clamp 1
		.amdhsa_ieee_mode 1
		.amdhsa_fp16_overflow 0
		.amdhsa_tg_split 0
		.amdhsa_exception_fp_ieee_invalid_op 0
		.amdhsa_exception_fp_denorm_src 0
		.amdhsa_exception_fp_ieee_div_zero 0
		.amdhsa_exception_fp_ieee_overflow 0
		.amdhsa_exception_fp_ieee_underflow 0
		.amdhsa_exception_fp_ieee_inexact 0
		.amdhsa_exception_int_div_zero 0
	.end_amdhsa_kernel
	.section	.text._ZL30rocblas_trmm_outofplace_kernelI19rocblas_complex_numIdELi32ELi2ELb0ELb0ELb1ELb0ES1_KS1_S1_Ev17rocblas_diagonal_iiT6_lPT7_lllS6_lllPT8_llli,"axG",@progbits,_ZL30rocblas_trmm_outofplace_kernelI19rocblas_complex_numIdELi32ELi2ELb0ELb0ELb1ELb0ES1_KS1_S1_Ev17rocblas_diagonal_iiT6_lPT7_lllS6_lllPT8_llli,comdat
.Lfunc_end125:
	.size	_ZL30rocblas_trmm_outofplace_kernelI19rocblas_complex_numIdELi32ELi2ELb0ELb0ELb1ELb0ES1_KS1_S1_Ev17rocblas_diagonal_iiT6_lPT7_lllS6_lllPT8_llli, .Lfunc_end125-_ZL30rocblas_trmm_outofplace_kernelI19rocblas_complex_numIdELi32ELi2ELb0ELb0ELb1ELb0ES1_KS1_S1_Ev17rocblas_diagonal_iiT6_lPT7_lllS6_lllPT8_llli
                                        ; -- End function
	.set _ZL30rocblas_trmm_outofplace_kernelI19rocblas_complex_numIdELi32ELi2ELb0ELb0ELb1ELb0ES1_KS1_S1_Ev17rocblas_diagonal_iiT6_lPT7_lllS6_lllPT8_llli.num_vgpr, 104
	.set _ZL30rocblas_trmm_outofplace_kernelI19rocblas_complex_numIdELi32ELi2ELb0ELb0ELb1ELb0ES1_KS1_S1_Ev17rocblas_diagonal_iiT6_lPT7_lllS6_lllPT8_llli.num_agpr, 0
	.set _ZL30rocblas_trmm_outofplace_kernelI19rocblas_complex_numIdELi32ELi2ELb0ELb0ELb1ELb0ES1_KS1_S1_Ev17rocblas_diagonal_iiT6_lPT7_lllS6_lllPT8_llli.numbered_sgpr, 52
	.set _ZL30rocblas_trmm_outofplace_kernelI19rocblas_complex_numIdELi32ELi2ELb0ELb0ELb1ELb0ES1_KS1_S1_Ev17rocblas_diagonal_iiT6_lPT7_lllS6_lllPT8_llli.num_named_barrier, 0
	.set _ZL30rocblas_trmm_outofplace_kernelI19rocblas_complex_numIdELi32ELi2ELb0ELb0ELb1ELb0ES1_KS1_S1_Ev17rocblas_diagonal_iiT6_lPT7_lllS6_lllPT8_llli.private_seg_size, 0
	.set _ZL30rocblas_trmm_outofplace_kernelI19rocblas_complex_numIdELi32ELi2ELb0ELb0ELb1ELb0ES1_KS1_S1_Ev17rocblas_diagonal_iiT6_lPT7_lllS6_lllPT8_llli.uses_vcc, 1
	.set _ZL30rocblas_trmm_outofplace_kernelI19rocblas_complex_numIdELi32ELi2ELb0ELb0ELb1ELb0ES1_KS1_S1_Ev17rocblas_diagonal_iiT6_lPT7_lllS6_lllPT8_llli.uses_flat_scratch, 0
	.set _ZL30rocblas_trmm_outofplace_kernelI19rocblas_complex_numIdELi32ELi2ELb0ELb0ELb1ELb0ES1_KS1_S1_Ev17rocblas_diagonal_iiT6_lPT7_lllS6_lllPT8_llli.has_dyn_sized_stack, 0
	.set _ZL30rocblas_trmm_outofplace_kernelI19rocblas_complex_numIdELi32ELi2ELb0ELb0ELb1ELb0ES1_KS1_S1_Ev17rocblas_diagonal_iiT6_lPT7_lllS6_lllPT8_llli.has_recursion, 0
	.set _ZL30rocblas_trmm_outofplace_kernelI19rocblas_complex_numIdELi32ELi2ELb0ELb0ELb1ELb0ES1_KS1_S1_Ev17rocblas_diagonal_iiT6_lPT7_lllS6_lllPT8_llli.has_indirect_call, 0
	.section	.AMDGPU.csdata,"",@progbits
; Kernel info:
; codeLenInByte = 9072
; TotalNumSgprs: 58
; NumVgprs: 104
; NumAgprs: 0
; TotalNumVgprs: 104
; ScratchSize: 0
; MemoryBound: 0
; FloatMode: 240
; IeeeMode: 1
; LDSByteSize: 32768 bytes/workgroup (compile time only)
; SGPRBlocks: 7
; VGPRBlocks: 12
; NumSGPRsForWavesPerEU: 58
; NumVGPRsForWavesPerEU: 104
; AccumOffset: 104
; Occupancy: 4
; WaveLimiterHint : 0
; COMPUTE_PGM_RSRC2:SCRATCH_EN: 0
; COMPUTE_PGM_RSRC2:USER_SGPR: 2
; COMPUTE_PGM_RSRC2:TRAP_HANDLER: 0
; COMPUTE_PGM_RSRC2:TGID_X_EN: 1
; COMPUTE_PGM_RSRC2:TGID_Y_EN: 1
; COMPUTE_PGM_RSRC2:TGID_Z_EN: 1
; COMPUTE_PGM_RSRC2:TIDIG_COMP_CNT: 1
; COMPUTE_PGM_RSRC3_GFX90A:ACCUM_OFFSET: 25
; COMPUTE_PGM_RSRC3_GFX90A:TG_SPLIT: 0
	.section	.text._ZL30rocblas_trmm_outofplace_kernelI19rocblas_complex_numIdELi32ELi2ELb0ELb1ELb1ELb0EPKS1_S2_S1_Ev17rocblas_diagonal_iiT6_lPT7_lllS7_lllPT8_llli,"axG",@progbits,_ZL30rocblas_trmm_outofplace_kernelI19rocblas_complex_numIdELi32ELi2ELb0ELb1ELb1ELb0EPKS1_S2_S1_Ev17rocblas_diagonal_iiT6_lPT7_lllS7_lllPT8_llli,comdat
	.globl	_ZL30rocblas_trmm_outofplace_kernelI19rocblas_complex_numIdELi32ELi2ELb0ELb1ELb1ELb0EPKS1_S2_S1_Ev17rocblas_diagonal_iiT6_lPT7_lllS7_lllPT8_llli ; -- Begin function _ZL30rocblas_trmm_outofplace_kernelI19rocblas_complex_numIdELi32ELi2ELb0ELb1ELb1ELb0EPKS1_S2_S1_Ev17rocblas_diagonal_iiT6_lPT7_lllS7_lllPT8_llli
	.p2align	8
	.type	_ZL30rocblas_trmm_outofplace_kernelI19rocblas_complex_numIdELi32ELi2ELb0ELb1ELb1ELb0EPKS1_S2_S1_Ev17rocblas_diagonal_iiT6_lPT7_lllS7_lllPT8_llli,@function
_ZL30rocblas_trmm_outofplace_kernelI19rocblas_complex_numIdELi32ELi2ELb0ELb1ELb1ELb0EPKS1_S2_S1_Ev17rocblas_diagonal_iiT6_lPT7_lllS7_lllPT8_llli: ; @_ZL30rocblas_trmm_outofplace_kernelI19rocblas_complex_numIdELi32ELi2ELb0ELb1ELb1ELb0EPKS1_S2_S1_Ev17rocblas_diagonal_iiT6_lPT7_lllS7_lllPT8_llli
; %bb.0:
	s_load_dwordx16 s[16:31], s[0:1], 0x10
	s_waitcnt lgkmcnt(0)
	s_mul_i32 s5, s19, s4
	s_mul_hi_u32 s6, s18, s4
	s_add_i32 s7, s6, s5
	s_mul_i32 s6, s18, s4
	s_lshl_b64 s[6:7], s[6:7], 4
	s_add_u32 s6, s16, s6
	s_addc_u32 s7, s17, s7
	s_load_dwordx4 s[44:47], s[6:7], 0x0
	s_waitcnt lgkmcnt(0)
	v_cmp_eq_f64_e64 s[6:7], s[44:45], 0
	v_cmp_eq_f64_e64 s[8:9], s[46:47], 0
	s_and_b64 s[6:7], s[6:7], s[8:9]
	s_and_b64 vcc, exec, s[6:7]
	s_cbranch_vccnz .LBB126_64
; %bb.1:
	s_load_dwordx4 s[48:51], s[0:1], 0x0
	s_waitcnt lgkmcnt(0)
	s_add_i32 s5, s50, -1
	s_ashr_i32 s6, s5, 31
	s_lshr_b32 s6, s6, 27
	s_add_i32 s5, s5, s6
	s_ashr_i32 s33, s5, 5
	s_cmp_gt_i32 s3, s33
	s_cbranch_scc1 .LBB126_64
; %bb.2:
	s_load_dwordx4 s[52:55], s[0:1], 0x70
	s_load_dwordx8 s[36:43], s[0:1], 0x50
	s_load_dword s66, s[0:1], 0x8c
	v_and_b32_e32 v2, 0x3ff, v0
	v_bfe_u32 v66, v0, 10, 10
	v_lshl_add_u32 v16, s2, 5, v2
	s_waitcnt lgkmcnt(0)
	s_mul_i32 s0, s55, s4
	s_mul_hi_u32 s1, s54, s4
	s_add_i32 s1, s1, s0
	s_mul_i32 s0, s54, s4
	s_lshl_b64 s[0:1], s[0:1], 4
	s_add_u32 s5, s40, s0
	s_addc_u32 s6, s41, s1
	s_lshl_b64 s[0:1], s[42:43], 4
	s_add_u32 s34, s5, s0
	s_addc_u32 s35, s6, s1
	s_cmpk_eq_i32 s48, 0x84
	s_cselect_b64 s[40:41], -1, 0
	s_ashr_i32 s51, s50, 31
	s_ashr_i32 s0, s49, 31
	s_lshl_b64 s[42:43], s[24:25], 9
	s_lshl_b64 s[54:55], s[36:37], 9
	s_add_u32 s56, s50, -16
	s_addc_u32 s57, s51, -1
	s_lshl_b32 s5, s3, 5
	s_lshl_b32 s2, s66, 5
	v_add_u32_e32 v20, s5, v2
	v_add_u32_e32 v22, s5, v66
	s_add_u32 s58, s28, 0x100
	s_mul_i32 s5, s39, s4
	s_mul_hi_u32 s6, s38, s4
	s_addc_u32 s59, s29, 0
	s_add_i32 s7, s6, s5
	s_mul_i32 s6, s38, s4
	s_lshl_b64 s[60:61], s[36:37], 4
	s_lshl_b64 s[6:7], s[6:7], 4
	s_lshl_b64 s[8:9], s[30:31], 4
	s_add_u32 s6, s6, s8
	v_ashrrev_i32_e32 v17, 31, v16
	s_addc_u32 s7, s7, s9
	v_lshl_add_u64 v[24:25], v[16:17], 4, s[6:7]
	s_mul_i32 s5, s27, s4
	s_mul_hi_u32 s6, s26, s4
	s_add_i32 s5, s6, s5
	s_mul_i32 s4, s26, s4
	s_lshl_b64 s[4:5], s[4:5], 4
	s_lshl_b64 s[6:7], s[22:23], 4
	s_add_u32 s4, s4, s6
	s_addc_u32 s5, s5, s7
	v_lshlrev_b32_e32 v3, 4, v2
	v_mov_b32_e32 v1, s0
	v_sub_co_u32_e32 v0, vcc, s49, v16
	s_add_u32 s20, s20, s4
	v_lshlrev_b32_e32 v67, 9, v66
	v_subb_co_u32_e32 v1, vcc, v1, v17, vcc
	v_or_b32_e32 v69, 0x4000, v3
	s_addc_u32 s21, s21, s5
	v_add_u32_e32 v70, v69, v67
	v_cmp_gt_i64_e32 vcc, 1, v[0:1]
	v_cmp_gt_i64_e64 s[0:1], 17, v[0:1]
	v_add_u32_e32 v18, 16, v16
	s_add_u32 s22, s20, 0x100
	v_mov_b32_e32 v0, 0
	v_add_u32_e32 v68, v67, v3
	v_add_u32_e32 v71, 0x2100, v70
	v_cmp_gt_i32_e64 s[16:17], s49, v16
	v_cmp_gt_i32_e64 s[18:19], s49, v18
	v_ashrrev_i32_e32 v19, 31, v18
	s_mov_b64 s[48:49], 0x100
	s_addc_u32 s23, s21, 0
	s_lshl_b64 s[26:27], s[24:25], 4
	v_mov_b64_e32 v[26:27], 0x100
	v_mov_b32_e32 v1, v0
	v_mov_b32_e32 v2, v0
	;; [unrolled: 1-line block ×7, first 2 shown]
	s_branch .LBB126_4
.LBB126_3:                              ;   in Loop: Header=BB126_4 Depth=1
	s_or_b64 exec, exec, s[4:5]
	s_add_i32 s3, s66, s3
	v_add_u32_e32 v20, s2, v20
	s_cmp_le_i32 s3, s33
	v_add_u32_e32 v22, s2, v22
	s_cbranch_scc0 .LBB126_64
.LBB126_4:                              ; =>This Loop Header: Depth=1
                                        ;     Child Loop BB126_7 Depth 2
	s_lshl_b32 s4, s3, 5
	v_add_u32_e32 v28, s4, v66
	s_sub_i32 s67, s50, s4
	v_ashrrev_i32_e32 v21, 31, v20
	v_ashrrev_i32_e32 v23, 31, v22
	s_cmp_lt_i32 s67, 1
	v_ashrrev_i32_e32 v29, 31, v28
	s_cbranch_scc1 .LBB126_55
; %bb.5:                                ;   in Loop: Header=BB126_4 Depth=1
	v_sub_co_u32_e64 v30, s[4:5], v22, v20
	v_mov_b64_e32 v[8:9], s[58:59]
	s_nop 0
	v_subb_co_u32_e64 v31, s[4:5], v23, v21, s[4:5]
	v_mad_u64_u32 v[32:33], s[4:5], s60, v22, v[8:9]
	v_mul_lo_u32 v8, s60, v23
	v_mul_lo_u32 v9, s61, v22
	v_add3_u32 v33, v9, v33, v8
	v_mov_b64_e32 v[8:9], s[22:23]
	v_mad_u64_u32 v[36:37], s[4:5], s26, v20, v[8:9]
	v_mul_lo_u32 v8, s26, v21
	v_mul_lo_u32 v9, s27, v20
	v_add3_u32 v37, v9, v37, v8
	v_lshl_add_u64 v[8:9], v[20:21], 4, v[26:27]
	v_mov_b64_e32 v[10:11], s[20:21]
	v_lshlrev_b64 v[34:35], 4, v[22:23]
	v_mul_lo_u32 v9, s24, v9
	v_mul_lo_u32 v12, s25, v8
	v_mad_u64_u32 v[38:39], s[4:5], s24, v8, v[10:11]
	v_add3_u32 v39, v12, v39, v9
	v_lshl_add_u64 v[8:9], v[34:35], 0, s[48:49]
	v_mov_b64_e32 v[10:11], s[28:29]
	v_mul_lo_u32 v9, s36, v9
	v_mul_lo_u32 v12, s37, v8
	v_mad_u64_u32 v[40:41], s[4:5], s36, v8, v[10:11]
	v_lshl_add_u64 v[42:43], v[28:29], 0, 16
	v_add3_u32 v41, v12, v41, v9
	v_cmp_le_i32_e64 s[6:7], s50, v28
	v_cmp_le_i64_e64 s[8:9], s[50:51], v[42:43]
	v_lshl_add_u64 v[44:45], v[30:31], 0, 16
	v_lshl_add_u64 v[46:47], v[30:31], 0, -16
	v_mov_b64_e32 v[50:51], 0
	s_mov_b64 s[30:31], 0
	v_mov_b64_e32 v[48:49], v[24:25]
	v_mov_b64_e32 v[52:53], 0
	;; [unrolled: 1-line block ×8, first 2 shown]
	s_branch .LBB126_7
.LBB126_6:                              ;   in Loop: Header=BB126_7 Depth=2
	s_or_b64 exec, exec, s[4:5]
	s_waitcnt lgkmcnt(0)
	s_barrier
	ds_read_b128 v[72:75], v69
	ds_read_b128 v[76:79], v67
	ds_read_b128 v[80:83], v67 offset:16
	ds_read_b128 v[12:15], v67 offset:32
	;; [unrolled: 1-line block ×4, first 2 shown]
	s_waitcnt lgkmcnt(4)
	v_mul_f64 v[88:89], v[78:79], v[74:75]
	v_fma_f64 v[88:89], v[76:77], v[72:73], -v[88:89]
	v_mul_f64 v[90:91], v[76:77], v[74:75]
	v_fmac_f64_e32 v[90:91], v[78:79], v[72:73]
	v_add_f64 v[88:89], v[62:63], v[88:89]
	s_waitcnt lgkmcnt(0)
	v_mul_f64 v[62:63], v[78:79], v[86:87]
	v_add_f64 v[90:91], v[90:91], v[64:65]
	v_fma_f64 v[92:93], v[76:77], v[84:85], -v[62:63]
	ds_read_b128 v[62:65], v67 offset:8192
	v_mul_f64 v[76:77], v[76:77], v[86:87]
	v_fmac_f64_e32 v[76:77], v[78:79], v[84:85]
	v_add_f64 v[78:79], v[58:59], v[92:93]
	v_add_f64 v[76:77], v[76:77], v[60:61]
	ds_read_b128 v[58:61], v67 offset:8208
	s_waitcnt lgkmcnt(1)
	v_mul_f64 v[92:93], v[64:65], v[74:75]
	v_fma_f64 v[92:93], v[62:63], v[72:73], -v[92:93]
	v_mul_f64 v[74:75], v[62:63], v[74:75]
	v_fmac_f64_e32 v[74:75], v[64:65], v[72:73]
	v_add_f64 v[72:73], v[54:55], v[92:93]
	v_mul_f64 v[54:55], v[64:65], v[86:87]
	v_add_f64 v[74:75], v[74:75], v[56:57]
	v_fma_f64 v[92:93], v[62:63], v[84:85], -v[54:55]
	v_mul_f64 v[62:63], v[62:63], v[86:87]
	ds_read_b128 v[54:57], v69 offset:512
	v_fmac_f64_e32 v[62:63], v[64:65], v[84:85]
	v_add_f64 v[64:65], v[52:53], v[92:93]
	v_add_f64 v[62:63], v[62:63], v[50:51]
	ds_read_b128 v[50:53], v69 offset:768
	s_waitcnt lgkmcnt(1)
	v_mul_f64 v[84:85], v[82:83], v[56:57]
	v_fma_f64 v[84:85], v[80:81], v[54:55], -v[84:85]
	v_add_f64 v[84:85], v[88:89], v[84:85]
	v_mul_f64 v[86:87], v[80:81], v[56:57]
	s_waitcnt lgkmcnt(0)
	v_mul_f64 v[88:89], v[82:83], v[52:53]
	v_fma_f64 v[88:89], v[80:81], v[50:51], -v[88:89]
	v_mul_f64 v[80:81], v[80:81], v[52:53]
	v_fmac_f64_e32 v[80:81], v[82:83], v[50:51]
	v_add_f64 v[76:77], v[80:81], v[76:77]
	v_mul_f64 v[80:81], v[60:61], v[56:57]
	v_mul_f64 v[56:57], v[58:59], v[56:57]
	v_fmac_f64_e32 v[86:87], v[82:83], v[54:55]
	v_fma_f64 v[80:81], v[58:59], v[54:55], -v[80:81]
	v_fmac_f64_e32 v[56:57], v[60:61], v[54:55]
	v_mul_f64 v[54:55], v[60:61], v[52:53]
	v_add_f64 v[74:75], v[56:57], v[74:75]
	v_fma_f64 v[56:57], v[58:59], v[50:51], -v[54:55]
	v_mul_f64 v[58:59], v[58:59], v[52:53]
	ds_read_b128 v[52:55], v69 offset:1024
	v_fmac_f64_e32 v[58:59], v[60:61], v[50:51]
	v_add_f64 v[72:73], v[72:73], v[80:81]
	v_add_f64 v[64:65], v[64:65], v[56:57]
	;; [unrolled: 1-line block ×3, first 2 shown]
	ds_read_b128 v[56:59], v69 offset:1280
	s_waitcnt lgkmcnt(1)
	v_mul_f64 v[50:51], v[14:15], v[54:55]
	v_mul_f64 v[60:61], v[12:13], v[54:55]
	v_add_f64 v[86:87], v[86:87], v[90:91]
	v_fma_f64 v[50:51], v[12:13], v[52:53], -v[50:51]
	v_fmac_f64_e32 v[60:61], v[14:15], v[52:53]
	v_add_f64 v[82:83], v[84:85], v[50:51]
	v_add_f64 v[84:85], v[60:61], v[86:87]
	ds_read_b128 v[60:63], v67 offset:8224
	s_waitcnt lgkmcnt(1)
	v_mul_f64 v[50:51], v[14:15], v[58:59]
	v_fma_f64 v[50:51], v[12:13], v[56:57], -v[50:51]
	v_mul_f64 v[12:13], v[12:13], v[58:59]
	v_add_f64 v[78:79], v[78:79], v[88:89]
	v_fmac_f64_e32 v[12:13], v[14:15], v[56:57]
	v_add_f64 v[78:79], v[78:79], v[50:51]
	v_add_f64 v[76:77], v[12:13], v[76:77]
	ds_read_b128 v[12:15], v67 offset:8240
	s_waitcnt lgkmcnt(1)
	v_mul_f64 v[50:51], v[62:63], v[54:55]
	v_fma_f64 v[50:51], v[60:61], v[52:53], -v[50:51]
	v_mul_f64 v[54:55], v[60:61], v[54:55]
	v_fmac_f64_e32 v[54:55], v[62:63], v[52:53]
	v_add_f64 v[72:73], v[72:73], v[50:51]
	v_mul_f64 v[50:51], v[62:63], v[58:59]
	v_add_f64 v[74:75], v[54:55], v[74:75]
	v_fma_f64 v[54:55], v[60:61], v[56:57], -v[50:51]
	v_mul_f64 v[58:59], v[60:61], v[58:59]
	ds_read_b128 v[50:53], v69 offset:1536
	v_fmac_f64_e32 v[58:59], v[62:63], v[56:57]
	v_add_f64 v[60:61], v[64:65], v[54:55]
	ds_read_b128 v[54:57], v69 offset:1792
	v_add_f64 v[58:59], v[58:59], v[80:81]
	s_waitcnt lgkmcnt(1)
	v_mul_f64 v[62:63], v[10:11], v[52:53]
	v_fma_f64 v[62:63], v[8:9], v[50:51], -v[62:63]
	v_mul_f64 v[64:65], v[8:9], v[52:53]
	s_waitcnt lgkmcnt(0)
	v_mul_f64 v[80:81], v[10:11], v[56:57]
	v_fma_f64 v[80:81], v[8:9], v[54:55], -v[80:81]
	v_mul_f64 v[8:9], v[8:9], v[56:57]
	v_fmac_f64_e32 v[8:9], v[10:11], v[54:55]
	v_add_f64 v[76:77], v[8:9], v[76:77]
	v_mul_f64 v[8:9], v[14:15], v[52:53]
	v_fmac_f64_e32 v[64:65], v[10:11], v[50:51]
	v_fma_f64 v[8:9], v[12:13], v[50:51], -v[8:9]
	v_mul_f64 v[10:11], v[12:13], v[52:53]
	v_fmac_f64_e32 v[10:11], v[14:15], v[50:51]
	v_add_f64 v[72:73], v[72:73], v[8:9]
	v_mul_f64 v[8:9], v[14:15], v[56:57]
	v_mul_f64 v[52:53], v[12:13], v[56:57]
	v_add_f64 v[74:75], v[10:11], v[74:75]
	v_fma_f64 v[50:51], v[12:13], v[54:55], -v[8:9]
	v_fmac_f64_e32 v[52:53], v[14:15], v[54:55]
	ds_read_b128 v[8:11], v67 offset:64
	ds_read_b128 v[12:15], v69 offset:2048
	v_add_f64 v[62:63], v[82:83], v[62:63]
	v_add_f64 v[78:79], v[78:79], v[80:81]
	;; [unrolled: 1-line block ×4, first 2 shown]
	ds_read_b128 v[50:53], v69 offset:2304
	ds_read_b128 v[54:57], v67 offset:80
	s_waitcnt lgkmcnt(2)
	v_mul_f64 v[58:59], v[10:11], v[14:15]
	v_fma_f64 v[58:59], v[8:9], v[12:13], -v[58:59]
	v_mul_f64 v[60:61], v[8:9], v[14:15]
	v_add_f64 v[64:65], v[64:65], v[84:85]
	v_fmac_f64_e32 v[60:61], v[10:11], v[12:13]
	v_add_f64 v[62:63], v[62:63], v[58:59]
	s_waitcnt lgkmcnt(1)
	v_mul_f64 v[58:59], v[10:11], v[52:53]
	v_add_f64 v[64:65], v[60:61], v[64:65]
	v_fma_f64 v[84:85], v[8:9], v[50:51], -v[58:59]
	ds_read_b128 v[58:61], v67 offset:8256
	v_mul_f64 v[8:9], v[8:9], v[52:53]
	v_fmac_f64_e32 v[8:9], v[10:11], v[50:51]
	v_add_f64 v[78:79], v[78:79], v[84:85]
	v_add_f64 v[76:77], v[8:9], v[76:77]
	ds_read_b128 v[8:11], v67 offset:8272
	s_waitcnt lgkmcnt(1)
	v_mul_f64 v[84:85], v[60:61], v[14:15]
	v_mul_f64 v[14:15], v[58:59], v[14:15]
	v_fma_f64 v[84:85], v[58:59], v[12:13], -v[84:85]
	v_fmac_f64_e32 v[14:15], v[60:61], v[12:13]
	v_mul_f64 v[12:13], v[60:61], v[52:53]
	v_add_f64 v[72:73], v[72:73], v[84:85]
	v_add_f64 v[74:75], v[14:15], v[74:75]
	v_fma_f64 v[84:85], v[58:59], v[50:51], -v[12:13]
	v_mul_f64 v[52:53], v[58:59], v[52:53]
	ds_read_b128 v[12:15], v69 offset:2560
	v_fmac_f64_e32 v[52:53], v[60:61], v[50:51]
	v_add_f64 v[60:61], v[52:53], v[82:83]
	ds_read_b128 v[50:53], v69 offset:2816
	v_add_f64 v[58:59], v[80:81], v[84:85]
	s_waitcnt lgkmcnt(1)
	v_mul_f64 v[80:81], v[56:57], v[14:15]
	v_fma_f64 v[80:81], v[54:55], v[12:13], -v[80:81]
	v_add_f64 v[62:63], v[62:63], v[80:81]
	s_waitcnt lgkmcnt(0)
	v_mul_f64 v[80:81], v[56:57], v[52:53]
	v_mul_f64 v[82:83], v[54:55], v[14:15]
	v_fma_f64 v[80:81], v[54:55], v[50:51], -v[80:81]
	v_mul_f64 v[54:55], v[54:55], v[52:53]
	v_fmac_f64_e32 v[54:55], v[56:57], v[50:51]
	v_add_f64 v[76:77], v[54:55], v[76:77]
	v_mul_f64 v[54:55], v[10:11], v[14:15]
	v_mul_f64 v[14:15], v[8:9], v[14:15]
	v_fmac_f64_e32 v[82:83], v[56:57], v[12:13]
	v_fma_f64 v[54:55], v[8:9], v[12:13], -v[54:55]
	v_fmac_f64_e32 v[14:15], v[10:11], v[12:13]
	v_mul_f64 v[12:13], v[10:11], v[52:53]
	v_mul_f64 v[52:53], v[8:9], v[52:53]
	v_add_f64 v[72:73], v[72:73], v[54:55]
	v_add_f64 v[74:75], v[14:15], v[74:75]
	v_fma_f64 v[54:55], v[8:9], v[50:51], -v[12:13]
	v_fmac_f64_e32 v[52:53], v[10:11], v[50:51]
	ds_read_b128 v[8:11], v67 offset:96
	ds_read_b128 v[12:15], v69 offset:3072
	v_add_f64 v[64:65], v[82:83], v[64:65]
	v_add_f64 v[78:79], v[78:79], v[80:81]
	v_add_f64 v[80:81], v[58:59], v[54:55]
	v_add_f64 v[82:83], v[52:53], v[60:61]
	ds_read_b128 v[50:53], v69 offset:3328
	ds_read_b128 v[54:57], v67 offset:112
	s_waitcnt lgkmcnt(2)
	v_mul_f64 v[58:59], v[10:11], v[14:15]
	v_fma_f64 v[58:59], v[8:9], v[12:13], -v[58:59]
	v_mul_f64 v[60:61], v[8:9], v[14:15]
	v_fmac_f64_e32 v[60:61], v[10:11], v[12:13]
	v_add_f64 v[62:63], v[62:63], v[58:59]
	s_waitcnt lgkmcnt(1)
	v_mul_f64 v[58:59], v[10:11], v[52:53]
	v_add_f64 v[64:65], v[60:61], v[64:65]
	v_fma_f64 v[84:85], v[8:9], v[50:51], -v[58:59]
	ds_read_b128 v[58:61], v67 offset:8288
	v_mul_f64 v[8:9], v[8:9], v[52:53]
	v_fmac_f64_e32 v[8:9], v[10:11], v[50:51]
	v_add_f64 v[78:79], v[78:79], v[84:85]
	v_add_f64 v[76:77], v[8:9], v[76:77]
	ds_read_b128 v[8:11], v67 offset:8304
	s_waitcnt lgkmcnt(1)
	v_mul_f64 v[84:85], v[60:61], v[14:15]
	v_mul_f64 v[14:15], v[58:59], v[14:15]
	v_fma_f64 v[84:85], v[58:59], v[12:13], -v[84:85]
	v_fmac_f64_e32 v[14:15], v[60:61], v[12:13]
	v_mul_f64 v[12:13], v[60:61], v[52:53]
	v_add_f64 v[72:73], v[72:73], v[84:85]
	v_add_f64 v[74:75], v[14:15], v[74:75]
	v_fma_f64 v[84:85], v[58:59], v[50:51], -v[12:13]
	v_mul_f64 v[52:53], v[58:59], v[52:53]
	ds_read_b128 v[12:15], v69 offset:3584
	v_fmac_f64_e32 v[52:53], v[60:61], v[50:51]
	v_add_f64 v[60:61], v[52:53], v[82:83]
	ds_read_b128 v[50:53], v69 offset:3840
	v_add_f64 v[58:59], v[80:81], v[84:85]
	s_waitcnt lgkmcnt(1)
	v_mul_f64 v[80:81], v[56:57], v[14:15]
	v_fma_f64 v[80:81], v[54:55], v[12:13], -v[80:81]
	v_add_f64 v[62:63], v[62:63], v[80:81]
	s_waitcnt lgkmcnt(0)
	v_mul_f64 v[80:81], v[56:57], v[52:53]
	v_mul_f64 v[82:83], v[54:55], v[14:15]
	v_fma_f64 v[80:81], v[54:55], v[50:51], -v[80:81]
	v_mul_f64 v[54:55], v[54:55], v[52:53]
	v_fmac_f64_e32 v[54:55], v[56:57], v[50:51]
	v_add_f64 v[76:77], v[54:55], v[76:77]
	v_mul_f64 v[54:55], v[10:11], v[14:15]
	v_mul_f64 v[14:15], v[8:9], v[14:15]
	v_fmac_f64_e32 v[82:83], v[56:57], v[12:13]
	v_fma_f64 v[54:55], v[8:9], v[12:13], -v[54:55]
	v_fmac_f64_e32 v[14:15], v[10:11], v[12:13]
	v_mul_f64 v[12:13], v[10:11], v[52:53]
	v_mul_f64 v[52:53], v[8:9], v[52:53]
	v_add_f64 v[72:73], v[72:73], v[54:55]
	v_add_f64 v[74:75], v[14:15], v[74:75]
	v_fma_f64 v[54:55], v[8:9], v[50:51], -v[12:13]
	v_fmac_f64_e32 v[52:53], v[10:11], v[50:51]
	ds_read_b128 v[8:11], v67 offset:128
	ds_read_b128 v[12:15], v69 offset:4096
	v_add_f64 v[64:65], v[82:83], v[64:65]
	v_add_f64 v[78:79], v[78:79], v[80:81]
	v_add_f64 v[80:81], v[58:59], v[54:55]
	v_add_f64 v[82:83], v[52:53], v[60:61]
	ds_read_b128 v[50:53], v69 offset:4352
	ds_read_b128 v[54:57], v67 offset:144
	s_waitcnt lgkmcnt(2)
	v_mul_f64 v[58:59], v[10:11], v[14:15]
	v_fma_f64 v[58:59], v[8:9], v[12:13], -v[58:59]
	v_mul_f64 v[60:61], v[8:9], v[14:15]
	;; [unrolled: 61-line block ×13, first 2 shown]
	v_fmac_f64_e32 v[60:61], v[10:11], v[12:13]
	v_add_f64 v[62:63], v[62:63], v[58:59]
	s_waitcnt lgkmcnt(1)
	v_mul_f64 v[58:59], v[10:11], v[52:53]
	v_add_f64 v[64:65], v[60:61], v[64:65]
	v_fma_f64 v[84:85], v[8:9], v[50:51], -v[58:59]
	ds_read_b128 v[58:61], v67 offset:8672
	v_mul_f64 v[8:9], v[8:9], v[52:53]
	v_fmac_f64_e32 v[8:9], v[10:11], v[50:51]
	v_add_f64 v[78:79], v[78:79], v[84:85]
	v_add_f64 v[76:77], v[8:9], v[76:77]
	ds_read_b128 v[8:11], v67 offset:8688
	s_waitcnt lgkmcnt(1)
	v_mul_f64 v[84:85], v[60:61], v[14:15]
	v_mul_f64 v[14:15], v[58:59], v[14:15]
	v_fma_f64 v[84:85], v[58:59], v[12:13], -v[84:85]
	v_fmac_f64_e32 v[14:15], v[60:61], v[12:13]
	v_mul_f64 v[12:13], v[60:61], v[52:53]
	v_add_f64 v[72:73], v[72:73], v[84:85]
	v_add_f64 v[74:75], v[14:15], v[74:75]
	v_fma_f64 v[84:85], v[58:59], v[50:51], -v[12:13]
	v_mul_f64 v[52:53], v[58:59], v[52:53]
	ds_read_b128 v[12:15], v69 offset:15872
	v_fmac_f64_e32 v[52:53], v[60:61], v[50:51]
	v_add_f64 v[82:83], v[52:53], v[82:83]
	ds_read_b128 v[50:53], v69 offset:16128
	s_add_u32 s30, s30, 32
	s_waitcnt lgkmcnt(1)
	v_mul_f64 v[58:59], v[56:57], v[14:15]
	v_fma_f64 v[58:59], v[54:55], v[12:13], -v[58:59]
	v_add_f64 v[62:63], v[62:63], v[58:59]
	s_waitcnt lgkmcnt(0)
	v_mul_f64 v[58:59], v[56:57], v[52:53]
	v_mul_f64 v[60:61], v[54:55], v[14:15]
	v_fma_f64 v[58:59], v[54:55], v[50:51], -v[58:59]
	v_mul_f64 v[54:55], v[54:55], v[52:53]
	v_fmac_f64_e32 v[60:61], v[56:57], v[12:13]
	v_fmac_f64_e32 v[54:55], v[56:57], v[50:51]
	v_add_f64 v[64:65], v[60:61], v[64:65]
	v_add_f64 v[60:61], v[54:55], v[76:77]
	v_mul_f64 v[54:55], v[10:11], v[14:15]
	v_mul_f64 v[14:15], v[8:9], v[14:15]
	v_fma_f64 v[54:55], v[8:9], v[12:13], -v[54:55]
	v_fmac_f64_e32 v[14:15], v[10:11], v[12:13]
	v_mul_f64 v[12:13], v[10:11], v[52:53]
	v_fma_f64 v[12:13], v[8:9], v[50:51], -v[12:13]
	v_mul_f64 v[8:9], v[8:9], v[52:53]
	v_add_f64 v[80:81], v[80:81], v[84:85]
	v_fmac_f64_e32 v[8:9], v[10:11], v[50:51]
	s_addc_u32 s31, s31, 0
	v_add_f64 v[58:59], v[78:79], v[58:59]
	v_add_f64 v[54:55], v[72:73], v[54:55]
	;; [unrolled: 1-line block ×5, first 2 shown]
	v_lshl_add_u64 v[48:49], v[48:49], 0, s[54:55]
	v_lshl_add_u64 v[36:37], v[36:37], 0, s[42:43]
	s_cmp_ge_i32 s30, s67
	v_lshl_add_u64 v[38:39], v[38:39], 0, s[42:43]
	s_barrier
	s_cbranch_scc1 .LBB126_56
.LBB126_7:                              ;   Parent Loop BB126_4 Depth=1
                                        ; =>  This Inner Loop Header: Depth=2
	v_lshl_add_u64 v[10:11], v[20:21], 0, s[30:31]
	v_cmp_eq_u64_e64 s[4:5], s[30:31], v[30:31]
	v_cmp_lt_i64_e64 s[10:11], v[10:11], v[28:29]
	s_and_b64 s[62:63], s[40:41], s[4:5]
	v_cmp_le_i64_e64 s[12:13], s[50:51], v[10:11]
	s_or_b64 s[4:5], s[6:7], s[10:11]
	s_or_b64 s[4:5], s[12:13], s[4:5]
	v_lshl_add_u64 v[8:9], v[36:37], 0, v[34:35]
	s_nor_b64 s[4:5], s[4:5], s[62:63]
	s_and_saveexec_b64 s[14:15], s[4:5]
	s_xor_b64 s[4:5], exec, s[14:15]
	s_cbranch_execz .LBB126_9
; %bb.8:                                ;   in Loop: Header=BB126_7 Depth=2
	global_load_dwordx4 v[12:15], v[8:9], off offset:-256
	s_waitcnt vmcnt(0)
	ds_write2_b64 v68, v[12:13], v[14:15] offset1:1
.LBB126_9:                              ;   in Loop: Header=BB126_7 Depth=2
	s_or_saveexec_b64 s[4:5], s[4:5]
	s_xor_b64 s[38:39], s[62:63], -1
	s_xor_b64 exec, exec, s[4:5]
	s_cbranch_execz .LBB126_15
; %bb.10:                               ;   in Loop: Header=BB126_7 Depth=2
	s_and_saveexec_b64 s[14:15], s[38:39]
	s_xor_b64 s[14:15], exec, s[14:15]
; %bb.11:                               ;   in Loop: Header=BB126_7 Depth=2
	ds_write_b128 v68, v[0:3]
; %bb.12:                               ;   in Loop: Header=BB126_7 Depth=2
	s_andn2_saveexec_b64 s[14:15], s[14:15]
; %bb.13:                               ;   in Loop: Header=BB126_7 Depth=2
	ds_write_b128 v68, v[4:7]
; %bb.14:                               ;   in Loop: Header=BB126_7 Depth=2
	s_or_b64 exec, exec, s[14:15]
.LBB126_15:                             ;   in Loop: Header=BB126_7 Depth=2
	s_or_b64 exec, exec, s[4:5]
	v_lshl_add_u64 v[12:13], v[10:11], 0, 16
	v_cmp_eq_u64_e64 s[4:5], s[30:31], v[46:47]
	s_and_b64 s[64:65], s[40:41], s[4:5]
	v_cmp_lt_i64_e64 s[4:5], v[12:13], v[28:29]
	v_cmp_le_i64_e64 s[14:15], s[50:51], v[12:13]
	s_or_b64 s[4:5], s[6:7], s[4:5]
	s_or_b64 s[4:5], s[14:15], s[4:5]
	s_nor_b64 s[4:5], s[4:5], s[64:65]
	v_lshl_add_u64 v[12:13], v[38:39], 0, v[34:35]
	s_and_saveexec_b64 s[68:69], s[4:5]
	s_xor_b64 s[4:5], exec, s[68:69]
	s_cbranch_execz .LBB126_17
; %bb.16:                               ;   in Loop: Header=BB126_7 Depth=2
	global_load_dwordx4 v[72:75], v[12:13], off
	v_add_u32_e32 v14, 0x100, v68
	s_waitcnt vmcnt(0)
	ds_write2_b64 v14, v[72:73], v[74:75] offset1:1
.LBB126_17:                             ;   in Loop: Header=BB126_7 Depth=2
	s_andn2_saveexec_b64 s[4:5], s[4:5]
	s_cbranch_execz .LBB126_23
; %bb.18:                               ;   in Loop: Header=BB126_7 Depth=2
	s_xor_b64 s[64:65], s[64:65], -1
	s_and_saveexec_b64 s[68:69], s[64:65]
	s_xor_b64 s[64:65], exec, s[68:69]
; %bb.19:                               ;   in Loop: Header=BB126_7 Depth=2
	ds_write_b128 v68, v[0:3] offset:256
; %bb.20:                               ;   in Loop: Header=BB126_7 Depth=2
	s_andn2_saveexec_b64 s[64:65], s[64:65]
; %bb.21:                               ;   in Loop: Header=BB126_7 Depth=2
	ds_write_b128 v68, v[4:7] offset:256
; %bb.22:                               ;   in Loop: Header=BB126_7 Depth=2
	s_or_b64 exec, exec, s[64:65]
.LBB126_23:                             ;   in Loop: Header=BB126_7 Depth=2
	s_or_b64 exec, exec, s[4:5]
	v_cmp_eq_u64_e64 s[4:5], s[30:31], v[44:45]
	s_and_b64 s[64:65], s[40:41], s[4:5]
	v_cmp_lt_i64_e64 s[4:5], v[10:11], v[42:43]
	s_or_b64 s[4:5], s[8:9], s[4:5]
	s_or_b64 s[4:5], s[4:5], s[64:65]
	s_nor_b64 s[4:5], s[12:13], s[4:5]
	s_and_saveexec_b64 s[12:13], s[4:5]
	s_xor_b64 s[4:5], exec, s[12:13]
	s_cbranch_execz .LBB126_25
; %bb.24:                               ;   in Loop: Header=BB126_7 Depth=2
	global_load_dwordx4 v[8:11], v[8:9], off
	v_add_u32_e32 v14, 0x2000, v68
	s_waitcnt vmcnt(0)
	ds_write2_b64 v14, v[8:9], v[10:11] offset1:1
.LBB126_25:                             ;   in Loop: Header=BB126_7 Depth=2
	s_andn2_saveexec_b64 s[4:5], s[4:5]
	s_cbranch_execz .LBB126_31
; %bb.26:                               ;   in Loop: Header=BB126_7 Depth=2
	s_xor_b64 s[12:13], s[64:65], -1
	s_and_saveexec_b64 s[64:65], s[12:13]
	s_xor_b64 s[12:13], exec, s[64:65]
; %bb.27:                               ;   in Loop: Header=BB126_7 Depth=2
	ds_write_b128 v68, v[0:3] offset:8192
; %bb.28:                               ;   in Loop: Header=BB126_7 Depth=2
	s_andn2_saveexec_b64 s[12:13], s[12:13]
; %bb.29:                               ;   in Loop: Header=BB126_7 Depth=2
	ds_write_b128 v68, v[4:7] offset:8192
; %bb.30:                               ;   in Loop: Header=BB126_7 Depth=2
	s_or_b64 exec, exec, s[12:13]
.LBB126_31:                             ;   in Loop: Header=BB126_7 Depth=2
	s_or_b64 exec, exec, s[4:5]
	s_or_b64 s[4:5], s[8:9], s[10:11]
	s_or_b64 s[4:5], s[14:15], s[4:5]
	s_nor_b64 s[4:5], s[4:5], s[62:63]
	s_and_saveexec_b64 s[10:11], s[4:5]
	s_xor_b64 s[4:5], exec, s[10:11]
	s_cbranch_execz .LBB126_33
; %bb.32:                               ;   in Loop: Header=BB126_7 Depth=2
	global_load_dwordx4 v[8:11], v[12:13], off offset:256
	v_add_u32_e32 v12, 0x2100, v68
	s_waitcnt vmcnt(0)
	ds_write2_b64 v12, v[8:9], v[10:11] offset1:1
.LBB126_33:                             ;   in Loop: Header=BB126_7 Depth=2
	s_andn2_saveexec_b64 s[4:5], s[4:5]
	s_cbranch_execz .LBB126_39
; %bb.34:                               ;   in Loop: Header=BB126_7 Depth=2
	s_and_saveexec_b64 s[10:11], s[38:39]
	s_xor_b64 s[10:11], exec, s[10:11]
; %bb.35:                               ;   in Loop: Header=BB126_7 Depth=2
	ds_write_b128 v68, v[0:3] offset:8448
; %bb.36:                               ;   in Loop: Header=BB126_7 Depth=2
	s_andn2_saveexec_b64 s[10:11], s[10:11]
; %bb.37:                               ;   in Loop: Header=BB126_7 Depth=2
	ds_write_b128 v68, v[4:7] offset:8448
; %bb.38:                               ;   in Loop: Header=BB126_7 Depth=2
	s_or_b64 exec, exec, s[10:11]
.LBB126_39:                             ;   in Loop: Header=BB126_7 Depth=2
	s_or_b64 exec, exec, s[4:5]
	v_lshl_add_u64 v[8:9], v[22:23], 0, s[30:31]
	v_cmp_le_i64_e64 s[10:11], s[50:51], v[8:9]
	v_lshl_add_u64 v[10:11], v[32:33], 0, v[48:49]
	s_nor_b64 s[4:5], s[10:11], vcc
	s_and_saveexec_b64 s[12:13], s[4:5]
	s_xor_b64 s[4:5], exec, s[12:13]
	s_cbranch_execz .LBB126_41
; %bb.40:                               ;   in Loop: Header=BB126_7 Depth=2
	global_load_dwordx4 v[12:15], v[10:11], off offset:-256
	s_waitcnt vmcnt(0)
	ds_write2_b64 v70, v[12:13], v[14:15] offset1:1
.LBB126_41:                             ;   in Loop: Header=BB126_7 Depth=2
	s_andn2_saveexec_b64 s[4:5], s[4:5]
; %bb.42:                               ;   in Loop: Header=BB126_7 Depth=2
	ds_write_b128 v70, v[0:3]
; %bb.43:                               ;   in Loop: Header=BB126_7 Depth=2
	s_or_b64 exec, exec, s[4:5]
	s_nor_b64 s[4:5], s[10:11], s[0:1]
	s_and_saveexec_b64 s[10:11], s[4:5]
	s_xor_b64 s[4:5], exec, s[10:11]
	s_cbranch_execz .LBB126_45
; %bb.44:                               ;   in Loop: Header=BB126_7 Depth=2
	global_load_dwordx4 v[10:13], v[10:11], off
	v_add_u32_e32 v14, 0x100, v70
	s_waitcnt vmcnt(0)
	ds_write2_b64 v14, v[10:11], v[12:13] offset1:1
.LBB126_45:                             ;   in Loop: Header=BB126_7 Depth=2
	s_andn2_saveexec_b64 s[4:5], s[4:5]
; %bb.46:                               ;   in Loop: Header=BB126_7 Depth=2
	ds_write_b128 v70, v[0:3] offset:256
; %bb.47:                               ;   in Loop: Header=BB126_7 Depth=2
	s_or_b64 exec, exec, s[4:5]
	v_cmp_le_i64_e64 s[10:11], s[56:57], v[8:9]
	v_lshl_add_u64 v[8:9], v[40:41], 0, v[48:49]
	s_nor_b64 s[4:5], s[10:11], vcc
	s_and_saveexec_b64 s[12:13], s[4:5]
	s_xor_b64 s[4:5], exec, s[12:13]
	s_cbranch_execz .LBB126_49
; %bb.48:                               ;   in Loop: Header=BB126_7 Depth=2
	global_load_dwordx4 v[10:13], v[8:9], off
	v_add_u32_e32 v14, 0x2000, v70
	s_waitcnt vmcnt(0)
	ds_write2_b64 v14, v[10:11], v[12:13] offset1:1
.LBB126_49:                             ;   in Loop: Header=BB126_7 Depth=2
	s_andn2_saveexec_b64 s[4:5], s[4:5]
; %bb.50:                               ;   in Loop: Header=BB126_7 Depth=2
	ds_write_b128 v70, v[0:3] offset:8192
; %bb.51:                               ;   in Loop: Header=BB126_7 Depth=2
	s_or_b64 exec, exec, s[4:5]
	s_nor_b64 s[4:5], s[10:11], s[0:1]
	s_and_saveexec_b64 s[10:11], s[4:5]
	s_xor_b64 s[4:5], exec, s[10:11]
	s_cbranch_execz .LBB126_53
; %bb.52:                               ;   in Loop: Header=BB126_7 Depth=2
	global_load_dwordx4 v[8:11], v[8:9], off offset:256
	s_waitcnt vmcnt(0)
	ds_write2_b64 v71, v[8:9], v[10:11] offset1:1
.LBB126_53:                             ;   in Loop: Header=BB126_7 Depth=2
	s_andn2_saveexec_b64 s[4:5], s[4:5]
	s_cbranch_execz .LBB126_6
; %bb.54:                               ;   in Loop: Header=BB126_7 Depth=2
	ds_write_b128 v70, v[0:3] offset:8448
	s_branch .LBB126_6
.LBB126_55:                             ;   in Loop: Header=BB126_4 Depth=1
	v_mov_b64_e32 v[62:63], 0
	v_mov_b64_e32 v[64:65], 0
	;; [unrolled: 1-line block ×8, first 2 shown]
.LBB126_56:                             ;   in Loop: Header=BB126_4 Depth=1
	v_mul_lo_u32 v10, s53, v28
	v_mul_lo_u32 v11, s52, v29
	v_mad_u64_u32 v[8:9], s[4:5], s52, v28, 0
	v_cmp_gt_i32_e64 s[6:7], s50, v28
	v_add3_u32 v9, v9, v11, v10
	v_lshl_add_u64 v[8:9], v[8:9], 4, s[34:35]
	s_and_b64 s[8:9], s[16:17], s[6:7]
	s_and_saveexec_b64 s[4:5], s[8:9]
	s_cbranch_execz .LBB126_58
; %bb.57:                               ;   in Loop: Header=BB126_4 Depth=1
	v_lshl_add_u64 v[14:15], v[16:17], 4, v[8:9]
	global_load_dwordx4 v[10:13], v[14:15], off
	v_mul_f64 v[30:31], s[46:47], v[64:65]
	v_mul_f64 v[32:33], s[44:45], v[64:65]
	v_fma_f64 v[30:31], s[44:45], v[62:63], -v[30:31]
	v_fmac_f64_e32 v[32:33], s[46:47], v[62:63]
	s_waitcnt vmcnt(0)
	v_add_f64 v[10:11], v[10:11], v[30:31]
	v_add_f64 v[12:13], v[32:33], v[12:13]
	global_store_dwordx4 v[14:15], v[10:13], off
.LBB126_58:                             ;   in Loop: Header=BB126_4 Depth=1
	s_or_b64 exec, exec, s[4:5]
	s_and_b64 s[6:7], s[18:19], s[6:7]
	s_and_saveexec_b64 s[4:5], s[6:7]
	s_cbranch_execz .LBB126_60
; %bb.59:                               ;   in Loop: Header=BB126_4 Depth=1
	v_lshl_add_u64 v[12:13], v[18:19], 4, v[8:9]
	global_load_dwordx4 v[8:11], v[12:13], off
	v_mul_f64 v[14:15], s[46:47], v[60:61]
	v_mul_f64 v[30:31], s[44:45], v[60:61]
	v_fma_f64 v[14:15], s[44:45], v[58:59], -v[14:15]
	v_fmac_f64_e32 v[30:31], s[46:47], v[58:59]
	s_waitcnt vmcnt(0)
	v_add_f64 v[8:9], v[8:9], v[14:15]
	v_add_f64 v[10:11], v[30:31], v[10:11]
	global_store_dwordx4 v[12:13], v[8:11], off
.LBB126_60:                             ;   in Loop: Header=BB126_4 Depth=1
	s_or_b64 exec, exec, s[4:5]
	s_nop 0
	v_add_u32_e32 v8, 16, v28
	v_ashrrev_i32_e32 v9, 31, v8
	v_cmp_gt_i32_e64 s[6:7], s50, v8
	v_mul_lo_u32 v10, s52, v9
	v_mul_lo_u32 v11, s53, v8
	v_mad_u64_u32 v[8:9], s[4:5], s52, v8, 0
	v_add3_u32 v9, v9, v10, v11
	v_lshl_add_u64 v[8:9], v[8:9], 4, s[34:35]
	s_and_b64 s[8:9], s[16:17], s[6:7]
	s_and_saveexec_b64 s[4:5], s[8:9]
	s_cbranch_execz .LBB126_62
; %bb.61:                               ;   in Loop: Header=BB126_4 Depth=1
	v_lshl_add_u64 v[14:15], v[16:17], 4, v[8:9]
	global_load_dwordx4 v[10:13], v[14:15], off
	v_mul_f64 v[28:29], s[46:47], v[56:57]
	v_mul_f64 v[30:31], s[44:45], v[56:57]
	v_fma_f64 v[28:29], s[44:45], v[54:55], -v[28:29]
	v_fmac_f64_e32 v[30:31], s[46:47], v[54:55]
	s_waitcnt vmcnt(0)
	v_add_f64 v[10:11], v[10:11], v[28:29]
	v_add_f64 v[12:13], v[30:31], v[12:13]
	global_store_dwordx4 v[14:15], v[10:13], off
.LBB126_62:                             ;   in Loop: Header=BB126_4 Depth=1
	s_or_b64 exec, exec, s[4:5]
	s_and_b64 s[6:7], s[18:19], s[6:7]
	s_and_saveexec_b64 s[4:5], s[6:7]
	s_cbranch_execz .LBB126_3
; %bb.63:                               ;   in Loop: Header=BB126_4 Depth=1
	v_lshl_add_u64 v[12:13], v[18:19], 4, v[8:9]
	global_load_dwordx4 v[8:11], v[12:13], off
	v_mul_f64 v[14:15], s[46:47], v[50:51]
	v_mul_f64 v[28:29], s[44:45], v[50:51]
	v_fma_f64 v[14:15], s[44:45], v[52:53], -v[14:15]
	v_fmac_f64_e32 v[28:29], s[46:47], v[52:53]
	s_waitcnt vmcnt(0)
	v_add_f64 v[8:9], v[8:9], v[14:15]
	v_add_f64 v[10:11], v[28:29], v[10:11]
	global_store_dwordx4 v[12:13], v[8:11], off
	s_branch .LBB126_3
.LBB126_64:
	s_endpgm
	.section	.rodata,"a",@progbits
	.p2align	6, 0x0
	.amdhsa_kernel _ZL30rocblas_trmm_outofplace_kernelI19rocblas_complex_numIdELi32ELi2ELb0ELb1ELb1ELb0EPKS1_S2_S1_Ev17rocblas_diagonal_iiT6_lPT7_lllS7_lllPT8_llli
		.amdhsa_group_segment_fixed_size 32768
		.amdhsa_private_segment_fixed_size 0
		.amdhsa_kernarg_size 392
		.amdhsa_user_sgpr_count 2
		.amdhsa_user_sgpr_dispatch_ptr 0
		.amdhsa_user_sgpr_queue_ptr 0
		.amdhsa_user_sgpr_kernarg_segment_ptr 1
		.amdhsa_user_sgpr_dispatch_id 0
		.amdhsa_user_sgpr_kernarg_preload_length 0
		.amdhsa_user_sgpr_kernarg_preload_offset 0
		.amdhsa_user_sgpr_private_segment_size 0
		.amdhsa_uses_dynamic_stack 0
		.amdhsa_enable_private_segment 0
		.amdhsa_system_sgpr_workgroup_id_x 1
		.amdhsa_system_sgpr_workgroup_id_y 1
		.amdhsa_system_sgpr_workgroup_id_z 1
		.amdhsa_system_sgpr_workgroup_info 0
		.amdhsa_system_vgpr_workitem_id 1
		.amdhsa_next_free_vgpr 94
		.amdhsa_next_free_sgpr 70
		.amdhsa_accum_offset 96
		.amdhsa_reserve_vcc 1
		.amdhsa_float_round_mode_32 0
		.amdhsa_float_round_mode_16_64 0
		.amdhsa_float_denorm_mode_32 3
		.amdhsa_float_denorm_mode_16_64 3
		.amdhsa_dx10_clamp 1
		.amdhsa_ieee_mode 1
		.amdhsa_fp16_overflow 0
		.amdhsa_tg_split 0
		.amdhsa_exception_fp_ieee_invalid_op 0
		.amdhsa_exception_fp_denorm_src 0
		.amdhsa_exception_fp_ieee_div_zero 0
		.amdhsa_exception_fp_ieee_overflow 0
		.amdhsa_exception_fp_ieee_underflow 0
		.amdhsa_exception_fp_ieee_inexact 0
		.amdhsa_exception_int_div_zero 0
	.end_amdhsa_kernel
	.section	.text._ZL30rocblas_trmm_outofplace_kernelI19rocblas_complex_numIdELi32ELi2ELb0ELb1ELb1ELb0EPKS1_S2_S1_Ev17rocblas_diagonal_iiT6_lPT7_lllS7_lllPT8_llli,"axG",@progbits,_ZL30rocblas_trmm_outofplace_kernelI19rocblas_complex_numIdELi32ELi2ELb0ELb1ELb1ELb0EPKS1_S2_S1_Ev17rocblas_diagonal_iiT6_lPT7_lllS7_lllPT8_llli,comdat
.Lfunc_end126:
	.size	_ZL30rocblas_trmm_outofplace_kernelI19rocblas_complex_numIdELi32ELi2ELb0ELb1ELb1ELb0EPKS1_S2_S1_Ev17rocblas_diagonal_iiT6_lPT7_lllS7_lllPT8_llli, .Lfunc_end126-_ZL30rocblas_trmm_outofplace_kernelI19rocblas_complex_numIdELi32ELi2ELb0ELb1ELb1ELb0EPKS1_S2_S1_Ev17rocblas_diagonal_iiT6_lPT7_lllS7_lllPT8_llli
                                        ; -- End function
	.set _ZL30rocblas_trmm_outofplace_kernelI19rocblas_complex_numIdELi32ELi2ELb0ELb1ELb1ELb0EPKS1_S2_S1_Ev17rocblas_diagonal_iiT6_lPT7_lllS7_lllPT8_llli.num_vgpr, 94
	.set _ZL30rocblas_trmm_outofplace_kernelI19rocblas_complex_numIdELi32ELi2ELb0ELb1ELb1ELb0EPKS1_S2_S1_Ev17rocblas_diagonal_iiT6_lPT7_lllS7_lllPT8_llli.num_agpr, 0
	.set _ZL30rocblas_trmm_outofplace_kernelI19rocblas_complex_numIdELi32ELi2ELb0ELb1ELb1ELb0EPKS1_S2_S1_Ev17rocblas_diagonal_iiT6_lPT7_lllS7_lllPT8_llli.numbered_sgpr, 70
	.set _ZL30rocblas_trmm_outofplace_kernelI19rocblas_complex_numIdELi32ELi2ELb0ELb1ELb1ELb0EPKS1_S2_S1_Ev17rocblas_diagonal_iiT6_lPT7_lllS7_lllPT8_llli.num_named_barrier, 0
	.set _ZL30rocblas_trmm_outofplace_kernelI19rocblas_complex_numIdELi32ELi2ELb0ELb1ELb1ELb0EPKS1_S2_S1_Ev17rocblas_diagonal_iiT6_lPT7_lllS7_lllPT8_llli.private_seg_size, 0
	.set _ZL30rocblas_trmm_outofplace_kernelI19rocblas_complex_numIdELi32ELi2ELb0ELb1ELb1ELb0EPKS1_S2_S1_Ev17rocblas_diagonal_iiT6_lPT7_lllS7_lllPT8_llli.uses_vcc, 1
	.set _ZL30rocblas_trmm_outofplace_kernelI19rocblas_complex_numIdELi32ELi2ELb0ELb1ELb1ELb0EPKS1_S2_S1_Ev17rocblas_diagonal_iiT6_lPT7_lllS7_lllPT8_llli.uses_flat_scratch, 0
	.set _ZL30rocblas_trmm_outofplace_kernelI19rocblas_complex_numIdELi32ELi2ELb0ELb1ELb1ELb0EPKS1_S2_S1_Ev17rocblas_diagonal_iiT6_lPT7_lllS7_lllPT8_llli.has_dyn_sized_stack, 0
	.set _ZL30rocblas_trmm_outofplace_kernelI19rocblas_complex_numIdELi32ELi2ELb0ELb1ELb1ELb0EPKS1_S2_S1_Ev17rocblas_diagonal_iiT6_lPT7_lllS7_lllPT8_llli.has_recursion, 0
	.set _ZL30rocblas_trmm_outofplace_kernelI19rocblas_complex_numIdELi32ELi2ELb0ELb1ELb1ELb0EPKS1_S2_S1_Ev17rocblas_diagonal_iiT6_lPT7_lllS7_lllPT8_llli.has_indirect_call, 0
	.section	.AMDGPU.csdata,"",@progbits
; Kernel info:
; codeLenInByte = 9136
; TotalNumSgprs: 76
; NumVgprs: 94
; NumAgprs: 0
; TotalNumVgprs: 94
; ScratchSize: 0
; MemoryBound: 0
; FloatMode: 240
; IeeeMode: 1
; LDSByteSize: 32768 bytes/workgroup (compile time only)
; SGPRBlocks: 9
; VGPRBlocks: 11
; NumSGPRsForWavesPerEU: 76
; NumVGPRsForWavesPerEU: 94
; AccumOffset: 96
; Occupancy: 5
; WaveLimiterHint : 0
; COMPUTE_PGM_RSRC2:SCRATCH_EN: 0
; COMPUTE_PGM_RSRC2:USER_SGPR: 2
; COMPUTE_PGM_RSRC2:TRAP_HANDLER: 0
; COMPUTE_PGM_RSRC2:TGID_X_EN: 1
; COMPUTE_PGM_RSRC2:TGID_Y_EN: 1
; COMPUTE_PGM_RSRC2:TGID_Z_EN: 1
; COMPUTE_PGM_RSRC2:TIDIG_COMP_CNT: 1
; COMPUTE_PGM_RSRC3_GFX90A:ACCUM_OFFSET: 23
; COMPUTE_PGM_RSRC3_GFX90A:TG_SPLIT: 0
	.section	.text._ZL30rocblas_trmm_outofplace_kernelI19rocblas_complex_numIdELi32ELi2ELb0ELb1ELb1ELb0ES1_KS1_S1_Ev17rocblas_diagonal_iiT6_lPT7_lllS6_lllPT8_llli,"axG",@progbits,_ZL30rocblas_trmm_outofplace_kernelI19rocblas_complex_numIdELi32ELi2ELb0ELb1ELb1ELb0ES1_KS1_S1_Ev17rocblas_diagonal_iiT6_lPT7_lllS6_lllPT8_llli,comdat
	.globl	_ZL30rocblas_trmm_outofplace_kernelI19rocblas_complex_numIdELi32ELi2ELb0ELb1ELb1ELb0ES1_KS1_S1_Ev17rocblas_diagonal_iiT6_lPT7_lllS6_lllPT8_llli ; -- Begin function _ZL30rocblas_trmm_outofplace_kernelI19rocblas_complex_numIdELi32ELi2ELb0ELb1ELb1ELb0ES1_KS1_S1_Ev17rocblas_diagonal_iiT6_lPT7_lllS6_lllPT8_llli
	.p2align	8
	.type	_ZL30rocblas_trmm_outofplace_kernelI19rocblas_complex_numIdELi32ELi2ELb0ELb1ELb1ELb0ES1_KS1_S1_Ev17rocblas_diagonal_iiT6_lPT7_lllS6_lllPT8_llli,@function
_ZL30rocblas_trmm_outofplace_kernelI19rocblas_complex_numIdELi32ELi2ELb0ELb1ELb1ELb0ES1_KS1_S1_Ev17rocblas_diagonal_iiT6_lPT7_lllS6_lllPT8_llli: ; @_ZL30rocblas_trmm_outofplace_kernelI19rocblas_complex_numIdELi32ELi2ELb0ELb1ELb1ELb0ES1_KS1_S1_Ev17rocblas_diagonal_iiT6_lPT7_lllS6_lllPT8_llli
; %bb.0:
	s_load_dwordx4 s[24:27], s[0:1], 0x10
	s_waitcnt lgkmcnt(0)
	v_cmp_eq_f64_e64 s[6:7], s[24:25], 0
	v_cmp_eq_f64_e64 s[8:9], s[26:27], 0
	s_and_b64 s[6:7], s[6:7], s[8:9]
	s_and_b64 vcc, exec, s[6:7]
	s_cbranch_vccnz .LBB127_64
; %bb.1:
	s_load_dwordx4 s[28:31], s[0:1], 0x0
	s_waitcnt lgkmcnt(0)
	s_add_i32 s5, s30, -1
	s_ashr_i32 s6, s5, 31
	s_lshr_b32 s6, s6, 27
	s_add_i32 s5, s5, s6
	s_ashr_i32 s33, s5, 5
	s_cmp_gt_i32 s3, s33
	s_cbranch_scc1 .LBB127_64
; %bb.2:
	s_load_dwordx8 s[16:23], s[0:1], 0x68
	s_load_dwordx16 s[36:51], s[0:1], 0x28
	v_and_b32_e32 v2, 0x3ff, v0
	v_lshl_add_u32 v16, s2, 5, v2
	v_bfe_u32 v66, v0, 10, 10
	s_waitcnt lgkmcnt(0)
	s_mul_i32 s5, s23, s4
	s_mul_hi_u32 s7, s22, s4
	s_mul_i32 s6, s22, s4
	s_add_i32 s7, s7, s5
	s_lshl_b64 s[6:7], s[6:7], 4
	s_add_u32 s5, s16, s6
	s_addc_u32 s8, s17, s7
	s_lshl_b64 s[6:7], s[18:19], 4
	s_add_u32 s22, s5, s6
	s_addc_u32 s23, s8, s7
	s_cmpk_eq_i32 s28, 0x84
	s_cselect_b64 s[34:35], -1, 0
	s_ashr_i32 s2, s29, 31
	v_mov_b32_e32 v1, s2
	s_load_dword s2, s[0:1], 0x94
	s_ashr_i32 s31, s30, 31
	s_lshl_b64 s[52:53], s[40:41], 9
	s_lshl_b64 s[54:55], s[48:49], 9
	s_add_u32 s56, s30, -16
	s_addc_u32 s57, s31, -1
	s_lshl_b32 s5, s3, 5
	s_waitcnt lgkmcnt(0)
	s_lshl_b32 s66, s2, 5
	v_add_u32_e32 v20, s5, v2
	v_add_u32_e32 v22, s5, v66
	s_add_u32 s58, s44, 0x100
	s_mul_i32 s5, s51, s4
	s_mul_hi_u32 s6, s50, s4
	s_addc_u32 s59, s45, 0
	s_add_i32 s7, s6, s5
	s_mul_i32 s6, s50, s4
	s_lshl_b64 s[60:61], s[48:49], 4
	s_lshl_b64 s[6:7], s[6:7], 4
	;; [unrolled: 1-line block ×3, first 2 shown]
	s_add_u32 s6, s6, s8
	v_ashrrev_i32_e32 v17, 31, v16
	s_addc_u32 s7, s7, s9
	v_lshl_add_u64 v[24:25], v[16:17], 4, s[6:7]
	s_mul_i32 s5, s43, s4
	s_mul_hi_u32 s6, s42, s4
	s_add_i32 s5, s6, s5
	s_mul_i32 s4, s42, s4
	s_lshl_b64 s[4:5], s[4:5], 4
	s_lshl_b64 s[6:7], s[38:39], 4
	s_add_u32 s4, s4, s6
	s_addc_u32 s5, s5, s7
	v_lshlrev_b32_e32 v3, 4, v2
	v_sub_co_u32_e32 v0, vcc, s29, v16
	s_add_u32 s36, s36, s4
	v_lshlrev_b32_e32 v67, 9, v66
	v_subb_co_u32_e32 v1, vcc, v1, v17, vcc
	v_or_b32_e32 v69, 0x4000, v3
	s_addc_u32 s37, s37, s5
	v_add_u32_e32 v70, v69, v67
	v_cmp_gt_i64_e32 vcc, 1, v[0:1]
	v_cmp_gt_i64_e64 s[0:1], 17, v[0:1]
	v_add_u32_e32 v18, 16, v16
	s_add_u32 s38, s36, 0x100
	v_mov_b32_e32 v0, 0
	v_add_u32_e32 v68, v67, v3
	v_add_u32_e32 v71, 0x2100, v70
	v_cmp_gt_i32_e64 s[16:17], s29, v16
	v_cmp_gt_i32_e64 s[18:19], s29, v18
	v_ashrrev_i32_e32 v19, 31, v18
	s_mov_b64 s[28:29], 0x100
	s_addc_u32 s39, s37, 0
	s_lshl_b64 s[42:43], s[40:41], 4
	v_mov_b64_e32 v[26:27], 0x100
	v_mov_b32_e32 v1, v0
	v_mov_b32_e32 v2, v0
	v_mov_b32_e32 v3, v0
	v_mov_b32_e32 v5, 0x3ff00000
	v_mov_b32_e32 v4, v0
	v_mov_b32_e32 v6, v0
	v_mov_b32_e32 v7, v0
	s_branch .LBB127_4
.LBB127_3:                              ;   in Loop: Header=BB127_4 Depth=1
	s_or_b64 exec, exec, s[4:5]
	s_add_i32 s3, s2, s3
	v_add_u32_e32 v20, s66, v20
	s_cmp_le_i32 s3, s33
	v_add_u32_e32 v22, s66, v22
	s_cbranch_scc0 .LBB127_64
.LBB127_4:                              ; =>This Loop Header: Depth=1
                                        ;     Child Loop BB127_7 Depth 2
	s_lshl_b32 s4, s3, 5
	v_add_u32_e32 v28, s4, v66
	s_sub_i32 s67, s30, s4
	v_ashrrev_i32_e32 v21, 31, v20
	v_ashrrev_i32_e32 v23, 31, v22
	s_cmp_lt_i32 s67, 1
	v_ashrrev_i32_e32 v29, 31, v28
	s_cbranch_scc1 .LBB127_55
; %bb.5:                                ;   in Loop: Header=BB127_4 Depth=1
	v_sub_co_u32_e64 v30, s[4:5], v22, v20
	v_mov_b64_e32 v[8:9], s[58:59]
	s_nop 0
	v_subb_co_u32_e64 v31, s[4:5], v23, v21, s[4:5]
	v_mad_u64_u32 v[32:33], s[4:5], s60, v22, v[8:9]
	v_mul_lo_u32 v8, s60, v23
	v_mul_lo_u32 v9, s61, v22
	v_add3_u32 v33, v9, v33, v8
	v_mov_b64_e32 v[8:9], s[38:39]
	v_mad_u64_u32 v[36:37], s[4:5], s42, v20, v[8:9]
	v_mul_lo_u32 v8, s42, v21
	v_mul_lo_u32 v9, s43, v20
	v_add3_u32 v37, v9, v37, v8
	v_lshl_add_u64 v[8:9], v[20:21], 4, v[26:27]
	v_mov_b64_e32 v[10:11], s[36:37]
	v_lshlrev_b64 v[34:35], 4, v[22:23]
	v_mul_lo_u32 v9, s40, v9
	v_mul_lo_u32 v12, s41, v8
	v_mad_u64_u32 v[38:39], s[4:5], s40, v8, v[10:11]
	v_add3_u32 v39, v12, v39, v9
	v_lshl_add_u64 v[8:9], v[34:35], 0, s[28:29]
	v_mov_b64_e32 v[10:11], s[44:45]
	v_mul_lo_u32 v9, s48, v9
	v_mul_lo_u32 v12, s49, v8
	v_mad_u64_u32 v[40:41], s[4:5], s48, v8, v[10:11]
	v_lshl_add_u64 v[42:43], v[28:29], 0, 16
	v_add3_u32 v41, v12, v41, v9
	v_cmp_le_i32_e64 s[6:7], s30, v28
	v_cmp_le_i64_e64 s[8:9], s[30:31], v[42:43]
	v_lshl_add_u64 v[44:45], v[30:31], 0, 16
	v_lshl_add_u64 v[46:47], v[30:31], 0, -16
	v_mov_b64_e32 v[50:51], 0
	s_mov_b64 s[46:47], 0
	v_mov_b64_e32 v[48:49], v[24:25]
	v_mov_b64_e32 v[52:53], 0
	;; [unrolled: 1-line block ×8, first 2 shown]
	s_branch .LBB127_7
.LBB127_6:                              ;   in Loop: Header=BB127_7 Depth=2
	s_or_b64 exec, exec, s[4:5]
	s_waitcnt lgkmcnt(0)
	s_barrier
	ds_read_b128 v[72:75], v69
	ds_read_b128 v[76:79], v67
	ds_read_b128 v[80:83], v67 offset:16
	ds_read_b128 v[12:15], v67 offset:32
	;; [unrolled: 1-line block ×4, first 2 shown]
	s_waitcnt lgkmcnt(4)
	v_mul_f64 v[88:89], v[78:79], v[74:75]
	v_fma_f64 v[88:89], v[76:77], v[72:73], -v[88:89]
	v_mul_f64 v[90:91], v[76:77], v[74:75]
	v_fmac_f64_e32 v[90:91], v[78:79], v[72:73]
	v_add_f64 v[88:89], v[62:63], v[88:89]
	s_waitcnt lgkmcnt(0)
	v_mul_f64 v[62:63], v[78:79], v[86:87]
	v_add_f64 v[90:91], v[90:91], v[64:65]
	v_fma_f64 v[92:93], v[76:77], v[84:85], -v[62:63]
	ds_read_b128 v[62:65], v67 offset:8192
	v_mul_f64 v[76:77], v[76:77], v[86:87]
	v_fmac_f64_e32 v[76:77], v[78:79], v[84:85]
	v_add_f64 v[78:79], v[58:59], v[92:93]
	v_add_f64 v[76:77], v[76:77], v[60:61]
	ds_read_b128 v[58:61], v67 offset:8208
	s_waitcnt lgkmcnt(1)
	v_mul_f64 v[92:93], v[64:65], v[74:75]
	v_fma_f64 v[92:93], v[62:63], v[72:73], -v[92:93]
	v_mul_f64 v[74:75], v[62:63], v[74:75]
	v_fmac_f64_e32 v[74:75], v[64:65], v[72:73]
	v_add_f64 v[72:73], v[54:55], v[92:93]
	v_mul_f64 v[54:55], v[64:65], v[86:87]
	v_add_f64 v[74:75], v[74:75], v[56:57]
	v_fma_f64 v[92:93], v[62:63], v[84:85], -v[54:55]
	v_mul_f64 v[62:63], v[62:63], v[86:87]
	ds_read_b128 v[54:57], v69 offset:512
	v_fmac_f64_e32 v[62:63], v[64:65], v[84:85]
	v_add_f64 v[64:65], v[52:53], v[92:93]
	v_add_f64 v[62:63], v[62:63], v[50:51]
	ds_read_b128 v[50:53], v69 offset:768
	s_waitcnt lgkmcnt(1)
	v_mul_f64 v[84:85], v[82:83], v[56:57]
	v_fma_f64 v[84:85], v[80:81], v[54:55], -v[84:85]
	v_add_f64 v[84:85], v[88:89], v[84:85]
	v_mul_f64 v[86:87], v[80:81], v[56:57]
	s_waitcnt lgkmcnt(0)
	v_mul_f64 v[88:89], v[82:83], v[52:53]
	v_fma_f64 v[88:89], v[80:81], v[50:51], -v[88:89]
	v_mul_f64 v[80:81], v[80:81], v[52:53]
	v_fmac_f64_e32 v[80:81], v[82:83], v[50:51]
	v_add_f64 v[76:77], v[80:81], v[76:77]
	v_mul_f64 v[80:81], v[60:61], v[56:57]
	v_mul_f64 v[56:57], v[58:59], v[56:57]
	v_fmac_f64_e32 v[86:87], v[82:83], v[54:55]
	v_fma_f64 v[80:81], v[58:59], v[54:55], -v[80:81]
	v_fmac_f64_e32 v[56:57], v[60:61], v[54:55]
	v_mul_f64 v[54:55], v[60:61], v[52:53]
	v_add_f64 v[74:75], v[56:57], v[74:75]
	v_fma_f64 v[56:57], v[58:59], v[50:51], -v[54:55]
	v_mul_f64 v[58:59], v[58:59], v[52:53]
	ds_read_b128 v[52:55], v69 offset:1024
	v_fmac_f64_e32 v[58:59], v[60:61], v[50:51]
	v_add_f64 v[72:73], v[72:73], v[80:81]
	v_add_f64 v[64:65], v[64:65], v[56:57]
	;; [unrolled: 1-line block ×3, first 2 shown]
	ds_read_b128 v[56:59], v69 offset:1280
	s_waitcnt lgkmcnt(1)
	v_mul_f64 v[50:51], v[14:15], v[54:55]
	v_mul_f64 v[60:61], v[12:13], v[54:55]
	v_add_f64 v[86:87], v[86:87], v[90:91]
	v_fma_f64 v[50:51], v[12:13], v[52:53], -v[50:51]
	v_fmac_f64_e32 v[60:61], v[14:15], v[52:53]
	v_add_f64 v[82:83], v[84:85], v[50:51]
	v_add_f64 v[84:85], v[60:61], v[86:87]
	ds_read_b128 v[60:63], v67 offset:8224
	s_waitcnt lgkmcnt(1)
	v_mul_f64 v[50:51], v[14:15], v[58:59]
	v_fma_f64 v[50:51], v[12:13], v[56:57], -v[50:51]
	v_mul_f64 v[12:13], v[12:13], v[58:59]
	v_add_f64 v[78:79], v[78:79], v[88:89]
	v_fmac_f64_e32 v[12:13], v[14:15], v[56:57]
	v_add_f64 v[78:79], v[78:79], v[50:51]
	v_add_f64 v[76:77], v[12:13], v[76:77]
	ds_read_b128 v[12:15], v67 offset:8240
	s_waitcnt lgkmcnt(1)
	v_mul_f64 v[50:51], v[62:63], v[54:55]
	v_fma_f64 v[50:51], v[60:61], v[52:53], -v[50:51]
	v_mul_f64 v[54:55], v[60:61], v[54:55]
	v_fmac_f64_e32 v[54:55], v[62:63], v[52:53]
	v_add_f64 v[72:73], v[72:73], v[50:51]
	v_mul_f64 v[50:51], v[62:63], v[58:59]
	v_add_f64 v[74:75], v[54:55], v[74:75]
	v_fma_f64 v[54:55], v[60:61], v[56:57], -v[50:51]
	v_mul_f64 v[58:59], v[60:61], v[58:59]
	ds_read_b128 v[50:53], v69 offset:1536
	v_fmac_f64_e32 v[58:59], v[62:63], v[56:57]
	v_add_f64 v[60:61], v[64:65], v[54:55]
	ds_read_b128 v[54:57], v69 offset:1792
	v_add_f64 v[58:59], v[58:59], v[80:81]
	s_waitcnt lgkmcnt(1)
	v_mul_f64 v[62:63], v[10:11], v[52:53]
	v_fma_f64 v[62:63], v[8:9], v[50:51], -v[62:63]
	v_mul_f64 v[64:65], v[8:9], v[52:53]
	s_waitcnt lgkmcnt(0)
	v_mul_f64 v[80:81], v[10:11], v[56:57]
	v_fma_f64 v[80:81], v[8:9], v[54:55], -v[80:81]
	v_mul_f64 v[8:9], v[8:9], v[56:57]
	v_fmac_f64_e32 v[8:9], v[10:11], v[54:55]
	v_add_f64 v[76:77], v[8:9], v[76:77]
	v_mul_f64 v[8:9], v[14:15], v[52:53]
	v_fmac_f64_e32 v[64:65], v[10:11], v[50:51]
	v_fma_f64 v[8:9], v[12:13], v[50:51], -v[8:9]
	v_mul_f64 v[10:11], v[12:13], v[52:53]
	v_fmac_f64_e32 v[10:11], v[14:15], v[50:51]
	v_add_f64 v[72:73], v[72:73], v[8:9]
	v_mul_f64 v[8:9], v[14:15], v[56:57]
	v_mul_f64 v[52:53], v[12:13], v[56:57]
	v_add_f64 v[74:75], v[10:11], v[74:75]
	v_fma_f64 v[50:51], v[12:13], v[54:55], -v[8:9]
	v_fmac_f64_e32 v[52:53], v[14:15], v[54:55]
	ds_read_b128 v[8:11], v67 offset:64
	ds_read_b128 v[12:15], v69 offset:2048
	v_add_f64 v[62:63], v[82:83], v[62:63]
	v_add_f64 v[78:79], v[78:79], v[80:81]
	;; [unrolled: 1-line block ×4, first 2 shown]
	ds_read_b128 v[50:53], v69 offset:2304
	ds_read_b128 v[54:57], v67 offset:80
	s_waitcnt lgkmcnt(2)
	v_mul_f64 v[58:59], v[10:11], v[14:15]
	v_fma_f64 v[58:59], v[8:9], v[12:13], -v[58:59]
	v_mul_f64 v[60:61], v[8:9], v[14:15]
	v_add_f64 v[64:65], v[64:65], v[84:85]
	v_fmac_f64_e32 v[60:61], v[10:11], v[12:13]
	v_add_f64 v[62:63], v[62:63], v[58:59]
	s_waitcnt lgkmcnt(1)
	v_mul_f64 v[58:59], v[10:11], v[52:53]
	v_add_f64 v[64:65], v[60:61], v[64:65]
	v_fma_f64 v[84:85], v[8:9], v[50:51], -v[58:59]
	ds_read_b128 v[58:61], v67 offset:8256
	v_mul_f64 v[8:9], v[8:9], v[52:53]
	v_fmac_f64_e32 v[8:9], v[10:11], v[50:51]
	v_add_f64 v[78:79], v[78:79], v[84:85]
	v_add_f64 v[76:77], v[8:9], v[76:77]
	ds_read_b128 v[8:11], v67 offset:8272
	s_waitcnt lgkmcnt(1)
	v_mul_f64 v[84:85], v[60:61], v[14:15]
	v_mul_f64 v[14:15], v[58:59], v[14:15]
	v_fma_f64 v[84:85], v[58:59], v[12:13], -v[84:85]
	v_fmac_f64_e32 v[14:15], v[60:61], v[12:13]
	v_mul_f64 v[12:13], v[60:61], v[52:53]
	v_add_f64 v[72:73], v[72:73], v[84:85]
	v_add_f64 v[74:75], v[14:15], v[74:75]
	v_fma_f64 v[84:85], v[58:59], v[50:51], -v[12:13]
	v_mul_f64 v[52:53], v[58:59], v[52:53]
	ds_read_b128 v[12:15], v69 offset:2560
	v_fmac_f64_e32 v[52:53], v[60:61], v[50:51]
	v_add_f64 v[60:61], v[52:53], v[82:83]
	ds_read_b128 v[50:53], v69 offset:2816
	v_add_f64 v[58:59], v[80:81], v[84:85]
	s_waitcnt lgkmcnt(1)
	v_mul_f64 v[80:81], v[56:57], v[14:15]
	v_fma_f64 v[80:81], v[54:55], v[12:13], -v[80:81]
	v_add_f64 v[62:63], v[62:63], v[80:81]
	s_waitcnt lgkmcnt(0)
	v_mul_f64 v[80:81], v[56:57], v[52:53]
	v_mul_f64 v[82:83], v[54:55], v[14:15]
	v_fma_f64 v[80:81], v[54:55], v[50:51], -v[80:81]
	v_mul_f64 v[54:55], v[54:55], v[52:53]
	v_fmac_f64_e32 v[54:55], v[56:57], v[50:51]
	v_add_f64 v[76:77], v[54:55], v[76:77]
	v_mul_f64 v[54:55], v[10:11], v[14:15]
	v_mul_f64 v[14:15], v[8:9], v[14:15]
	v_fmac_f64_e32 v[82:83], v[56:57], v[12:13]
	v_fma_f64 v[54:55], v[8:9], v[12:13], -v[54:55]
	v_fmac_f64_e32 v[14:15], v[10:11], v[12:13]
	v_mul_f64 v[12:13], v[10:11], v[52:53]
	v_mul_f64 v[52:53], v[8:9], v[52:53]
	v_add_f64 v[72:73], v[72:73], v[54:55]
	v_add_f64 v[74:75], v[14:15], v[74:75]
	v_fma_f64 v[54:55], v[8:9], v[50:51], -v[12:13]
	v_fmac_f64_e32 v[52:53], v[10:11], v[50:51]
	ds_read_b128 v[8:11], v67 offset:96
	ds_read_b128 v[12:15], v69 offset:3072
	v_add_f64 v[64:65], v[82:83], v[64:65]
	v_add_f64 v[78:79], v[78:79], v[80:81]
	v_add_f64 v[80:81], v[58:59], v[54:55]
	v_add_f64 v[82:83], v[52:53], v[60:61]
	ds_read_b128 v[50:53], v69 offset:3328
	ds_read_b128 v[54:57], v67 offset:112
	s_waitcnt lgkmcnt(2)
	v_mul_f64 v[58:59], v[10:11], v[14:15]
	v_fma_f64 v[58:59], v[8:9], v[12:13], -v[58:59]
	v_mul_f64 v[60:61], v[8:9], v[14:15]
	v_fmac_f64_e32 v[60:61], v[10:11], v[12:13]
	v_add_f64 v[62:63], v[62:63], v[58:59]
	s_waitcnt lgkmcnt(1)
	v_mul_f64 v[58:59], v[10:11], v[52:53]
	v_add_f64 v[64:65], v[60:61], v[64:65]
	v_fma_f64 v[84:85], v[8:9], v[50:51], -v[58:59]
	ds_read_b128 v[58:61], v67 offset:8288
	v_mul_f64 v[8:9], v[8:9], v[52:53]
	v_fmac_f64_e32 v[8:9], v[10:11], v[50:51]
	v_add_f64 v[78:79], v[78:79], v[84:85]
	v_add_f64 v[76:77], v[8:9], v[76:77]
	ds_read_b128 v[8:11], v67 offset:8304
	s_waitcnt lgkmcnt(1)
	v_mul_f64 v[84:85], v[60:61], v[14:15]
	v_mul_f64 v[14:15], v[58:59], v[14:15]
	v_fma_f64 v[84:85], v[58:59], v[12:13], -v[84:85]
	v_fmac_f64_e32 v[14:15], v[60:61], v[12:13]
	v_mul_f64 v[12:13], v[60:61], v[52:53]
	v_add_f64 v[72:73], v[72:73], v[84:85]
	v_add_f64 v[74:75], v[14:15], v[74:75]
	v_fma_f64 v[84:85], v[58:59], v[50:51], -v[12:13]
	v_mul_f64 v[52:53], v[58:59], v[52:53]
	ds_read_b128 v[12:15], v69 offset:3584
	v_fmac_f64_e32 v[52:53], v[60:61], v[50:51]
	v_add_f64 v[60:61], v[52:53], v[82:83]
	ds_read_b128 v[50:53], v69 offset:3840
	v_add_f64 v[58:59], v[80:81], v[84:85]
	s_waitcnt lgkmcnt(1)
	v_mul_f64 v[80:81], v[56:57], v[14:15]
	v_fma_f64 v[80:81], v[54:55], v[12:13], -v[80:81]
	v_add_f64 v[62:63], v[62:63], v[80:81]
	s_waitcnt lgkmcnt(0)
	v_mul_f64 v[80:81], v[56:57], v[52:53]
	v_mul_f64 v[82:83], v[54:55], v[14:15]
	v_fma_f64 v[80:81], v[54:55], v[50:51], -v[80:81]
	v_mul_f64 v[54:55], v[54:55], v[52:53]
	v_fmac_f64_e32 v[54:55], v[56:57], v[50:51]
	v_add_f64 v[76:77], v[54:55], v[76:77]
	v_mul_f64 v[54:55], v[10:11], v[14:15]
	v_mul_f64 v[14:15], v[8:9], v[14:15]
	v_fmac_f64_e32 v[82:83], v[56:57], v[12:13]
	v_fma_f64 v[54:55], v[8:9], v[12:13], -v[54:55]
	v_fmac_f64_e32 v[14:15], v[10:11], v[12:13]
	v_mul_f64 v[12:13], v[10:11], v[52:53]
	v_mul_f64 v[52:53], v[8:9], v[52:53]
	v_add_f64 v[72:73], v[72:73], v[54:55]
	v_add_f64 v[74:75], v[14:15], v[74:75]
	v_fma_f64 v[54:55], v[8:9], v[50:51], -v[12:13]
	v_fmac_f64_e32 v[52:53], v[10:11], v[50:51]
	ds_read_b128 v[8:11], v67 offset:128
	ds_read_b128 v[12:15], v69 offset:4096
	v_add_f64 v[64:65], v[82:83], v[64:65]
	v_add_f64 v[78:79], v[78:79], v[80:81]
	v_add_f64 v[80:81], v[58:59], v[54:55]
	v_add_f64 v[82:83], v[52:53], v[60:61]
	ds_read_b128 v[50:53], v69 offset:4352
	ds_read_b128 v[54:57], v67 offset:144
	s_waitcnt lgkmcnt(2)
	v_mul_f64 v[58:59], v[10:11], v[14:15]
	v_fma_f64 v[58:59], v[8:9], v[12:13], -v[58:59]
	v_mul_f64 v[60:61], v[8:9], v[14:15]
	;; [unrolled: 61-line block ×13, first 2 shown]
	v_fmac_f64_e32 v[60:61], v[10:11], v[12:13]
	v_add_f64 v[62:63], v[62:63], v[58:59]
	s_waitcnt lgkmcnt(1)
	v_mul_f64 v[58:59], v[10:11], v[52:53]
	v_add_f64 v[64:65], v[60:61], v[64:65]
	v_fma_f64 v[84:85], v[8:9], v[50:51], -v[58:59]
	ds_read_b128 v[58:61], v67 offset:8672
	v_mul_f64 v[8:9], v[8:9], v[52:53]
	v_fmac_f64_e32 v[8:9], v[10:11], v[50:51]
	v_add_f64 v[78:79], v[78:79], v[84:85]
	v_add_f64 v[76:77], v[8:9], v[76:77]
	ds_read_b128 v[8:11], v67 offset:8688
	s_waitcnt lgkmcnt(1)
	v_mul_f64 v[84:85], v[60:61], v[14:15]
	v_mul_f64 v[14:15], v[58:59], v[14:15]
	v_fma_f64 v[84:85], v[58:59], v[12:13], -v[84:85]
	v_fmac_f64_e32 v[14:15], v[60:61], v[12:13]
	v_mul_f64 v[12:13], v[60:61], v[52:53]
	v_add_f64 v[72:73], v[72:73], v[84:85]
	v_add_f64 v[74:75], v[14:15], v[74:75]
	v_fma_f64 v[84:85], v[58:59], v[50:51], -v[12:13]
	v_mul_f64 v[52:53], v[58:59], v[52:53]
	ds_read_b128 v[12:15], v69 offset:15872
	v_fmac_f64_e32 v[52:53], v[60:61], v[50:51]
	v_add_f64 v[82:83], v[52:53], v[82:83]
	ds_read_b128 v[50:53], v69 offset:16128
	s_add_u32 s46, s46, 32
	s_waitcnt lgkmcnt(1)
	v_mul_f64 v[58:59], v[56:57], v[14:15]
	v_fma_f64 v[58:59], v[54:55], v[12:13], -v[58:59]
	v_add_f64 v[62:63], v[62:63], v[58:59]
	s_waitcnt lgkmcnt(0)
	v_mul_f64 v[58:59], v[56:57], v[52:53]
	v_mul_f64 v[60:61], v[54:55], v[14:15]
	v_fma_f64 v[58:59], v[54:55], v[50:51], -v[58:59]
	v_mul_f64 v[54:55], v[54:55], v[52:53]
	v_fmac_f64_e32 v[60:61], v[56:57], v[12:13]
	v_fmac_f64_e32 v[54:55], v[56:57], v[50:51]
	v_add_f64 v[64:65], v[60:61], v[64:65]
	v_add_f64 v[60:61], v[54:55], v[76:77]
	v_mul_f64 v[54:55], v[10:11], v[14:15]
	v_mul_f64 v[14:15], v[8:9], v[14:15]
	v_fma_f64 v[54:55], v[8:9], v[12:13], -v[54:55]
	v_fmac_f64_e32 v[14:15], v[10:11], v[12:13]
	v_mul_f64 v[12:13], v[10:11], v[52:53]
	v_fma_f64 v[12:13], v[8:9], v[50:51], -v[12:13]
	v_mul_f64 v[8:9], v[8:9], v[52:53]
	v_add_f64 v[80:81], v[80:81], v[84:85]
	v_fmac_f64_e32 v[8:9], v[10:11], v[50:51]
	s_addc_u32 s47, s47, 0
	v_add_f64 v[58:59], v[78:79], v[58:59]
	v_add_f64 v[54:55], v[72:73], v[54:55]
	v_add_f64 v[56:57], v[14:15], v[74:75]
	v_add_f64 v[52:53], v[80:81], v[12:13]
	v_add_f64 v[50:51], v[8:9], v[82:83]
	v_lshl_add_u64 v[48:49], v[48:49], 0, s[54:55]
	v_lshl_add_u64 v[36:37], v[36:37], 0, s[52:53]
	s_cmp_ge_i32 s46, s67
	v_lshl_add_u64 v[38:39], v[38:39], 0, s[52:53]
	s_barrier
	s_cbranch_scc1 .LBB127_56
.LBB127_7:                              ;   Parent Loop BB127_4 Depth=1
                                        ; =>  This Inner Loop Header: Depth=2
	v_lshl_add_u64 v[10:11], v[20:21], 0, s[46:47]
	v_cmp_eq_u64_e64 s[4:5], s[46:47], v[30:31]
	v_cmp_lt_i64_e64 s[10:11], v[10:11], v[28:29]
	s_and_b64 s[62:63], s[34:35], s[4:5]
	v_cmp_le_i64_e64 s[12:13], s[30:31], v[10:11]
	s_or_b64 s[4:5], s[6:7], s[10:11]
	s_or_b64 s[4:5], s[12:13], s[4:5]
	v_lshl_add_u64 v[8:9], v[36:37], 0, v[34:35]
	s_nor_b64 s[4:5], s[4:5], s[62:63]
	s_and_saveexec_b64 s[14:15], s[4:5]
	s_xor_b64 s[4:5], exec, s[14:15]
	s_cbranch_execz .LBB127_9
; %bb.8:                                ;   in Loop: Header=BB127_7 Depth=2
	global_load_dwordx4 v[12:15], v[8:9], off offset:-256
	s_waitcnt vmcnt(0)
	ds_write2_b64 v68, v[12:13], v[14:15] offset1:1
.LBB127_9:                              ;   in Loop: Header=BB127_7 Depth=2
	s_or_saveexec_b64 s[4:5], s[4:5]
	s_xor_b64 s[50:51], s[62:63], -1
	s_xor_b64 exec, exec, s[4:5]
	s_cbranch_execz .LBB127_15
; %bb.10:                               ;   in Loop: Header=BB127_7 Depth=2
	s_and_saveexec_b64 s[14:15], s[50:51]
	s_xor_b64 s[14:15], exec, s[14:15]
; %bb.11:                               ;   in Loop: Header=BB127_7 Depth=2
	ds_write_b128 v68, v[0:3]
; %bb.12:                               ;   in Loop: Header=BB127_7 Depth=2
	s_andn2_saveexec_b64 s[14:15], s[14:15]
; %bb.13:                               ;   in Loop: Header=BB127_7 Depth=2
	ds_write_b128 v68, v[4:7]
; %bb.14:                               ;   in Loop: Header=BB127_7 Depth=2
	s_or_b64 exec, exec, s[14:15]
.LBB127_15:                             ;   in Loop: Header=BB127_7 Depth=2
	s_or_b64 exec, exec, s[4:5]
	v_lshl_add_u64 v[12:13], v[10:11], 0, 16
	v_cmp_eq_u64_e64 s[4:5], s[46:47], v[46:47]
	s_and_b64 s[64:65], s[34:35], s[4:5]
	v_cmp_lt_i64_e64 s[4:5], v[12:13], v[28:29]
	v_cmp_le_i64_e64 s[14:15], s[30:31], v[12:13]
	s_or_b64 s[4:5], s[6:7], s[4:5]
	s_or_b64 s[4:5], s[14:15], s[4:5]
	s_nor_b64 s[4:5], s[4:5], s[64:65]
	v_lshl_add_u64 v[12:13], v[38:39], 0, v[34:35]
	s_and_saveexec_b64 s[68:69], s[4:5]
	s_xor_b64 s[4:5], exec, s[68:69]
	s_cbranch_execz .LBB127_17
; %bb.16:                               ;   in Loop: Header=BB127_7 Depth=2
	global_load_dwordx4 v[72:75], v[12:13], off
	v_add_u32_e32 v14, 0x100, v68
	s_waitcnt vmcnt(0)
	ds_write2_b64 v14, v[72:73], v[74:75] offset1:1
.LBB127_17:                             ;   in Loop: Header=BB127_7 Depth=2
	s_andn2_saveexec_b64 s[4:5], s[4:5]
	s_cbranch_execz .LBB127_23
; %bb.18:                               ;   in Loop: Header=BB127_7 Depth=2
	s_xor_b64 s[64:65], s[64:65], -1
	s_and_saveexec_b64 s[68:69], s[64:65]
	s_xor_b64 s[64:65], exec, s[68:69]
; %bb.19:                               ;   in Loop: Header=BB127_7 Depth=2
	ds_write_b128 v68, v[0:3] offset:256
; %bb.20:                               ;   in Loop: Header=BB127_7 Depth=2
	s_andn2_saveexec_b64 s[64:65], s[64:65]
; %bb.21:                               ;   in Loop: Header=BB127_7 Depth=2
	ds_write_b128 v68, v[4:7] offset:256
; %bb.22:                               ;   in Loop: Header=BB127_7 Depth=2
	s_or_b64 exec, exec, s[64:65]
.LBB127_23:                             ;   in Loop: Header=BB127_7 Depth=2
	s_or_b64 exec, exec, s[4:5]
	v_cmp_eq_u64_e64 s[4:5], s[46:47], v[44:45]
	s_and_b64 s[64:65], s[34:35], s[4:5]
	v_cmp_lt_i64_e64 s[4:5], v[10:11], v[42:43]
	s_or_b64 s[4:5], s[8:9], s[4:5]
	s_or_b64 s[4:5], s[4:5], s[64:65]
	s_nor_b64 s[4:5], s[12:13], s[4:5]
	s_and_saveexec_b64 s[12:13], s[4:5]
	s_xor_b64 s[4:5], exec, s[12:13]
	s_cbranch_execz .LBB127_25
; %bb.24:                               ;   in Loop: Header=BB127_7 Depth=2
	global_load_dwordx4 v[8:11], v[8:9], off
	v_add_u32_e32 v14, 0x2000, v68
	s_waitcnt vmcnt(0)
	ds_write2_b64 v14, v[8:9], v[10:11] offset1:1
.LBB127_25:                             ;   in Loop: Header=BB127_7 Depth=2
	s_andn2_saveexec_b64 s[4:5], s[4:5]
	s_cbranch_execz .LBB127_31
; %bb.26:                               ;   in Loop: Header=BB127_7 Depth=2
	s_xor_b64 s[12:13], s[64:65], -1
	s_and_saveexec_b64 s[64:65], s[12:13]
	s_xor_b64 s[12:13], exec, s[64:65]
; %bb.27:                               ;   in Loop: Header=BB127_7 Depth=2
	ds_write_b128 v68, v[0:3] offset:8192
; %bb.28:                               ;   in Loop: Header=BB127_7 Depth=2
	s_andn2_saveexec_b64 s[12:13], s[12:13]
; %bb.29:                               ;   in Loop: Header=BB127_7 Depth=2
	ds_write_b128 v68, v[4:7] offset:8192
; %bb.30:                               ;   in Loop: Header=BB127_7 Depth=2
	s_or_b64 exec, exec, s[12:13]
.LBB127_31:                             ;   in Loop: Header=BB127_7 Depth=2
	s_or_b64 exec, exec, s[4:5]
	s_or_b64 s[4:5], s[8:9], s[10:11]
	s_or_b64 s[4:5], s[14:15], s[4:5]
	s_nor_b64 s[4:5], s[4:5], s[62:63]
	s_and_saveexec_b64 s[10:11], s[4:5]
	s_xor_b64 s[4:5], exec, s[10:11]
	s_cbranch_execz .LBB127_33
; %bb.32:                               ;   in Loop: Header=BB127_7 Depth=2
	global_load_dwordx4 v[8:11], v[12:13], off offset:256
	v_add_u32_e32 v12, 0x2100, v68
	s_waitcnt vmcnt(0)
	ds_write2_b64 v12, v[8:9], v[10:11] offset1:1
.LBB127_33:                             ;   in Loop: Header=BB127_7 Depth=2
	s_andn2_saveexec_b64 s[4:5], s[4:5]
	s_cbranch_execz .LBB127_39
; %bb.34:                               ;   in Loop: Header=BB127_7 Depth=2
	s_and_saveexec_b64 s[10:11], s[50:51]
	s_xor_b64 s[10:11], exec, s[10:11]
; %bb.35:                               ;   in Loop: Header=BB127_7 Depth=2
	ds_write_b128 v68, v[0:3] offset:8448
; %bb.36:                               ;   in Loop: Header=BB127_7 Depth=2
	s_andn2_saveexec_b64 s[10:11], s[10:11]
; %bb.37:                               ;   in Loop: Header=BB127_7 Depth=2
	ds_write_b128 v68, v[4:7] offset:8448
; %bb.38:                               ;   in Loop: Header=BB127_7 Depth=2
	s_or_b64 exec, exec, s[10:11]
.LBB127_39:                             ;   in Loop: Header=BB127_7 Depth=2
	s_or_b64 exec, exec, s[4:5]
	v_lshl_add_u64 v[8:9], v[22:23], 0, s[46:47]
	v_cmp_le_i64_e64 s[10:11], s[30:31], v[8:9]
	v_lshl_add_u64 v[10:11], v[32:33], 0, v[48:49]
	s_nor_b64 s[4:5], s[10:11], vcc
	s_and_saveexec_b64 s[12:13], s[4:5]
	s_xor_b64 s[4:5], exec, s[12:13]
	s_cbranch_execz .LBB127_41
; %bb.40:                               ;   in Loop: Header=BB127_7 Depth=2
	global_load_dwordx4 v[12:15], v[10:11], off offset:-256
	s_waitcnt vmcnt(0)
	ds_write2_b64 v70, v[12:13], v[14:15] offset1:1
.LBB127_41:                             ;   in Loop: Header=BB127_7 Depth=2
	s_andn2_saveexec_b64 s[4:5], s[4:5]
; %bb.42:                               ;   in Loop: Header=BB127_7 Depth=2
	ds_write_b128 v70, v[0:3]
; %bb.43:                               ;   in Loop: Header=BB127_7 Depth=2
	s_or_b64 exec, exec, s[4:5]
	s_nor_b64 s[4:5], s[10:11], s[0:1]
	s_and_saveexec_b64 s[10:11], s[4:5]
	s_xor_b64 s[4:5], exec, s[10:11]
	s_cbranch_execz .LBB127_45
; %bb.44:                               ;   in Loop: Header=BB127_7 Depth=2
	global_load_dwordx4 v[10:13], v[10:11], off
	v_add_u32_e32 v14, 0x100, v70
	s_waitcnt vmcnt(0)
	ds_write2_b64 v14, v[10:11], v[12:13] offset1:1
.LBB127_45:                             ;   in Loop: Header=BB127_7 Depth=2
	s_andn2_saveexec_b64 s[4:5], s[4:5]
; %bb.46:                               ;   in Loop: Header=BB127_7 Depth=2
	ds_write_b128 v70, v[0:3] offset:256
; %bb.47:                               ;   in Loop: Header=BB127_7 Depth=2
	s_or_b64 exec, exec, s[4:5]
	v_cmp_le_i64_e64 s[10:11], s[56:57], v[8:9]
	v_lshl_add_u64 v[8:9], v[40:41], 0, v[48:49]
	s_nor_b64 s[4:5], s[10:11], vcc
	s_and_saveexec_b64 s[12:13], s[4:5]
	s_xor_b64 s[4:5], exec, s[12:13]
	s_cbranch_execz .LBB127_49
; %bb.48:                               ;   in Loop: Header=BB127_7 Depth=2
	global_load_dwordx4 v[10:13], v[8:9], off
	v_add_u32_e32 v14, 0x2000, v70
	s_waitcnt vmcnt(0)
	ds_write2_b64 v14, v[10:11], v[12:13] offset1:1
.LBB127_49:                             ;   in Loop: Header=BB127_7 Depth=2
	s_andn2_saveexec_b64 s[4:5], s[4:5]
; %bb.50:                               ;   in Loop: Header=BB127_7 Depth=2
	ds_write_b128 v70, v[0:3] offset:8192
; %bb.51:                               ;   in Loop: Header=BB127_7 Depth=2
	s_or_b64 exec, exec, s[4:5]
	s_nor_b64 s[4:5], s[10:11], s[0:1]
	s_and_saveexec_b64 s[10:11], s[4:5]
	s_xor_b64 s[4:5], exec, s[10:11]
	s_cbranch_execz .LBB127_53
; %bb.52:                               ;   in Loop: Header=BB127_7 Depth=2
	global_load_dwordx4 v[8:11], v[8:9], off offset:256
	s_waitcnt vmcnt(0)
	ds_write2_b64 v71, v[8:9], v[10:11] offset1:1
.LBB127_53:                             ;   in Loop: Header=BB127_7 Depth=2
	s_andn2_saveexec_b64 s[4:5], s[4:5]
	s_cbranch_execz .LBB127_6
; %bb.54:                               ;   in Loop: Header=BB127_7 Depth=2
	ds_write_b128 v70, v[0:3] offset:8448
	s_branch .LBB127_6
.LBB127_55:                             ;   in Loop: Header=BB127_4 Depth=1
	v_mov_b64_e32 v[62:63], 0
	v_mov_b64_e32 v[64:65], 0
	;; [unrolled: 1-line block ×8, first 2 shown]
.LBB127_56:                             ;   in Loop: Header=BB127_4 Depth=1
	v_mul_lo_u32 v10, s21, v28
	v_mul_lo_u32 v11, s20, v29
	v_mad_u64_u32 v[8:9], s[4:5], s20, v28, 0
	v_cmp_gt_i32_e64 s[6:7], s30, v28
	v_add3_u32 v9, v9, v11, v10
	v_lshl_add_u64 v[8:9], v[8:9], 4, s[22:23]
	s_and_b64 s[8:9], s[16:17], s[6:7]
	s_and_saveexec_b64 s[4:5], s[8:9]
	s_cbranch_execz .LBB127_58
; %bb.57:                               ;   in Loop: Header=BB127_4 Depth=1
	v_lshl_add_u64 v[14:15], v[16:17], 4, v[8:9]
	global_load_dwordx4 v[10:13], v[14:15], off
	v_mul_f64 v[30:31], s[26:27], v[64:65]
	v_mul_f64 v[32:33], s[24:25], v[64:65]
	v_fma_f64 v[30:31], s[24:25], v[62:63], -v[30:31]
	v_fmac_f64_e32 v[32:33], s[26:27], v[62:63]
	s_waitcnt vmcnt(0)
	v_add_f64 v[10:11], v[10:11], v[30:31]
	v_add_f64 v[12:13], v[32:33], v[12:13]
	global_store_dwordx4 v[14:15], v[10:13], off
.LBB127_58:                             ;   in Loop: Header=BB127_4 Depth=1
	s_or_b64 exec, exec, s[4:5]
	s_and_b64 s[6:7], s[18:19], s[6:7]
	s_and_saveexec_b64 s[4:5], s[6:7]
	s_cbranch_execz .LBB127_60
; %bb.59:                               ;   in Loop: Header=BB127_4 Depth=1
	v_lshl_add_u64 v[12:13], v[18:19], 4, v[8:9]
	global_load_dwordx4 v[8:11], v[12:13], off
	v_mul_f64 v[14:15], s[26:27], v[60:61]
	v_mul_f64 v[30:31], s[24:25], v[60:61]
	v_fma_f64 v[14:15], s[24:25], v[58:59], -v[14:15]
	v_fmac_f64_e32 v[30:31], s[26:27], v[58:59]
	s_waitcnt vmcnt(0)
	v_add_f64 v[8:9], v[8:9], v[14:15]
	v_add_f64 v[10:11], v[30:31], v[10:11]
	global_store_dwordx4 v[12:13], v[8:11], off
.LBB127_60:                             ;   in Loop: Header=BB127_4 Depth=1
	s_or_b64 exec, exec, s[4:5]
	s_nop 0
	v_add_u32_e32 v8, 16, v28
	v_ashrrev_i32_e32 v9, 31, v8
	v_cmp_gt_i32_e64 s[6:7], s30, v8
	v_mul_lo_u32 v10, s20, v9
	v_mul_lo_u32 v11, s21, v8
	v_mad_u64_u32 v[8:9], s[4:5], s20, v8, 0
	v_add3_u32 v9, v9, v10, v11
	v_lshl_add_u64 v[8:9], v[8:9], 4, s[22:23]
	s_and_b64 s[8:9], s[16:17], s[6:7]
	s_and_saveexec_b64 s[4:5], s[8:9]
	s_cbranch_execz .LBB127_62
; %bb.61:                               ;   in Loop: Header=BB127_4 Depth=1
	v_lshl_add_u64 v[14:15], v[16:17], 4, v[8:9]
	global_load_dwordx4 v[10:13], v[14:15], off
	v_mul_f64 v[28:29], s[26:27], v[56:57]
	v_mul_f64 v[30:31], s[24:25], v[56:57]
	v_fma_f64 v[28:29], s[24:25], v[54:55], -v[28:29]
	v_fmac_f64_e32 v[30:31], s[26:27], v[54:55]
	s_waitcnt vmcnt(0)
	v_add_f64 v[10:11], v[10:11], v[28:29]
	v_add_f64 v[12:13], v[30:31], v[12:13]
	global_store_dwordx4 v[14:15], v[10:13], off
.LBB127_62:                             ;   in Loop: Header=BB127_4 Depth=1
	s_or_b64 exec, exec, s[4:5]
	s_and_b64 s[6:7], s[18:19], s[6:7]
	s_and_saveexec_b64 s[4:5], s[6:7]
	s_cbranch_execz .LBB127_3
; %bb.63:                               ;   in Loop: Header=BB127_4 Depth=1
	v_lshl_add_u64 v[12:13], v[18:19], 4, v[8:9]
	global_load_dwordx4 v[8:11], v[12:13], off
	v_mul_f64 v[14:15], s[26:27], v[50:51]
	v_mul_f64 v[28:29], s[24:25], v[50:51]
	v_fma_f64 v[14:15], s[24:25], v[52:53], -v[14:15]
	v_fmac_f64_e32 v[28:29], s[26:27], v[52:53]
	s_waitcnt vmcnt(0)
	v_add_f64 v[8:9], v[8:9], v[14:15]
	v_add_f64 v[10:11], v[28:29], v[10:11]
	global_store_dwordx4 v[12:13], v[8:11], off
	s_branch .LBB127_3
.LBB127_64:
	s_endpgm
	.section	.rodata,"a",@progbits
	.p2align	6, 0x0
	.amdhsa_kernel _ZL30rocblas_trmm_outofplace_kernelI19rocblas_complex_numIdELi32ELi2ELb0ELb1ELb1ELb0ES1_KS1_S1_Ev17rocblas_diagonal_iiT6_lPT7_lllS6_lllPT8_llli
		.amdhsa_group_segment_fixed_size 32768
		.amdhsa_private_segment_fixed_size 0
		.amdhsa_kernarg_size 400
		.amdhsa_user_sgpr_count 2
		.amdhsa_user_sgpr_dispatch_ptr 0
		.amdhsa_user_sgpr_queue_ptr 0
		.amdhsa_user_sgpr_kernarg_segment_ptr 1
		.amdhsa_user_sgpr_dispatch_id 0
		.amdhsa_user_sgpr_kernarg_preload_length 0
		.amdhsa_user_sgpr_kernarg_preload_offset 0
		.amdhsa_user_sgpr_private_segment_size 0
		.amdhsa_uses_dynamic_stack 0
		.amdhsa_enable_private_segment 0
		.amdhsa_system_sgpr_workgroup_id_x 1
		.amdhsa_system_sgpr_workgroup_id_y 1
		.amdhsa_system_sgpr_workgroup_id_z 1
		.amdhsa_system_sgpr_workgroup_info 0
		.amdhsa_system_vgpr_workitem_id 1
		.amdhsa_next_free_vgpr 94
		.amdhsa_next_free_sgpr 70
		.amdhsa_accum_offset 96
		.amdhsa_reserve_vcc 1
		.amdhsa_float_round_mode_32 0
		.amdhsa_float_round_mode_16_64 0
		.amdhsa_float_denorm_mode_32 3
		.amdhsa_float_denorm_mode_16_64 3
		.amdhsa_dx10_clamp 1
		.amdhsa_ieee_mode 1
		.amdhsa_fp16_overflow 0
		.amdhsa_tg_split 0
		.amdhsa_exception_fp_ieee_invalid_op 0
		.amdhsa_exception_fp_denorm_src 0
		.amdhsa_exception_fp_ieee_div_zero 0
		.amdhsa_exception_fp_ieee_overflow 0
		.amdhsa_exception_fp_ieee_underflow 0
		.amdhsa_exception_fp_ieee_inexact 0
		.amdhsa_exception_int_div_zero 0
	.end_amdhsa_kernel
	.section	.text._ZL30rocblas_trmm_outofplace_kernelI19rocblas_complex_numIdELi32ELi2ELb0ELb1ELb1ELb0ES1_KS1_S1_Ev17rocblas_diagonal_iiT6_lPT7_lllS6_lllPT8_llli,"axG",@progbits,_ZL30rocblas_trmm_outofplace_kernelI19rocblas_complex_numIdELi32ELi2ELb0ELb1ELb1ELb0ES1_KS1_S1_Ev17rocblas_diagonal_iiT6_lPT7_lllS6_lllPT8_llli,comdat
.Lfunc_end127:
	.size	_ZL30rocblas_trmm_outofplace_kernelI19rocblas_complex_numIdELi32ELi2ELb0ELb1ELb1ELb0ES1_KS1_S1_Ev17rocblas_diagonal_iiT6_lPT7_lllS6_lllPT8_llli, .Lfunc_end127-_ZL30rocblas_trmm_outofplace_kernelI19rocblas_complex_numIdELi32ELi2ELb0ELb1ELb1ELb0ES1_KS1_S1_Ev17rocblas_diagonal_iiT6_lPT7_lllS6_lllPT8_llli
                                        ; -- End function
	.set _ZL30rocblas_trmm_outofplace_kernelI19rocblas_complex_numIdELi32ELi2ELb0ELb1ELb1ELb0ES1_KS1_S1_Ev17rocblas_diagonal_iiT6_lPT7_lllS6_lllPT8_llli.num_vgpr, 94
	.set _ZL30rocblas_trmm_outofplace_kernelI19rocblas_complex_numIdELi32ELi2ELb0ELb1ELb1ELb0ES1_KS1_S1_Ev17rocblas_diagonal_iiT6_lPT7_lllS6_lllPT8_llli.num_agpr, 0
	.set _ZL30rocblas_trmm_outofplace_kernelI19rocblas_complex_numIdELi32ELi2ELb0ELb1ELb1ELb0ES1_KS1_S1_Ev17rocblas_diagonal_iiT6_lPT7_lllS6_lllPT8_llli.numbered_sgpr, 70
	.set _ZL30rocblas_trmm_outofplace_kernelI19rocblas_complex_numIdELi32ELi2ELb0ELb1ELb1ELb0ES1_KS1_S1_Ev17rocblas_diagonal_iiT6_lPT7_lllS6_lllPT8_llli.num_named_barrier, 0
	.set _ZL30rocblas_trmm_outofplace_kernelI19rocblas_complex_numIdELi32ELi2ELb0ELb1ELb1ELb0ES1_KS1_S1_Ev17rocblas_diagonal_iiT6_lPT7_lllS6_lllPT8_llli.private_seg_size, 0
	.set _ZL30rocblas_trmm_outofplace_kernelI19rocblas_complex_numIdELi32ELi2ELb0ELb1ELb1ELb0ES1_KS1_S1_Ev17rocblas_diagonal_iiT6_lPT7_lllS6_lllPT8_llli.uses_vcc, 1
	.set _ZL30rocblas_trmm_outofplace_kernelI19rocblas_complex_numIdELi32ELi2ELb0ELb1ELb1ELb0ES1_KS1_S1_Ev17rocblas_diagonal_iiT6_lPT7_lllS6_lllPT8_llli.uses_flat_scratch, 0
	.set _ZL30rocblas_trmm_outofplace_kernelI19rocblas_complex_numIdELi32ELi2ELb0ELb1ELb1ELb0ES1_KS1_S1_Ev17rocblas_diagonal_iiT6_lPT7_lllS6_lllPT8_llli.has_dyn_sized_stack, 0
	.set _ZL30rocblas_trmm_outofplace_kernelI19rocblas_complex_numIdELi32ELi2ELb0ELb1ELb1ELb0ES1_KS1_S1_Ev17rocblas_diagonal_iiT6_lPT7_lllS6_lllPT8_llli.has_recursion, 0
	.set _ZL30rocblas_trmm_outofplace_kernelI19rocblas_complex_numIdELi32ELi2ELb0ELb1ELb1ELb0ES1_KS1_S1_Ev17rocblas_diagonal_iiT6_lPT7_lllS6_lllPT8_llli.has_indirect_call, 0
	.section	.AMDGPU.csdata,"",@progbits
; Kernel info:
; codeLenInByte = 9100
; TotalNumSgprs: 76
; NumVgprs: 94
; NumAgprs: 0
; TotalNumVgprs: 94
; ScratchSize: 0
; MemoryBound: 0
; FloatMode: 240
; IeeeMode: 1
; LDSByteSize: 32768 bytes/workgroup (compile time only)
; SGPRBlocks: 9
; VGPRBlocks: 11
; NumSGPRsForWavesPerEU: 76
; NumVGPRsForWavesPerEU: 94
; AccumOffset: 96
; Occupancy: 5
; WaveLimiterHint : 0
; COMPUTE_PGM_RSRC2:SCRATCH_EN: 0
; COMPUTE_PGM_RSRC2:USER_SGPR: 2
; COMPUTE_PGM_RSRC2:TRAP_HANDLER: 0
; COMPUTE_PGM_RSRC2:TGID_X_EN: 1
; COMPUTE_PGM_RSRC2:TGID_Y_EN: 1
; COMPUTE_PGM_RSRC2:TGID_Z_EN: 1
; COMPUTE_PGM_RSRC2:TIDIG_COMP_CNT: 1
; COMPUTE_PGM_RSRC3_GFX90A:ACCUM_OFFSET: 23
; COMPUTE_PGM_RSRC3_GFX90A:TG_SPLIT: 0
	.section	.text._ZL30rocblas_trmm_outofplace_kernelI19rocblas_complex_numIdELi32ELi2ELb0ELb0ELb1ELb1EPKS1_S2_S1_Ev17rocblas_diagonal_iiT6_lPT7_lllS7_lllPT8_llli,"axG",@progbits,_ZL30rocblas_trmm_outofplace_kernelI19rocblas_complex_numIdELi32ELi2ELb0ELb0ELb1ELb1EPKS1_S2_S1_Ev17rocblas_diagonal_iiT6_lPT7_lllS7_lllPT8_llli,comdat
	.globl	_ZL30rocblas_trmm_outofplace_kernelI19rocblas_complex_numIdELi32ELi2ELb0ELb0ELb1ELb1EPKS1_S2_S1_Ev17rocblas_diagonal_iiT6_lPT7_lllS7_lllPT8_llli ; -- Begin function _ZL30rocblas_trmm_outofplace_kernelI19rocblas_complex_numIdELi32ELi2ELb0ELb0ELb1ELb1EPKS1_S2_S1_Ev17rocblas_diagonal_iiT6_lPT7_lllS7_lllPT8_llli
	.p2align	8
	.type	_ZL30rocblas_trmm_outofplace_kernelI19rocblas_complex_numIdELi32ELi2ELb0ELb0ELb1ELb1EPKS1_S2_S1_Ev17rocblas_diagonal_iiT6_lPT7_lllS7_lllPT8_llli,@function
_ZL30rocblas_trmm_outofplace_kernelI19rocblas_complex_numIdELi32ELi2ELb0ELb0ELb1ELb1EPKS1_S2_S1_Ev17rocblas_diagonal_iiT6_lPT7_lllS7_lllPT8_llli: ; @_ZL30rocblas_trmm_outofplace_kernelI19rocblas_complex_numIdELi32ELi2ELb0ELb0ELb1ELb1EPKS1_S2_S1_Ev17rocblas_diagonal_iiT6_lPT7_lllS7_lllPT8_llli
; %bb.0:
	s_load_dwordx16 s[16:31], s[0:1], 0x10
	s_waitcnt lgkmcnt(0)
	s_mul_i32 s5, s19, s4
	s_mul_hi_u32 s6, s18, s4
	s_add_i32 s7, s6, s5
	s_mul_i32 s6, s18, s4
	s_lshl_b64 s[6:7], s[6:7], 4
	s_add_u32 s6, s16, s6
	s_addc_u32 s7, s17, s7
	s_load_dwordx4 s[36:39], s[6:7], 0x0
	s_waitcnt lgkmcnt(0)
	v_cmp_eq_f64_e64 s[6:7], s[36:37], 0
	v_cmp_eq_f64_e64 s[8:9], s[38:39], 0
	s_and_b64 s[6:7], s[6:7], s[8:9]
	s_and_b64 vcc, exec, s[6:7]
	s_cbranch_vccnz .LBB128_63
; %bb.1:
	s_load_dwordx4 s[40:43], s[0:1], 0x0
	s_waitcnt lgkmcnt(0)
	s_add_i32 s5, s42, -1
	s_ashr_i32 s6, s5, 31
	s_lshr_b32 s6, s6, 27
	s_add_i32 s5, s5, s6
	s_ashr_i32 s33, s5, 5
	s_cmp_gt_i32 s3, s33
	s_cbranch_scc1 .LBB128_63
; %bb.2:
	s_load_dwordx8 s[8:15], s[0:1], 0x50
	s_load_dwordx4 s[44:47], s[0:1], 0x70
	s_mul_i32 s5, s27, s4
	s_mul_hi_u32 s6, s26, s4
	s_add_i32 s7, s6, s5
	s_mul_i32 s6, s26, s4
	s_lshl_b64 s[50:51], s[6:7], 4
	s_add_u32 s5, s20, s50
	s_addc_u32 s7, s21, s51
	s_lshl_b64 s[52:53], s[22:23], 4
	s_add_u32 s6, s5, s52
	s_load_dword s54, s[0:1], 0x8c
	s_waitcnt lgkmcnt(0)
	s_mul_i32 s0, s47, s4
	s_mul_hi_u32 s1, s46, s4
	s_addc_u32 s7, s7, s53
	s_add_i32 s1, s1, s0
	s_mul_i32 s0, s46, s4
	s_lshl_b64 s[0:1], s[0:1], 4
	s_add_u32 s5, s12, s0
	s_addc_u32 s12, s13, s1
	s_lshl_b64 s[0:1], s[14:15], 4
	s_add_u32 s22, s5, s0
	v_and_b32_e32 v14, 0x3ff, v0
	v_bfe_u32 v12, v0, 10, 10
	s_addc_u32 s23, s12, s1
	v_mad_u64_u32 v[0:1], s[0:1], s24, v14, 0
	v_mov_b32_e32 v2, v1
	v_mad_u64_u32 v[2:3], s[0:1], s25, v14, v[2:3]
	s_cmpk_eq_i32 s40, 0x84
	v_lshl_add_u32 v16, s2, 5, v14
	v_mov_b32_e32 v1, v2
	s_cselect_b64 s[26:27], -1, 0
	s_ashr_i32 s0, s41, 31
	v_ashrrev_i32_e32 v17, 31, v16
	v_lshl_add_u64 v[18:19], v[0:1], 4, s[6:7]
	v_mov_b32_e32 v1, s0
	v_sub_co_u32_e32 v0, vcc, s41, v16
	v_sub_co_u32_e64 v22, s[6:7], 0, v14
	s_nop 0
	v_subb_co_u32_e32 v1, vcc, v1, v17, vcc
	v_cmp_gt_i64_e32 vcc, 1, v[0:1]
	v_cmp_gt_i64_e64 s[0:1], 17, v[0:1]
	v_subb_co_u32_e64 v23, s[6:7], 0, 0, s[6:7]
	v_mad_u64_u32 v[0:1], s[6:7], s8, v12, 0
	v_mov_b32_e32 v2, v1
	s_ashr_i32 s43, s42, 31
	s_lshl_b64 s[34:35], s[24:25], 9
	s_lshl_b64 s[46:47], s[8:9], 9
	v_mad_u64_u32 v[2:3], s[6:7], s9, v12, v[2:3]
	s_add_u32 s48, s42, -16
	s_mul_i32 s5, s11, s4
	s_mul_hi_u32 s6, s10, s4
	s_addc_u32 s49, s43, -1
	s_add_i32 s5, s6, s5
	s_mul_i32 s4, s10, s4
	s_lshl_b32 s2, s54, 5
	s_lshl_b64 s[4:5], s[4:5], 4
	s_lshl_b64 s[6:7], s[30:31], 4
	s_add_u32 s4, s4, s6
	s_addc_u32 s5, s5, s7
	s_add_u32 s4, s28, s4
	v_mov_b32_e32 v1, v2
	s_addc_u32 s5, s29, s5
	v_lshlrev_b64 v[26:27], 4, v[0:1]
	v_lshl_add_u64 v[0:1], v[16:17], 4, s[4:5]
	s_mov_b64 s[4:5], 0x100
	v_lshl_add_u64 v[28:29], v[0:1], 0, s[4:5]
	v_mov_b32_e32 v0, 0x100
	v_lshl_add_u32 v1, v12, 4, v0
	v_mad_u64_u32 v[30:31], s[4:5], s8, v1, 0
	v_mov_b32_e32 v0, v31
	v_mad_u64_u32 v[0:1], s[4:5], s9, v1, v[0:1]
	s_add_u32 s4, s20, s52
	s_addc_u32 s5, s21, s53
	s_add_u32 s4, s4, s50
	v_lshlrev_b32_e32 v4, 4, v14
	s_addc_u32 s5, s5, s51
	v_mov_b32_e32 v31, v0
	v_add_u32_e32 v2, 0x100, v4
	v_mov_b64_e32 v[0:1], s[4:5]
	v_mad_u64_u32 v[32:33], s[4:5], s24, v2, v[0:1]
	v_lshlrev_b32_e32 v68, 9, v12
	v_or_b32_e32 v70, 0x4000, v4
	v_mov_b32_e32 v0, v33
	v_mov_b32_e32 v15, 0
	v_add_u32_e32 v71, v70, v68
	v_add_u32_e32 v20, 16, v16
	v_mad_u64_u32 v[0:1], s[4:5], s25, v2, v[0:1]
	v_mov_b32_e32 v13, v15
	v_add_u32_e32 v69, v68, v4
	v_add_u32_e32 v72, 0x100, v71
	;; [unrolled: 1-line block ×4, first 2 shown]
	v_cmp_gt_i32_e64 s[16:17], s41, v16
	v_cmp_gt_i32_e64 s[18:19], s41, v20
	v_ashrrev_i32_e32 v21, 31, v20
	v_lshl_add_u32 v24, s3, 5, v12
	v_mov_b32_e32 v33, v0
	v_mov_b32_e32 v76, v15
	;; [unrolled: 1-line block ×9, first 2 shown]
	s_branch .LBB128_4
.LBB128_3:                              ;   in Loop: Header=BB128_4 Depth=1
	s_or_b64 exec, exec, s[4:5]
	s_add_i32 s3, s54, s3
	s_cmp_le_i32 s3, s33
	v_add_u32_e32 v24, s2, v24
	s_cbranch_scc0 .LBB128_63
.LBB128_4:                              ; =>This Loop Header: Depth=1
                                        ;     Child Loop BB128_7 Depth 2
	s_lshl_b32 s40, s3, 5
	v_add_u32_e32 v34, s40, v12
	v_ashrrev_i32_e32 v35, 31, v34
	v_mov_b64_e32 v[64:65], 0
	s_cmp_lt_i32 s3, 0
	v_mov_b64_e32 v[66:67], 0
	v_mov_b64_e32 v[60:61], 0
	;; [unrolled: 1-line block ×7, first 2 shown]
	s_cbranch_scc1 .LBB128_55
; %bb.5:                                ;   in Loop: Header=BB128_4 Depth=1
	v_ashrrev_i32_e32 v25, 31, v24
	v_lshl_add_u64 v[36:37], v[22:23], 0, v[24:25]
	v_lshl_add_u64 v[40:41], v[34:35], 0, 16
	v_lshlrev_b64 v[38:39], 4, v[24:25]
	v_cmp_le_i32_e64 s[6:7], s42, v34
	v_cmp_le_i64_e64 s[8:9], s[42:43], v[40:41]
	v_lshl_add_u64 v[42:43], v[36:37], 0, 16
	v_lshl_add_u64 v[44:45], v[36:37], 0, -16
	v_mov_b64_e32 v[52:53], 0
	s_mov_b64 s[20:21], 0
	v_mov_b64_e32 v[46:47], v[32:33]
	v_mov_b64_e32 v[48:49], v[18:19]
	;; [unrolled: 1-line block ×10, first 2 shown]
	s_branch .LBB128_7
.LBB128_6:                              ;   in Loop: Header=BB128_7 Depth=2
	s_or_b64 exec, exec, s[4:5]
	s_waitcnt lgkmcnt(0)
	s_barrier
	ds_read_b128 v[80:83], v70
	ds_read_b128 v[84:87], v68
	ds_read_b128 v[88:91], v68 offset:16
	ds_read_b128 v[8:11], v68 offset:32
	;; [unrolled: 1-line block ×4, first 2 shown]
	s_waitcnt lgkmcnt(4)
	v_mul_f64 v[96:97], v[86:87], v[82:83]
	v_fma_f64 v[96:97], v[84:85], v[80:81], -v[96:97]
	v_mul_f64 v[98:99], v[84:85], v[82:83]
	v_fmac_f64_e32 v[98:99], v[86:87], v[80:81]
	v_add_f64 v[96:97], v[64:65], v[96:97]
	s_waitcnt lgkmcnt(0)
	v_mul_f64 v[64:65], v[86:87], v[94:95]
	v_add_f64 v[98:99], v[98:99], v[66:67]
	v_fma_f64 v[100:101], v[84:85], v[92:93], -v[64:65]
	ds_read_b128 v[64:67], v68 offset:8192
	v_mul_f64 v[84:85], v[84:85], v[94:95]
	v_fmac_f64_e32 v[84:85], v[86:87], v[92:93]
	v_add_f64 v[86:87], v[60:61], v[100:101]
	v_add_f64 v[84:85], v[84:85], v[62:63]
	ds_read_b128 v[60:63], v68 offset:8208
	s_waitcnt lgkmcnt(1)
	v_mul_f64 v[100:101], v[66:67], v[82:83]
	v_fma_f64 v[100:101], v[64:65], v[80:81], -v[100:101]
	v_mul_f64 v[82:83], v[64:65], v[82:83]
	v_fmac_f64_e32 v[82:83], v[66:67], v[80:81]
	v_add_f64 v[80:81], v[56:57], v[100:101]
	v_mul_f64 v[56:57], v[66:67], v[94:95]
	v_add_f64 v[82:83], v[82:83], v[58:59]
	v_fma_f64 v[100:101], v[64:65], v[92:93], -v[56:57]
	v_mul_f64 v[64:65], v[64:65], v[94:95]
	ds_read_b128 v[56:59], v70 offset:512
	v_fmac_f64_e32 v[64:65], v[66:67], v[92:93]
	v_add_f64 v[66:67], v[54:55], v[100:101]
	v_add_f64 v[64:65], v[64:65], v[52:53]
	ds_read_b128 v[52:55], v70 offset:768
	s_waitcnt lgkmcnt(1)
	v_mul_f64 v[92:93], v[90:91], v[58:59]
	v_fma_f64 v[92:93], v[88:89], v[56:57], -v[92:93]
	v_add_f64 v[92:93], v[96:97], v[92:93]
	v_mul_f64 v[94:95], v[88:89], v[58:59]
	s_waitcnt lgkmcnt(0)
	v_mul_f64 v[96:97], v[90:91], v[54:55]
	v_fma_f64 v[96:97], v[88:89], v[52:53], -v[96:97]
	v_mul_f64 v[88:89], v[88:89], v[54:55]
	v_fmac_f64_e32 v[88:89], v[90:91], v[52:53]
	v_add_f64 v[84:85], v[88:89], v[84:85]
	v_mul_f64 v[88:89], v[62:63], v[58:59]
	v_mul_f64 v[58:59], v[60:61], v[58:59]
	v_fmac_f64_e32 v[94:95], v[90:91], v[56:57]
	v_fma_f64 v[88:89], v[60:61], v[56:57], -v[88:89]
	v_fmac_f64_e32 v[58:59], v[62:63], v[56:57]
	v_mul_f64 v[56:57], v[62:63], v[54:55]
	v_add_f64 v[82:83], v[58:59], v[82:83]
	v_fma_f64 v[58:59], v[60:61], v[52:53], -v[56:57]
	v_mul_f64 v[60:61], v[60:61], v[54:55]
	ds_read_b128 v[54:57], v70 offset:1024
	v_fmac_f64_e32 v[60:61], v[62:63], v[52:53]
	v_add_f64 v[80:81], v[80:81], v[88:89]
	v_add_f64 v[66:67], v[66:67], v[58:59]
	;; [unrolled: 1-line block ×3, first 2 shown]
	ds_read_b128 v[58:61], v70 offset:1280
	s_waitcnt lgkmcnt(1)
	v_mul_f64 v[52:53], v[10:11], v[56:57]
	v_mul_f64 v[62:63], v[8:9], v[56:57]
	v_add_f64 v[94:95], v[94:95], v[98:99]
	v_fma_f64 v[52:53], v[8:9], v[54:55], -v[52:53]
	v_fmac_f64_e32 v[62:63], v[10:11], v[54:55]
	v_add_f64 v[90:91], v[92:93], v[52:53]
	v_add_f64 v[92:93], v[62:63], v[94:95]
	ds_read_b128 v[62:65], v68 offset:8224
	s_waitcnt lgkmcnt(1)
	v_mul_f64 v[52:53], v[10:11], v[60:61]
	v_fma_f64 v[52:53], v[8:9], v[58:59], -v[52:53]
	v_mul_f64 v[8:9], v[8:9], v[60:61]
	v_add_f64 v[86:87], v[86:87], v[96:97]
	v_fmac_f64_e32 v[8:9], v[10:11], v[58:59]
	v_add_f64 v[86:87], v[86:87], v[52:53]
	v_add_f64 v[84:85], v[8:9], v[84:85]
	ds_read_b128 v[8:11], v68 offset:8240
	s_waitcnt lgkmcnt(1)
	v_mul_f64 v[52:53], v[64:65], v[56:57]
	v_fma_f64 v[52:53], v[62:63], v[54:55], -v[52:53]
	v_mul_f64 v[56:57], v[62:63], v[56:57]
	v_fmac_f64_e32 v[56:57], v[64:65], v[54:55]
	v_add_f64 v[80:81], v[80:81], v[52:53]
	v_mul_f64 v[52:53], v[64:65], v[60:61]
	v_add_f64 v[82:83], v[56:57], v[82:83]
	v_fma_f64 v[56:57], v[62:63], v[58:59], -v[52:53]
	v_mul_f64 v[60:61], v[62:63], v[60:61]
	ds_read_b128 v[52:55], v70 offset:1536
	v_fmac_f64_e32 v[60:61], v[64:65], v[58:59]
	v_add_f64 v[62:63], v[66:67], v[56:57]
	ds_read_b128 v[56:59], v70 offset:1792
	v_add_f64 v[60:61], v[60:61], v[88:89]
	s_waitcnt lgkmcnt(1)
	v_mul_f64 v[64:65], v[6:7], v[54:55]
	v_fma_f64 v[64:65], v[4:5], v[52:53], -v[64:65]
	v_mul_f64 v[66:67], v[4:5], v[54:55]
	s_waitcnt lgkmcnt(0)
	v_mul_f64 v[88:89], v[6:7], v[58:59]
	v_fma_f64 v[88:89], v[4:5], v[56:57], -v[88:89]
	v_mul_f64 v[4:5], v[4:5], v[58:59]
	v_fmac_f64_e32 v[4:5], v[6:7], v[56:57]
	v_add_f64 v[84:85], v[4:5], v[84:85]
	v_mul_f64 v[4:5], v[10:11], v[54:55]
	v_fmac_f64_e32 v[66:67], v[6:7], v[52:53]
	v_fma_f64 v[4:5], v[8:9], v[52:53], -v[4:5]
	v_mul_f64 v[6:7], v[8:9], v[54:55]
	v_fmac_f64_e32 v[6:7], v[10:11], v[52:53]
	v_add_f64 v[80:81], v[80:81], v[4:5]
	v_mul_f64 v[4:5], v[10:11], v[58:59]
	v_mul_f64 v[54:55], v[8:9], v[58:59]
	v_add_f64 v[82:83], v[6:7], v[82:83]
	v_fma_f64 v[52:53], v[8:9], v[56:57], -v[4:5]
	v_fmac_f64_e32 v[54:55], v[10:11], v[56:57]
	ds_read_b128 v[4:7], v68 offset:64
	ds_read_b128 v[8:11], v70 offset:2048
	v_add_f64 v[64:65], v[90:91], v[64:65]
	v_add_f64 v[86:87], v[86:87], v[88:89]
	;; [unrolled: 1-line block ×4, first 2 shown]
	ds_read_b128 v[52:55], v70 offset:2304
	ds_read_b128 v[56:59], v68 offset:80
	s_waitcnt lgkmcnt(2)
	v_mul_f64 v[60:61], v[6:7], v[10:11]
	v_fma_f64 v[60:61], v[4:5], v[8:9], -v[60:61]
	v_mul_f64 v[62:63], v[4:5], v[10:11]
	v_add_f64 v[66:67], v[66:67], v[92:93]
	v_fmac_f64_e32 v[62:63], v[6:7], v[8:9]
	v_add_f64 v[64:65], v[64:65], v[60:61]
	s_waitcnt lgkmcnt(1)
	v_mul_f64 v[60:61], v[6:7], v[54:55]
	v_add_f64 v[66:67], v[62:63], v[66:67]
	v_fma_f64 v[92:93], v[4:5], v[52:53], -v[60:61]
	ds_read_b128 v[60:63], v68 offset:8256
	v_mul_f64 v[4:5], v[4:5], v[54:55]
	v_fmac_f64_e32 v[4:5], v[6:7], v[52:53]
	v_add_f64 v[86:87], v[86:87], v[92:93]
	v_add_f64 v[84:85], v[4:5], v[84:85]
	ds_read_b128 v[4:7], v68 offset:8272
	s_waitcnt lgkmcnt(1)
	v_mul_f64 v[92:93], v[62:63], v[10:11]
	v_mul_f64 v[10:11], v[60:61], v[10:11]
	v_fma_f64 v[92:93], v[60:61], v[8:9], -v[92:93]
	v_fmac_f64_e32 v[10:11], v[62:63], v[8:9]
	v_mul_f64 v[8:9], v[62:63], v[54:55]
	v_add_f64 v[80:81], v[80:81], v[92:93]
	v_add_f64 v[82:83], v[10:11], v[82:83]
	v_fma_f64 v[92:93], v[60:61], v[52:53], -v[8:9]
	v_mul_f64 v[54:55], v[60:61], v[54:55]
	ds_read_b128 v[8:11], v70 offset:2560
	v_fmac_f64_e32 v[54:55], v[62:63], v[52:53]
	v_add_f64 v[62:63], v[54:55], v[90:91]
	ds_read_b128 v[52:55], v70 offset:2816
	v_add_f64 v[60:61], v[88:89], v[92:93]
	s_waitcnt lgkmcnt(1)
	v_mul_f64 v[88:89], v[58:59], v[10:11]
	v_fma_f64 v[88:89], v[56:57], v[8:9], -v[88:89]
	v_add_f64 v[64:65], v[64:65], v[88:89]
	s_waitcnt lgkmcnt(0)
	v_mul_f64 v[88:89], v[58:59], v[54:55]
	v_mul_f64 v[90:91], v[56:57], v[10:11]
	v_fma_f64 v[88:89], v[56:57], v[52:53], -v[88:89]
	v_mul_f64 v[56:57], v[56:57], v[54:55]
	v_fmac_f64_e32 v[56:57], v[58:59], v[52:53]
	v_add_f64 v[84:85], v[56:57], v[84:85]
	v_mul_f64 v[56:57], v[6:7], v[10:11]
	v_mul_f64 v[10:11], v[4:5], v[10:11]
	v_fmac_f64_e32 v[90:91], v[58:59], v[8:9]
	v_fma_f64 v[56:57], v[4:5], v[8:9], -v[56:57]
	v_fmac_f64_e32 v[10:11], v[6:7], v[8:9]
	v_mul_f64 v[8:9], v[6:7], v[54:55]
	v_mul_f64 v[54:55], v[4:5], v[54:55]
	v_add_f64 v[80:81], v[80:81], v[56:57]
	v_add_f64 v[82:83], v[10:11], v[82:83]
	v_fma_f64 v[56:57], v[4:5], v[52:53], -v[8:9]
	v_fmac_f64_e32 v[54:55], v[6:7], v[52:53]
	ds_read_b128 v[4:7], v68 offset:96
	ds_read_b128 v[8:11], v70 offset:3072
	v_add_f64 v[66:67], v[90:91], v[66:67]
	v_add_f64 v[86:87], v[86:87], v[88:89]
	v_add_f64 v[88:89], v[60:61], v[56:57]
	v_add_f64 v[90:91], v[54:55], v[62:63]
	ds_read_b128 v[52:55], v70 offset:3328
	ds_read_b128 v[56:59], v68 offset:112
	s_waitcnt lgkmcnt(2)
	v_mul_f64 v[60:61], v[6:7], v[10:11]
	v_fma_f64 v[60:61], v[4:5], v[8:9], -v[60:61]
	v_mul_f64 v[62:63], v[4:5], v[10:11]
	v_fmac_f64_e32 v[62:63], v[6:7], v[8:9]
	v_add_f64 v[64:65], v[64:65], v[60:61]
	s_waitcnt lgkmcnt(1)
	v_mul_f64 v[60:61], v[6:7], v[54:55]
	v_add_f64 v[66:67], v[62:63], v[66:67]
	v_fma_f64 v[92:93], v[4:5], v[52:53], -v[60:61]
	ds_read_b128 v[60:63], v68 offset:8288
	v_mul_f64 v[4:5], v[4:5], v[54:55]
	v_fmac_f64_e32 v[4:5], v[6:7], v[52:53]
	v_add_f64 v[86:87], v[86:87], v[92:93]
	v_add_f64 v[84:85], v[4:5], v[84:85]
	ds_read_b128 v[4:7], v68 offset:8304
	s_waitcnt lgkmcnt(1)
	v_mul_f64 v[92:93], v[62:63], v[10:11]
	v_mul_f64 v[10:11], v[60:61], v[10:11]
	v_fma_f64 v[92:93], v[60:61], v[8:9], -v[92:93]
	v_fmac_f64_e32 v[10:11], v[62:63], v[8:9]
	v_mul_f64 v[8:9], v[62:63], v[54:55]
	v_add_f64 v[80:81], v[80:81], v[92:93]
	v_add_f64 v[82:83], v[10:11], v[82:83]
	v_fma_f64 v[92:93], v[60:61], v[52:53], -v[8:9]
	v_mul_f64 v[54:55], v[60:61], v[54:55]
	ds_read_b128 v[8:11], v70 offset:3584
	v_fmac_f64_e32 v[54:55], v[62:63], v[52:53]
	v_add_f64 v[62:63], v[54:55], v[90:91]
	ds_read_b128 v[52:55], v70 offset:3840
	v_add_f64 v[60:61], v[88:89], v[92:93]
	s_waitcnt lgkmcnt(1)
	v_mul_f64 v[88:89], v[58:59], v[10:11]
	v_fma_f64 v[88:89], v[56:57], v[8:9], -v[88:89]
	v_add_f64 v[64:65], v[64:65], v[88:89]
	s_waitcnt lgkmcnt(0)
	v_mul_f64 v[88:89], v[58:59], v[54:55]
	v_mul_f64 v[90:91], v[56:57], v[10:11]
	v_fma_f64 v[88:89], v[56:57], v[52:53], -v[88:89]
	v_mul_f64 v[56:57], v[56:57], v[54:55]
	v_fmac_f64_e32 v[56:57], v[58:59], v[52:53]
	v_add_f64 v[84:85], v[56:57], v[84:85]
	v_mul_f64 v[56:57], v[6:7], v[10:11]
	v_mul_f64 v[10:11], v[4:5], v[10:11]
	v_fmac_f64_e32 v[90:91], v[58:59], v[8:9]
	v_fma_f64 v[56:57], v[4:5], v[8:9], -v[56:57]
	v_fmac_f64_e32 v[10:11], v[6:7], v[8:9]
	v_mul_f64 v[8:9], v[6:7], v[54:55]
	v_mul_f64 v[54:55], v[4:5], v[54:55]
	v_add_f64 v[80:81], v[80:81], v[56:57]
	v_add_f64 v[82:83], v[10:11], v[82:83]
	v_fma_f64 v[56:57], v[4:5], v[52:53], -v[8:9]
	v_fmac_f64_e32 v[54:55], v[6:7], v[52:53]
	ds_read_b128 v[4:7], v68 offset:128
	ds_read_b128 v[8:11], v70 offset:4096
	v_add_f64 v[66:67], v[90:91], v[66:67]
	v_add_f64 v[86:87], v[86:87], v[88:89]
	v_add_f64 v[88:89], v[60:61], v[56:57]
	v_add_f64 v[90:91], v[54:55], v[62:63]
	ds_read_b128 v[52:55], v70 offset:4352
	ds_read_b128 v[56:59], v68 offset:144
	s_waitcnt lgkmcnt(2)
	v_mul_f64 v[60:61], v[6:7], v[10:11]
	v_fma_f64 v[60:61], v[4:5], v[8:9], -v[60:61]
	v_mul_f64 v[62:63], v[4:5], v[10:11]
	;; [unrolled: 61-line block ×13, first 2 shown]
	v_fmac_f64_e32 v[62:63], v[6:7], v[8:9]
	v_add_f64 v[64:65], v[64:65], v[60:61]
	s_waitcnt lgkmcnt(1)
	v_mul_f64 v[60:61], v[6:7], v[54:55]
	v_add_f64 v[66:67], v[62:63], v[66:67]
	v_fma_f64 v[92:93], v[4:5], v[52:53], -v[60:61]
	ds_read_b128 v[60:63], v68 offset:8672
	v_mul_f64 v[4:5], v[4:5], v[54:55]
	v_fmac_f64_e32 v[4:5], v[6:7], v[52:53]
	v_add_f64 v[86:87], v[86:87], v[92:93]
	v_add_f64 v[84:85], v[4:5], v[84:85]
	ds_read_b128 v[4:7], v68 offset:8688
	s_waitcnt lgkmcnt(1)
	v_mul_f64 v[92:93], v[62:63], v[10:11]
	v_mul_f64 v[10:11], v[60:61], v[10:11]
	v_fma_f64 v[92:93], v[60:61], v[8:9], -v[92:93]
	v_fmac_f64_e32 v[10:11], v[62:63], v[8:9]
	v_mul_f64 v[8:9], v[62:63], v[54:55]
	v_add_f64 v[80:81], v[80:81], v[92:93]
	v_add_f64 v[82:83], v[10:11], v[82:83]
	v_fma_f64 v[92:93], v[60:61], v[52:53], -v[8:9]
	v_mul_f64 v[54:55], v[60:61], v[54:55]
	ds_read_b128 v[8:11], v70 offset:15872
	v_fmac_f64_e32 v[54:55], v[62:63], v[52:53]
	v_add_f64 v[90:91], v[54:55], v[90:91]
	ds_read_b128 v[52:55], v70 offset:16128
	s_add_u32 s20, s20, 32
	s_waitcnt lgkmcnt(1)
	v_mul_f64 v[60:61], v[58:59], v[10:11]
	v_fma_f64 v[60:61], v[56:57], v[8:9], -v[60:61]
	v_add_f64 v[64:65], v[64:65], v[60:61]
	s_waitcnt lgkmcnt(0)
	v_mul_f64 v[60:61], v[58:59], v[54:55]
	v_mul_f64 v[62:63], v[56:57], v[10:11]
	v_fma_f64 v[60:61], v[56:57], v[52:53], -v[60:61]
	v_mul_f64 v[56:57], v[56:57], v[54:55]
	v_fmac_f64_e32 v[62:63], v[58:59], v[8:9]
	v_fmac_f64_e32 v[56:57], v[58:59], v[52:53]
	v_add_f64 v[66:67], v[62:63], v[66:67]
	v_add_f64 v[62:63], v[56:57], v[84:85]
	v_mul_f64 v[56:57], v[6:7], v[10:11]
	v_mul_f64 v[10:11], v[4:5], v[10:11]
	v_fma_f64 v[56:57], v[4:5], v[8:9], -v[56:57]
	v_fmac_f64_e32 v[10:11], v[6:7], v[8:9]
	v_mul_f64 v[8:9], v[6:7], v[54:55]
	v_fma_f64 v[8:9], v[4:5], v[52:53], -v[8:9]
	v_mul_f64 v[4:5], v[4:5], v[54:55]
	v_add_f64 v[88:89], v[88:89], v[92:93]
	v_fmac_f64_e32 v[4:5], v[6:7], v[52:53]
	s_addc_u32 s21, s21, 0
	s_sub_i32 s4, s20, 32
	v_add_f64 v[60:61], v[86:87], v[60:61]
	v_add_f64 v[56:57], v[80:81], v[56:57]
	;; [unrolled: 1-line block ×5, first 2 shown]
	v_lshl_add_u64 v[50:51], v[50:51], 0, s[46:47]
	v_lshl_add_u64 v[48:49], v[48:49], 0, s[34:35]
	s_cmp_ge_i32 s4, s40
	v_lshl_add_u64 v[46:47], v[46:47], 0, s[34:35]
	s_barrier
	s_cbranch_scc1 .LBB128_55
.LBB128_7:                              ;   Parent Loop BB128_4 Depth=1
                                        ; =>  This Inner Loop Header: Depth=2
	v_lshl_add_u64 v[6:7], v[14:15], 0, s[20:21]
	v_cmp_eq_u64_e64 s[4:5], s[20:21], v[36:37]
	v_cmp_gt_i64_e64 s[10:11], v[6:7], v[34:35]
	s_and_b64 s[28:29], s[26:27], s[4:5]
	s_or_b64 s[4:5], s[6:7], s[10:11]
	v_cmp_le_i64_e64 s[12:13], s[42:43], v[6:7]
	s_or_b64 s[4:5], s[4:5], s[28:29]
	v_lshl_add_u64 v[4:5], v[48:49], 0, v[38:39]
	s_nor_b64 s[4:5], s[12:13], s[4:5]
	s_and_saveexec_b64 s[14:15], s[4:5]
	s_xor_b64 s[4:5], exec, s[14:15]
	s_cbranch_execz .LBB128_9
; %bb.8:                                ;   in Loop: Header=BB128_7 Depth=2
	global_load_dwordx4 v[8:11], v[4:5], off
	s_waitcnt vmcnt(0)
	v_xor_b32_e32 v11, 0x80000000, v11
	ds_write_b128 v69, v[8:11]
.LBB128_9:                              ;   in Loop: Header=BB128_7 Depth=2
	s_or_saveexec_b64 s[4:5], s[4:5]
	s_xor_b64 s[24:25], s[28:29], -1
	s_xor_b64 exec, exec, s[4:5]
	s_cbranch_execz .LBB128_15
; %bb.10:                               ;   in Loop: Header=BB128_7 Depth=2
	s_and_saveexec_b64 s[14:15], s[24:25]
	s_xor_b64 s[14:15], exec, s[14:15]
; %bb.11:                               ;   in Loop: Header=BB128_7 Depth=2
	ds_write_b128 v69, v[76:79]
; %bb.12:                               ;   in Loop: Header=BB128_7 Depth=2
	s_andn2_saveexec_b64 s[14:15], s[14:15]
; %bb.13:                               ;   in Loop: Header=BB128_7 Depth=2
	ds_write_b128 v69, v[0:3]
; %bb.14:                               ;   in Loop: Header=BB128_7 Depth=2
	s_or_b64 exec, exec, s[14:15]
.LBB128_15:                             ;   in Loop: Header=BB128_7 Depth=2
	s_or_b64 exec, exec, s[4:5]
	v_lshl_add_u64 v[8:9], v[6:7], 0, 16
	v_cmp_eq_u64_e64 s[4:5], s[20:21], v[44:45]
	s_and_b64 s[30:31], s[26:27], s[4:5]
	v_cmp_gt_i64_e64 s[4:5], v[8:9], v[34:35]
	s_or_b64 s[4:5], s[6:7], s[4:5]
	v_cmp_le_i64_e64 s[14:15], s[42:43], v[8:9]
	s_or_b64 s[4:5], s[4:5], s[30:31]
	s_nor_b64 s[4:5], s[14:15], s[4:5]
	v_lshl_add_u64 v[8:9], v[46:47], 0, v[38:39]
	s_and_saveexec_b64 s[50:51], s[4:5]
	s_xor_b64 s[4:5], exec, s[50:51]
	s_cbranch_execz .LBB128_17
; %bb.16:                               ;   in Loop: Header=BB128_7 Depth=2
	global_load_dwordx4 v[80:83], v[8:9], off
	s_waitcnt vmcnt(0)
	v_xor_b32_e32 v83, 0x80000000, v83
	ds_write_b128 v69, v[80:83] offset:256
.LBB128_17:                             ;   in Loop: Header=BB128_7 Depth=2
	s_andn2_saveexec_b64 s[4:5], s[4:5]
	s_cbranch_execz .LBB128_23
; %bb.18:                               ;   in Loop: Header=BB128_7 Depth=2
	s_xor_b64 s[30:31], s[30:31], -1
	s_and_saveexec_b64 s[50:51], s[30:31]
	s_xor_b64 s[30:31], exec, s[50:51]
; %bb.19:                               ;   in Loop: Header=BB128_7 Depth=2
	ds_write_b128 v69, v[76:79] offset:256
; %bb.20:                               ;   in Loop: Header=BB128_7 Depth=2
	s_andn2_saveexec_b64 s[30:31], s[30:31]
; %bb.21:                               ;   in Loop: Header=BB128_7 Depth=2
	ds_write_b128 v69, v[0:3] offset:256
; %bb.22:                               ;   in Loop: Header=BB128_7 Depth=2
	s_or_b64 exec, exec, s[30:31]
.LBB128_23:                             ;   in Loop: Header=BB128_7 Depth=2
	s_or_b64 exec, exec, s[4:5]
	v_cmp_eq_u64_e64 s[4:5], s[20:21], v[42:43]
	s_and_b64 s[30:31], s[26:27], s[4:5]
	v_cmp_gt_i64_e64 s[4:5], v[6:7], v[40:41]
	s_or_b64 s[4:5], s[8:9], s[4:5]
	s_or_b64 s[4:5], s[4:5], s[30:31]
	s_nor_b64 s[4:5], s[12:13], s[4:5]
	s_and_saveexec_b64 s[12:13], s[4:5]
	s_xor_b64 s[4:5], exec, s[12:13]
	s_cbranch_execz .LBB128_25
; %bb.24:                               ;   in Loop: Header=BB128_7 Depth=2
	global_load_dwordx4 v[4:7], v[4:5], off offset:256
	s_waitcnt vmcnt(0)
	v_xor_b32_e32 v7, 0x80000000, v7
	ds_write_b128 v69, v[4:7] offset:8192
.LBB128_25:                             ;   in Loop: Header=BB128_7 Depth=2
	s_andn2_saveexec_b64 s[4:5], s[4:5]
	s_cbranch_execz .LBB128_31
; %bb.26:                               ;   in Loop: Header=BB128_7 Depth=2
	s_xor_b64 s[12:13], s[30:31], -1
	s_and_saveexec_b64 s[30:31], s[12:13]
	s_xor_b64 s[12:13], exec, s[30:31]
; %bb.27:                               ;   in Loop: Header=BB128_7 Depth=2
	ds_write_b128 v69, v[76:79] offset:8192
; %bb.28:                               ;   in Loop: Header=BB128_7 Depth=2
	s_andn2_saveexec_b64 s[12:13], s[12:13]
; %bb.29:                               ;   in Loop: Header=BB128_7 Depth=2
	ds_write_b128 v69, v[0:3] offset:8192
; %bb.30:                               ;   in Loop: Header=BB128_7 Depth=2
	s_or_b64 exec, exec, s[12:13]
.LBB128_31:                             ;   in Loop: Header=BB128_7 Depth=2
	s_or_b64 exec, exec, s[4:5]
	s_or_b64 s[4:5], s[8:9], s[10:11]
	s_or_b64 s[4:5], s[4:5], s[28:29]
	s_nor_b64 s[4:5], s[14:15], s[4:5]
	s_and_saveexec_b64 s[10:11], s[4:5]
	s_xor_b64 s[4:5], exec, s[10:11]
	s_cbranch_execz .LBB128_33
; %bb.32:                               ;   in Loop: Header=BB128_7 Depth=2
	global_load_dwordx4 v[4:7], v[8:9], off offset:256
	s_waitcnt vmcnt(0)
	v_xor_b32_e32 v7, 0x80000000, v7
	ds_write_b128 v69, v[4:7] offset:8448
.LBB128_33:                             ;   in Loop: Header=BB128_7 Depth=2
	s_andn2_saveexec_b64 s[4:5], s[4:5]
	s_cbranch_execz .LBB128_39
; %bb.34:                               ;   in Loop: Header=BB128_7 Depth=2
	s_and_saveexec_b64 s[10:11], s[24:25]
	s_xor_b64 s[10:11], exec, s[10:11]
; %bb.35:                               ;   in Loop: Header=BB128_7 Depth=2
	ds_write_b128 v69, v[76:79] offset:8448
; %bb.36:                               ;   in Loop: Header=BB128_7 Depth=2
	s_andn2_saveexec_b64 s[10:11], s[10:11]
; %bb.37:                               ;   in Loop: Header=BB128_7 Depth=2
	ds_write_b128 v69, v[0:3] offset:8448
; %bb.38:                               ;   in Loop: Header=BB128_7 Depth=2
	s_or_b64 exec, exec, s[10:11]
.LBB128_39:                             ;   in Loop: Header=BB128_7 Depth=2
	s_or_b64 exec, exec, s[4:5]
	v_lshl_add_u64 v[4:5], v[12:13], 0, s[20:21]
	v_cmp_le_i64_e64 s[10:11], s[42:43], v[4:5]
	v_lshl_add_u64 v[6:7], v[50:51], 0, v[26:27]
	s_nor_b64 s[4:5], s[10:11], vcc
	s_and_saveexec_b64 s[12:13], s[4:5]
	s_xor_b64 s[4:5], exec, s[12:13]
	s_cbranch_execz .LBB128_41
; %bb.40:                               ;   in Loop: Header=BB128_7 Depth=2
	global_load_dwordx4 v[8:11], v[6:7], off offset:-256
	s_waitcnt vmcnt(0)
	ds_write2_b64 v71, v[8:9], v[10:11] offset1:1
.LBB128_41:                             ;   in Loop: Header=BB128_7 Depth=2
	s_andn2_saveexec_b64 s[4:5], s[4:5]
; %bb.42:                               ;   in Loop: Header=BB128_7 Depth=2
	ds_write_b128 v71, v[76:79]
; %bb.43:                               ;   in Loop: Header=BB128_7 Depth=2
	s_or_b64 exec, exec, s[4:5]
	s_nor_b64 s[4:5], s[10:11], s[0:1]
	s_and_saveexec_b64 s[10:11], s[4:5]
	s_xor_b64 s[4:5], exec, s[10:11]
	s_cbranch_execz .LBB128_45
; %bb.44:                               ;   in Loop: Header=BB128_7 Depth=2
	global_load_dwordx4 v[6:9], v[6:7], off
	s_waitcnt vmcnt(0)
	ds_write2_b64 v72, v[6:7], v[8:9] offset1:1
.LBB128_45:                             ;   in Loop: Header=BB128_7 Depth=2
	s_andn2_saveexec_b64 s[4:5], s[4:5]
; %bb.46:                               ;   in Loop: Header=BB128_7 Depth=2
	ds_write_b128 v71, v[76:79] offset:256
; %bb.47:                               ;   in Loop: Header=BB128_7 Depth=2
	s_or_b64 exec, exec, s[4:5]
	v_cmp_le_i64_e64 s[10:11], s[48:49], v[4:5]
	v_lshl_add_u64 v[4:5], v[50:51], 0, v[30:31]
	s_nor_b64 s[4:5], s[10:11], vcc
	s_and_saveexec_b64 s[12:13], s[4:5]
	s_xor_b64 s[4:5], exec, s[12:13]
	s_cbranch_execz .LBB128_49
; %bb.48:                               ;   in Loop: Header=BB128_7 Depth=2
	global_load_dwordx4 v[6:9], v[4:5], off offset:-256
	s_waitcnt vmcnt(0)
	ds_write2_b64 v73, v[6:7], v[8:9] offset1:1
.LBB128_49:                             ;   in Loop: Header=BB128_7 Depth=2
	s_andn2_saveexec_b64 s[4:5], s[4:5]
; %bb.50:                               ;   in Loop: Header=BB128_7 Depth=2
	ds_write_b128 v71, v[76:79] offset:8192
; %bb.51:                               ;   in Loop: Header=BB128_7 Depth=2
	s_or_b64 exec, exec, s[4:5]
	s_nor_b64 s[4:5], s[10:11], s[0:1]
	s_and_saveexec_b64 s[10:11], s[4:5]
	s_xor_b64 s[4:5], exec, s[10:11]
	s_cbranch_execz .LBB128_53
; %bb.52:                               ;   in Loop: Header=BB128_7 Depth=2
	global_load_dwordx4 v[4:7], v[4:5], off
	s_waitcnt vmcnt(0)
	ds_write2_b64 v74, v[4:5], v[6:7] offset1:1
.LBB128_53:                             ;   in Loop: Header=BB128_7 Depth=2
	s_andn2_saveexec_b64 s[4:5], s[4:5]
	s_cbranch_execz .LBB128_6
; %bb.54:                               ;   in Loop: Header=BB128_7 Depth=2
	ds_write_b128 v71, v[76:79] offset:8448
	s_branch .LBB128_6
.LBB128_55:                             ;   in Loop: Header=BB128_4 Depth=1
	v_mul_lo_u32 v6, s45, v34
	v_mul_lo_u32 v7, s44, v35
	v_mad_u64_u32 v[4:5], s[4:5], s44, v34, 0
	v_cmp_gt_i32_e64 s[6:7], s42, v34
	v_add3_u32 v5, v5, v7, v6
	v_lshl_add_u64 v[4:5], v[4:5], 4, s[22:23]
	s_and_b64 s[8:9], s[16:17], s[6:7]
	s_and_saveexec_b64 s[4:5], s[8:9]
	s_cbranch_execz .LBB128_57
; %bb.56:                               ;   in Loop: Header=BB128_4 Depth=1
	v_lshl_add_u64 v[10:11], v[16:17], 4, v[4:5]
	global_load_dwordx4 v[6:9], v[10:11], off
	v_mul_f64 v[36:37], s[38:39], v[66:67]
	v_mul_f64 v[38:39], s[36:37], v[66:67]
	v_fma_f64 v[36:37], s[36:37], v[64:65], -v[36:37]
	v_fmac_f64_e32 v[38:39], s[38:39], v[64:65]
	s_waitcnt vmcnt(0)
	v_add_f64 v[6:7], v[6:7], v[36:37]
	v_add_f64 v[8:9], v[38:39], v[8:9]
	global_store_dwordx4 v[10:11], v[6:9], off
.LBB128_57:                             ;   in Loop: Header=BB128_4 Depth=1
	s_or_b64 exec, exec, s[4:5]
	s_and_b64 s[6:7], s[18:19], s[6:7]
	s_and_saveexec_b64 s[4:5], s[6:7]
	s_cbranch_execz .LBB128_59
; %bb.58:                               ;   in Loop: Header=BB128_4 Depth=1
	v_lshl_add_u64 v[8:9], v[20:21], 4, v[4:5]
	global_load_dwordx4 v[4:7], v[8:9], off
	v_mul_f64 v[10:11], s[38:39], v[62:63]
	v_mul_f64 v[36:37], s[36:37], v[62:63]
	v_fma_f64 v[10:11], s[36:37], v[60:61], -v[10:11]
	v_fmac_f64_e32 v[36:37], s[38:39], v[60:61]
	s_waitcnt vmcnt(0)
	v_add_f64 v[4:5], v[4:5], v[10:11]
	v_add_f64 v[6:7], v[36:37], v[6:7]
	global_store_dwordx4 v[8:9], v[4:7], off
.LBB128_59:                             ;   in Loop: Header=BB128_4 Depth=1
	s_or_b64 exec, exec, s[4:5]
	s_nop 0
	v_add_u32_e32 v4, 16, v34
	v_ashrrev_i32_e32 v5, 31, v4
	v_cmp_gt_i32_e64 s[6:7], s42, v4
	v_mul_lo_u32 v6, s44, v5
	v_mul_lo_u32 v7, s45, v4
	v_mad_u64_u32 v[4:5], s[4:5], s44, v4, 0
	v_add3_u32 v5, v5, v6, v7
	v_lshl_add_u64 v[4:5], v[4:5], 4, s[22:23]
	s_and_b64 s[8:9], s[16:17], s[6:7]
	s_and_saveexec_b64 s[4:5], s[8:9]
	s_cbranch_execz .LBB128_61
; %bb.60:                               ;   in Loop: Header=BB128_4 Depth=1
	v_lshl_add_u64 v[10:11], v[16:17], 4, v[4:5]
	global_load_dwordx4 v[6:9], v[10:11], off
	v_mul_f64 v[34:35], s[38:39], v[58:59]
	v_mul_f64 v[36:37], s[36:37], v[58:59]
	v_fma_f64 v[34:35], s[36:37], v[56:57], -v[34:35]
	v_fmac_f64_e32 v[36:37], s[38:39], v[56:57]
	s_waitcnt vmcnt(0)
	v_add_f64 v[6:7], v[6:7], v[34:35]
	v_add_f64 v[8:9], v[36:37], v[8:9]
	global_store_dwordx4 v[10:11], v[6:9], off
.LBB128_61:                             ;   in Loop: Header=BB128_4 Depth=1
	s_or_b64 exec, exec, s[4:5]
	s_and_b64 s[6:7], s[18:19], s[6:7]
	s_and_saveexec_b64 s[4:5], s[6:7]
	s_cbranch_execz .LBB128_3
; %bb.62:                               ;   in Loop: Header=BB128_4 Depth=1
	v_lshl_add_u64 v[8:9], v[20:21], 4, v[4:5]
	global_load_dwordx4 v[4:7], v[8:9], off
	v_mul_f64 v[10:11], s[38:39], v[52:53]
	v_mul_f64 v[34:35], s[36:37], v[52:53]
	v_fma_f64 v[10:11], s[36:37], v[54:55], -v[10:11]
	v_fmac_f64_e32 v[34:35], s[38:39], v[54:55]
	s_waitcnt vmcnt(0)
	v_add_f64 v[4:5], v[4:5], v[10:11]
	v_add_f64 v[6:7], v[34:35], v[6:7]
	global_store_dwordx4 v[8:9], v[4:7], off
	s_branch .LBB128_3
.LBB128_63:
	s_endpgm
	.section	.rodata,"a",@progbits
	.p2align	6, 0x0
	.amdhsa_kernel _ZL30rocblas_trmm_outofplace_kernelI19rocblas_complex_numIdELi32ELi2ELb0ELb0ELb1ELb1EPKS1_S2_S1_Ev17rocblas_diagonal_iiT6_lPT7_lllS7_lllPT8_llli
		.amdhsa_group_segment_fixed_size 32768
		.amdhsa_private_segment_fixed_size 0
		.amdhsa_kernarg_size 392
		.amdhsa_user_sgpr_count 2
		.amdhsa_user_sgpr_dispatch_ptr 0
		.amdhsa_user_sgpr_queue_ptr 0
		.amdhsa_user_sgpr_kernarg_segment_ptr 1
		.amdhsa_user_sgpr_dispatch_id 0
		.amdhsa_user_sgpr_kernarg_preload_length 0
		.amdhsa_user_sgpr_kernarg_preload_offset 0
		.amdhsa_user_sgpr_private_segment_size 0
		.amdhsa_uses_dynamic_stack 0
		.amdhsa_enable_private_segment 0
		.amdhsa_system_sgpr_workgroup_id_x 1
		.amdhsa_system_sgpr_workgroup_id_y 1
		.amdhsa_system_sgpr_workgroup_id_z 1
		.amdhsa_system_sgpr_workgroup_info 0
		.amdhsa_system_vgpr_workitem_id 1
		.amdhsa_next_free_vgpr 102
		.amdhsa_next_free_sgpr 55
		.amdhsa_accum_offset 104
		.amdhsa_reserve_vcc 1
		.amdhsa_float_round_mode_32 0
		.amdhsa_float_round_mode_16_64 0
		.amdhsa_float_denorm_mode_32 3
		.amdhsa_float_denorm_mode_16_64 3
		.amdhsa_dx10_clamp 1
		.amdhsa_ieee_mode 1
		.amdhsa_fp16_overflow 0
		.amdhsa_tg_split 0
		.amdhsa_exception_fp_ieee_invalid_op 0
		.amdhsa_exception_fp_denorm_src 0
		.amdhsa_exception_fp_ieee_div_zero 0
		.amdhsa_exception_fp_ieee_overflow 0
		.amdhsa_exception_fp_ieee_underflow 0
		.amdhsa_exception_fp_ieee_inexact 0
		.amdhsa_exception_int_div_zero 0
	.end_amdhsa_kernel
	.section	.text._ZL30rocblas_trmm_outofplace_kernelI19rocblas_complex_numIdELi32ELi2ELb0ELb0ELb1ELb1EPKS1_S2_S1_Ev17rocblas_diagonal_iiT6_lPT7_lllS7_lllPT8_llli,"axG",@progbits,_ZL30rocblas_trmm_outofplace_kernelI19rocblas_complex_numIdELi32ELi2ELb0ELb0ELb1ELb1EPKS1_S2_S1_Ev17rocblas_diagonal_iiT6_lPT7_lllS7_lllPT8_llli,comdat
.Lfunc_end128:
	.size	_ZL30rocblas_trmm_outofplace_kernelI19rocblas_complex_numIdELi32ELi2ELb0ELb0ELb1ELb1EPKS1_S2_S1_Ev17rocblas_diagonal_iiT6_lPT7_lllS7_lllPT8_llli, .Lfunc_end128-_ZL30rocblas_trmm_outofplace_kernelI19rocblas_complex_numIdELi32ELi2ELb0ELb0ELb1ELb1EPKS1_S2_S1_Ev17rocblas_diagonal_iiT6_lPT7_lllS7_lllPT8_llli
                                        ; -- End function
	.set _ZL30rocblas_trmm_outofplace_kernelI19rocblas_complex_numIdELi32ELi2ELb0ELb0ELb1ELb1EPKS1_S2_S1_Ev17rocblas_diagonal_iiT6_lPT7_lllS7_lllPT8_llli.num_vgpr, 102
	.set _ZL30rocblas_trmm_outofplace_kernelI19rocblas_complex_numIdELi32ELi2ELb0ELb0ELb1ELb1EPKS1_S2_S1_Ev17rocblas_diagonal_iiT6_lPT7_lllS7_lllPT8_llli.num_agpr, 0
	.set _ZL30rocblas_trmm_outofplace_kernelI19rocblas_complex_numIdELi32ELi2ELb0ELb0ELb1ELb1EPKS1_S2_S1_Ev17rocblas_diagonal_iiT6_lPT7_lllS7_lllPT8_llli.numbered_sgpr, 55
	.set _ZL30rocblas_trmm_outofplace_kernelI19rocblas_complex_numIdELi32ELi2ELb0ELb0ELb1ELb1EPKS1_S2_S1_Ev17rocblas_diagonal_iiT6_lPT7_lllS7_lllPT8_llli.num_named_barrier, 0
	.set _ZL30rocblas_trmm_outofplace_kernelI19rocblas_complex_numIdELi32ELi2ELb0ELb0ELb1ELb1EPKS1_S2_S1_Ev17rocblas_diagonal_iiT6_lPT7_lllS7_lllPT8_llli.private_seg_size, 0
	.set _ZL30rocblas_trmm_outofplace_kernelI19rocblas_complex_numIdELi32ELi2ELb0ELb0ELb1ELb1EPKS1_S2_S1_Ev17rocblas_diagonal_iiT6_lPT7_lllS7_lllPT8_llli.uses_vcc, 1
	.set _ZL30rocblas_trmm_outofplace_kernelI19rocblas_complex_numIdELi32ELi2ELb0ELb0ELb1ELb1EPKS1_S2_S1_Ev17rocblas_diagonal_iiT6_lPT7_lllS7_lllPT8_llli.uses_flat_scratch, 0
	.set _ZL30rocblas_trmm_outofplace_kernelI19rocblas_complex_numIdELi32ELi2ELb0ELb0ELb1ELb1EPKS1_S2_S1_Ev17rocblas_diagonal_iiT6_lPT7_lllS7_lllPT8_llli.has_dyn_sized_stack, 0
	.set _ZL30rocblas_trmm_outofplace_kernelI19rocblas_complex_numIdELi32ELi2ELb0ELb0ELb1ELb1EPKS1_S2_S1_Ev17rocblas_diagonal_iiT6_lPT7_lllS7_lllPT8_llli.has_recursion, 0
	.set _ZL30rocblas_trmm_outofplace_kernelI19rocblas_complex_numIdELi32ELi2ELb0ELb0ELb1ELb1EPKS1_S2_S1_Ev17rocblas_diagonal_iiT6_lPT7_lllS7_lllPT8_llli.has_indirect_call, 0
	.section	.AMDGPU.csdata,"",@progbits
; Kernel info:
; codeLenInByte = 9128
; TotalNumSgprs: 61
; NumVgprs: 102
; NumAgprs: 0
; TotalNumVgprs: 102
; ScratchSize: 0
; MemoryBound: 0
; FloatMode: 240
; IeeeMode: 1
; LDSByteSize: 32768 bytes/workgroup (compile time only)
; SGPRBlocks: 7
; VGPRBlocks: 12
; NumSGPRsForWavesPerEU: 61
; NumVGPRsForWavesPerEU: 102
; AccumOffset: 104
; Occupancy: 4
; WaveLimiterHint : 0
; COMPUTE_PGM_RSRC2:SCRATCH_EN: 0
; COMPUTE_PGM_RSRC2:USER_SGPR: 2
; COMPUTE_PGM_RSRC2:TRAP_HANDLER: 0
; COMPUTE_PGM_RSRC2:TGID_X_EN: 1
; COMPUTE_PGM_RSRC2:TGID_Y_EN: 1
; COMPUTE_PGM_RSRC2:TGID_Z_EN: 1
; COMPUTE_PGM_RSRC2:TIDIG_COMP_CNT: 1
; COMPUTE_PGM_RSRC3_GFX90A:ACCUM_OFFSET: 25
; COMPUTE_PGM_RSRC3_GFX90A:TG_SPLIT: 0
	.section	.text._ZL30rocblas_trmm_outofplace_kernelI19rocblas_complex_numIdELi32ELi2ELb0ELb0ELb1ELb1ES1_KS1_S1_Ev17rocblas_diagonal_iiT6_lPT7_lllS6_lllPT8_llli,"axG",@progbits,_ZL30rocblas_trmm_outofplace_kernelI19rocblas_complex_numIdELi32ELi2ELb0ELb0ELb1ELb1ES1_KS1_S1_Ev17rocblas_diagonal_iiT6_lPT7_lllS6_lllPT8_llli,comdat
	.globl	_ZL30rocblas_trmm_outofplace_kernelI19rocblas_complex_numIdELi32ELi2ELb0ELb0ELb1ELb1ES1_KS1_S1_Ev17rocblas_diagonal_iiT6_lPT7_lllS6_lllPT8_llli ; -- Begin function _ZL30rocblas_trmm_outofplace_kernelI19rocblas_complex_numIdELi32ELi2ELb0ELb0ELb1ELb1ES1_KS1_S1_Ev17rocblas_diagonal_iiT6_lPT7_lllS6_lllPT8_llli
	.p2align	8
	.type	_ZL30rocblas_trmm_outofplace_kernelI19rocblas_complex_numIdELi32ELi2ELb0ELb0ELb1ELb1ES1_KS1_S1_Ev17rocblas_diagonal_iiT6_lPT7_lllS6_lllPT8_llli,@function
_ZL30rocblas_trmm_outofplace_kernelI19rocblas_complex_numIdELi32ELi2ELb0ELb0ELb1ELb1ES1_KS1_S1_Ev17rocblas_diagonal_iiT6_lPT7_lllS6_lllPT8_llli: ; @_ZL30rocblas_trmm_outofplace_kernelI19rocblas_complex_numIdELi32ELi2ELb0ELb0ELb1ELb1ES1_KS1_S1_Ev17rocblas_diagonal_iiT6_lPT7_lllS6_lllPT8_llli
; %bb.0:
	s_load_dwordx4 s[24:27], s[0:1], 0x10
	s_waitcnt lgkmcnt(0)
	v_cmp_eq_f64_e64 s[6:7], s[24:25], 0
	v_cmp_eq_f64_e64 s[8:9], s[26:27], 0
	s_and_b64 s[6:7], s[6:7], s[8:9]
	s_and_b64 vcc, exec, s[6:7]
	s_cbranch_vccnz .LBB129_63
; %bb.1:
	s_load_dwordx4 s[28:31], s[0:1], 0x0
	s_waitcnt lgkmcnt(0)
	s_add_i32 s5, s30, -1
	s_ashr_i32 s6, s5, 31
	s_lshr_b32 s6, s6, 27
	s_add_i32 s5, s5, s6
	s_ashr_i32 s33, s5, 5
	s_cmp_gt_i32 s3, s33
	s_cbranch_scc1 .LBB129_63
; %bb.2:
	s_load_dwordx16 s[36:51], s[0:1], 0x28
	s_load_dwordx8 s[16:23], s[0:1], 0x68
	v_and_b32_e32 v14, 0x3ff, v0
	v_bfe_u32 v12, v0, 10, 10
	v_lshl_add_u32 v16, s2, 5, v14
	s_waitcnt lgkmcnt(0)
	s_mul_i32 s5, s43, s4
	s_mul_hi_u32 s7, s42, s4
	s_mul_i32 s6, s42, s4
	s_add_i32 s7, s7, s5
	s_lshl_b64 s[8:9], s[6:7], 4
	s_add_u32 s5, s36, s8
	s_addc_u32 s7, s37, s9
	s_lshl_b64 s[10:11], s[38:39], 4
	s_add_u32 s6, s5, s10
	s_mul_i32 s5, s23, s4
	s_mul_hi_u32 s12, s22, s4
	s_addc_u32 s7, s7, s11
	s_add_i32 s13, s12, s5
	s_mul_i32 s12, s22, s4
	s_lshl_b64 s[12:13], s[12:13], 4
	s_add_u32 s5, s16, s12
	s_addc_u32 s14, s17, s13
	s_lshl_b64 s[12:13], s[18:19], 4
	s_add_u32 s22, s5, s12
	s_addc_u32 s23, s14, s13
	v_mad_u64_u32 v[0:1], s[12:13], s40, v14, 0
	v_mov_b32_e32 v2, v1
	v_mad_u64_u32 v[2:3], s[12:13], s41, v14, v[2:3]
	s_cmpk_eq_i32 s28, 0x84
	v_mov_b32_e32 v1, v2
	s_cselect_b64 s[34:35], -1, 0
	s_ashr_i32 s2, s29, 31
	v_ashrrev_i32_e32 v17, 31, v16
	v_lshl_add_u64 v[18:19], v[0:1], 4, s[6:7]
	v_mov_b32_e32 v1, s2
	v_sub_co_u32_e32 v0, vcc, s29, v16
	v_sub_co_u32_e64 v22, s[6:7], 0, v14
	s_nop 0
	v_subb_co_u32_e32 v1, vcc, v1, v17, vcc
	s_load_dword s2, s[0:1], 0x94
	v_cmp_gt_i64_e32 vcc, 1, v[0:1]
	v_cmp_gt_i64_e64 s[0:1], 17, v[0:1]
	v_subb_co_u32_e64 v23, s[6:7], 0, 0, s[6:7]
	v_mad_u64_u32 v[0:1], s[6:7], s48, v12, 0
	v_mov_b32_e32 v2, v1
	s_ashr_i32 s31, s30, 31
	s_lshl_b64 s[38:39], s[40:41], 9
	s_lshl_b64 s[42:43], s[48:49], 9
	v_mad_u64_u32 v[2:3], s[6:7], s49, v12, v[2:3]
	s_add_u32 s52, s30, -16
	s_mul_i32 s5, s51, s4
	s_mul_hi_u32 s6, s50, s4
	s_addc_u32 s53, s31, -1
	s_add_i32 s5, s6, s5
	s_mul_i32 s4, s50, s4
	s_waitcnt lgkmcnt(0)
	s_lshl_b32 s54, s2, 5
	s_lshl_b64 s[4:5], s[4:5], 4
	s_lshl_b64 s[6:7], s[46:47], 4
	s_add_u32 s4, s4, s6
	s_addc_u32 s5, s5, s7
	s_add_u32 s4, s44, s4
	v_mov_b32_e32 v1, v2
	s_addc_u32 s5, s45, s5
	v_lshlrev_b64 v[26:27], 4, v[0:1]
	v_lshl_add_u64 v[0:1], v[16:17], 4, s[4:5]
	s_mov_b64 s[4:5], 0x100
	v_lshl_add_u64 v[28:29], v[0:1], 0, s[4:5]
	v_mov_b32_e32 v0, 0x100
	v_lshl_add_u32 v1, v12, 4, v0
	v_mad_u64_u32 v[30:31], s[4:5], s48, v1, 0
	v_mov_b32_e32 v0, v31
	v_mad_u64_u32 v[0:1], s[4:5], s49, v1, v[0:1]
	s_add_u32 s4, s36, s10
	s_addc_u32 s5, s37, s11
	s_add_u32 s4, s4, s8
	v_lshlrev_b32_e32 v4, 4, v14
	s_addc_u32 s5, s5, s9
	v_mov_b32_e32 v31, v0
	v_add_u32_e32 v2, 0x100, v4
	v_mov_b64_e32 v[0:1], s[4:5]
	v_mad_u64_u32 v[32:33], s[4:5], s40, v2, v[0:1]
	v_lshlrev_b32_e32 v68, 9, v12
	v_or_b32_e32 v70, 0x4000, v4
	v_mov_b32_e32 v0, v33
	v_mov_b32_e32 v15, 0
	v_add_u32_e32 v71, v70, v68
	v_add_u32_e32 v20, 16, v16
	v_mad_u64_u32 v[0:1], s[4:5], s41, v2, v[0:1]
	v_mov_b32_e32 v13, v15
	v_add_u32_e32 v69, v68, v4
	v_add_u32_e32 v72, 0x100, v71
	v_add_u32_e32 v73, 0x2000, v71
	v_add_u32_e32 v74, 0x2100, v71
	v_cmp_gt_i32_e64 s[16:17], s29, v16
	v_cmp_gt_i32_e64 s[18:19], s29, v20
	v_ashrrev_i32_e32 v21, 31, v20
	v_lshl_add_u32 v24, s3, 5, v12
	v_mov_b32_e32 v33, v0
	v_mov_b32_e32 v76, v15
	;; [unrolled: 1-line block ×9, first 2 shown]
	s_branch .LBB129_4
.LBB129_3:                              ;   in Loop: Header=BB129_4 Depth=1
	s_or_b64 exec, exec, s[4:5]
	s_add_i32 s3, s2, s3
	s_cmp_le_i32 s3, s33
	v_add_u32_e32 v24, s54, v24
	s_cbranch_scc0 .LBB129_63
.LBB129_4:                              ; =>This Loop Header: Depth=1
                                        ;     Child Loop BB129_7 Depth 2
	s_lshl_b32 s46, s3, 5
	v_add_u32_e32 v34, s46, v12
	v_ashrrev_i32_e32 v35, 31, v34
	v_mov_b64_e32 v[64:65], 0
	s_cmp_lt_i32 s3, 0
	v_mov_b64_e32 v[66:67], 0
	v_mov_b64_e32 v[60:61], 0
	;; [unrolled: 1-line block ×7, first 2 shown]
	s_cbranch_scc1 .LBB129_55
; %bb.5:                                ;   in Loop: Header=BB129_4 Depth=1
	v_ashrrev_i32_e32 v25, 31, v24
	v_lshl_add_u64 v[36:37], v[22:23], 0, v[24:25]
	v_lshl_add_u64 v[40:41], v[34:35], 0, 16
	v_lshlrev_b64 v[38:39], 4, v[24:25]
	v_cmp_le_i32_e64 s[6:7], s30, v34
	v_cmp_le_i64_e64 s[8:9], s[30:31], v[40:41]
	v_lshl_add_u64 v[42:43], v[36:37], 0, 16
	v_lshl_add_u64 v[44:45], v[36:37], 0, -16
	v_mov_b64_e32 v[52:53], 0
	s_mov_b64 s[28:29], 0
	v_mov_b64_e32 v[46:47], v[32:33]
	v_mov_b64_e32 v[48:49], v[18:19]
	;; [unrolled: 1-line block ×10, first 2 shown]
	s_branch .LBB129_7
.LBB129_6:                              ;   in Loop: Header=BB129_7 Depth=2
	s_or_b64 exec, exec, s[4:5]
	s_waitcnt lgkmcnt(0)
	s_barrier
	ds_read_b128 v[80:83], v70
	ds_read_b128 v[84:87], v68
	ds_read_b128 v[88:91], v68 offset:16
	ds_read_b128 v[8:11], v68 offset:32
	;; [unrolled: 1-line block ×4, first 2 shown]
	s_waitcnt lgkmcnt(4)
	v_mul_f64 v[96:97], v[86:87], v[82:83]
	v_fma_f64 v[96:97], v[84:85], v[80:81], -v[96:97]
	v_mul_f64 v[98:99], v[84:85], v[82:83]
	v_fmac_f64_e32 v[98:99], v[86:87], v[80:81]
	v_add_f64 v[96:97], v[64:65], v[96:97]
	s_waitcnt lgkmcnt(0)
	v_mul_f64 v[64:65], v[86:87], v[94:95]
	v_add_f64 v[98:99], v[98:99], v[66:67]
	v_fma_f64 v[100:101], v[84:85], v[92:93], -v[64:65]
	ds_read_b128 v[64:67], v68 offset:8192
	v_mul_f64 v[84:85], v[84:85], v[94:95]
	v_fmac_f64_e32 v[84:85], v[86:87], v[92:93]
	v_add_f64 v[86:87], v[60:61], v[100:101]
	v_add_f64 v[84:85], v[84:85], v[62:63]
	ds_read_b128 v[60:63], v68 offset:8208
	s_waitcnt lgkmcnt(1)
	v_mul_f64 v[100:101], v[66:67], v[82:83]
	v_fma_f64 v[100:101], v[64:65], v[80:81], -v[100:101]
	v_mul_f64 v[82:83], v[64:65], v[82:83]
	v_fmac_f64_e32 v[82:83], v[66:67], v[80:81]
	v_add_f64 v[80:81], v[56:57], v[100:101]
	v_mul_f64 v[56:57], v[66:67], v[94:95]
	v_add_f64 v[82:83], v[82:83], v[58:59]
	v_fma_f64 v[100:101], v[64:65], v[92:93], -v[56:57]
	v_mul_f64 v[64:65], v[64:65], v[94:95]
	ds_read_b128 v[56:59], v70 offset:512
	v_fmac_f64_e32 v[64:65], v[66:67], v[92:93]
	v_add_f64 v[66:67], v[54:55], v[100:101]
	v_add_f64 v[64:65], v[64:65], v[52:53]
	ds_read_b128 v[52:55], v70 offset:768
	s_waitcnt lgkmcnt(1)
	v_mul_f64 v[92:93], v[90:91], v[58:59]
	v_fma_f64 v[92:93], v[88:89], v[56:57], -v[92:93]
	v_add_f64 v[92:93], v[96:97], v[92:93]
	v_mul_f64 v[94:95], v[88:89], v[58:59]
	s_waitcnt lgkmcnt(0)
	v_mul_f64 v[96:97], v[90:91], v[54:55]
	v_fma_f64 v[96:97], v[88:89], v[52:53], -v[96:97]
	v_mul_f64 v[88:89], v[88:89], v[54:55]
	v_fmac_f64_e32 v[88:89], v[90:91], v[52:53]
	v_add_f64 v[84:85], v[88:89], v[84:85]
	v_mul_f64 v[88:89], v[62:63], v[58:59]
	v_mul_f64 v[58:59], v[60:61], v[58:59]
	v_fmac_f64_e32 v[94:95], v[90:91], v[56:57]
	v_fma_f64 v[88:89], v[60:61], v[56:57], -v[88:89]
	v_fmac_f64_e32 v[58:59], v[62:63], v[56:57]
	v_mul_f64 v[56:57], v[62:63], v[54:55]
	v_add_f64 v[82:83], v[58:59], v[82:83]
	v_fma_f64 v[58:59], v[60:61], v[52:53], -v[56:57]
	v_mul_f64 v[60:61], v[60:61], v[54:55]
	ds_read_b128 v[54:57], v70 offset:1024
	v_fmac_f64_e32 v[60:61], v[62:63], v[52:53]
	v_add_f64 v[80:81], v[80:81], v[88:89]
	v_add_f64 v[66:67], v[66:67], v[58:59]
	;; [unrolled: 1-line block ×3, first 2 shown]
	ds_read_b128 v[58:61], v70 offset:1280
	s_waitcnt lgkmcnt(1)
	v_mul_f64 v[52:53], v[10:11], v[56:57]
	v_mul_f64 v[62:63], v[8:9], v[56:57]
	v_add_f64 v[94:95], v[94:95], v[98:99]
	v_fma_f64 v[52:53], v[8:9], v[54:55], -v[52:53]
	v_fmac_f64_e32 v[62:63], v[10:11], v[54:55]
	v_add_f64 v[90:91], v[92:93], v[52:53]
	v_add_f64 v[92:93], v[62:63], v[94:95]
	ds_read_b128 v[62:65], v68 offset:8224
	s_waitcnt lgkmcnt(1)
	v_mul_f64 v[52:53], v[10:11], v[60:61]
	v_fma_f64 v[52:53], v[8:9], v[58:59], -v[52:53]
	v_mul_f64 v[8:9], v[8:9], v[60:61]
	v_add_f64 v[86:87], v[86:87], v[96:97]
	v_fmac_f64_e32 v[8:9], v[10:11], v[58:59]
	v_add_f64 v[86:87], v[86:87], v[52:53]
	v_add_f64 v[84:85], v[8:9], v[84:85]
	ds_read_b128 v[8:11], v68 offset:8240
	s_waitcnt lgkmcnt(1)
	v_mul_f64 v[52:53], v[64:65], v[56:57]
	v_fma_f64 v[52:53], v[62:63], v[54:55], -v[52:53]
	v_mul_f64 v[56:57], v[62:63], v[56:57]
	v_fmac_f64_e32 v[56:57], v[64:65], v[54:55]
	v_add_f64 v[80:81], v[80:81], v[52:53]
	v_mul_f64 v[52:53], v[64:65], v[60:61]
	v_add_f64 v[82:83], v[56:57], v[82:83]
	v_fma_f64 v[56:57], v[62:63], v[58:59], -v[52:53]
	v_mul_f64 v[60:61], v[62:63], v[60:61]
	ds_read_b128 v[52:55], v70 offset:1536
	v_fmac_f64_e32 v[60:61], v[64:65], v[58:59]
	v_add_f64 v[62:63], v[66:67], v[56:57]
	ds_read_b128 v[56:59], v70 offset:1792
	v_add_f64 v[60:61], v[60:61], v[88:89]
	s_waitcnt lgkmcnt(1)
	v_mul_f64 v[64:65], v[6:7], v[54:55]
	v_fma_f64 v[64:65], v[4:5], v[52:53], -v[64:65]
	v_mul_f64 v[66:67], v[4:5], v[54:55]
	s_waitcnt lgkmcnt(0)
	v_mul_f64 v[88:89], v[6:7], v[58:59]
	v_fma_f64 v[88:89], v[4:5], v[56:57], -v[88:89]
	v_mul_f64 v[4:5], v[4:5], v[58:59]
	v_fmac_f64_e32 v[4:5], v[6:7], v[56:57]
	v_add_f64 v[84:85], v[4:5], v[84:85]
	v_mul_f64 v[4:5], v[10:11], v[54:55]
	v_fmac_f64_e32 v[66:67], v[6:7], v[52:53]
	v_fma_f64 v[4:5], v[8:9], v[52:53], -v[4:5]
	v_mul_f64 v[6:7], v[8:9], v[54:55]
	v_fmac_f64_e32 v[6:7], v[10:11], v[52:53]
	v_add_f64 v[80:81], v[80:81], v[4:5]
	v_mul_f64 v[4:5], v[10:11], v[58:59]
	v_mul_f64 v[54:55], v[8:9], v[58:59]
	v_add_f64 v[82:83], v[6:7], v[82:83]
	v_fma_f64 v[52:53], v[8:9], v[56:57], -v[4:5]
	v_fmac_f64_e32 v[54:55], v[10:11], v[56:57]
	ds_read_b128 v[4:7], v68 offset:64
	ds_read_b128 v[8:11], v70 offset:2048
	v_add_f64 v[64:65], v[90:91], v[64:65]
	v_add_f64 v[86:87], v[86:87], v[88:89]
	;; [unrolled: 1-line block ×4, first 2 shown]
	ds_read_b128 v[52:55], v70 offset:2304
	ds_read_b128 v[56:59], v68 offset:80
	s_waitcnt lgkmcnt(2)
	v_mul_f64 v[60:61], v[6:7], v[10:11]
	v_fma_f64 v[60:61], v[4:5], v[8:9], -v[60:61]
	v_mul_f64 v[62:63], v[4:5], v[10:11]
	v_add_f64 v[66:67], v[66:67], v[92:93]
	v_fmac_f64_e32 v[62:63], v[6:7], v[8:9]
	v_add_f64 v[64:65], v[64:65], v[60:61]
	s_waitcnt lgkmcnt(1)
	v_mul_f64 v[60:61], v[6:7], v[54:55]
	v_add_f64 v[66:67], v[62:63], v[66:67]
	v_fma_f64 v[92:93], v[4:5], v[52:53], -v[60:61]
	ds_read_b128 v[60:63], v68 offset:8256
	v_mul_f64 v[4:5], v[4:5], v[54:55]
	v_fmac_f64_e32 v[4:5], v[6:7], v[52:53]
	v_add_f64 v[86:87], v[86:87], v[92:93]
	v_add_f64 v[84:85], v[4:5], v[84:85]
	ds_read_b128 v[4:7], v68 offset:8272
	s_waitcnt lgkmcnt(1)
	v_mul_f64 v[92:93], v[62:63], v[10:11]
	v_mul_f64 v[10:11], v[60:61], v[10:11]
	v_fma_f64 v[92:93], v[60:61], v[8:9], -v[92:93]
	v_fmac_f64_e32 v[10:11], v[62:63], v[8:9]
	v_mul_f64 v[8:9], v[62:63], v[54:55]
	v_add_f64 v[80:81], v[80:81], v[92:93]
	v_add_f64 v[82:83], v[10:11], v[82:83]
	v_fma_f64 v[92:93], v[60:61], v[52:53], -v[8:9]
	v_mul_f64 v[54:55], v[60:61], v[54:55]
	ds_read_b128 v[8:11], v70 offset:2560
	v_fmac_f64_e32 v[54:55], v[62:63], v[52:53]
	v_add_f64 v[62:63], v[54:55], v[90:91]
	ds_read_b128 v[52:55], v70 offset:2816
	v_add_f64 v[60:61], v[88:89], v[92:93]
	s_waitcnt lgkmcnt(1)
	v_mul_f64 v[88:89], v[58:59], v[10:11]
	v_fma_f64 v[88:89], v[56:57], v[8:9], -v[88:89]
	v_add_f64 v[64:65], v[64:65], v[88:89]
	s_waitcnt lgkmcnt(0)
	v_mul_f64 v[88:89], v[58:59], v[54:55]
	v_mul_f64 v[90:91], v[56:57], v[10:11]
	v_fma_f64 v[88:89], v[56:57], v[52:53], -v[88:89]
	v_mul_f64 v[56:57], v[56:57], v[54:55]
	v_fmac_f64_e32 v[56:57], v[58:59], v[52:53]
	v_add_f64 v[84:85], v[56:57], v[84:85]
	v_mul_f64 v[56:57], v[6:7], v[10:11]
	v_mul_f64 v[10:11], v[4:5], v[10:11]
	v_fmac_f64_e32 v[90:91], v[58:59], v[8:9]
	v_fma_f64 v[56:57], v[4:5], v[8:9], -v[56:57]
	v_fmac_f64_e32 v[10:11], v[6:7], v[8:9]
	v_mul_f64 v[8:9], v[6:7], v[54:55]
	v_mul_f64 v[54:55], v[4:5], v[54:55]
	v_add_f64 v[80:81], v[80:81], v[56:57]
	v_add_f64 v[82:83], v[10:11], v[82:83]
	v_fma_f64 v[56:57], v[4:5], v[52:53], -v[8:9]
	v_fmac_f64_e32 v[54:55], v[6:7], v[52:53]
	ds_read_b128 v[4:7], v68 offset:96
	ds_read_b128 v[8:11], v70 offset:3072
	v_add_f64 v[66:67], v[90:91], v[66:67]
	v_add_f64 v[86:87], v[86:87], v[88:89]
	v_add_f64 v[88:89], v[60:61], v[56:57]
	v_add_f64 v[90:91], v[54:55], v[62:63]
	ds_read_b128 v[52:55], v70 offset:3328
	ds_read_b128 v[56:59], v68 offset:112
	s_waitcnt lgkmcnt(2)
	v_mul_f64 v[60:61], v[6:7], v[10:11]
	v_fma_f64 v[60:61], v[4:5], v[8:9], -v[60:61]
	v_mul_f64 v[62:63], v[4:5], v[10:11]
	v_fmac_f64_e32 v[62:63], v[6:7], v[8:9]
	v_add_f64 v[64:65], v[64:65], v[60:61]
	s_waitcnt lgkmcnt(1)
	v_mul_f64 v[60:61], v[6:7], v[54:55]
	v_add_f64 v[66:67], v[62:63], v[66:67]
	v_fma_f64 v[92:93], v[4:5], v[52:53], -v[60:61]
	ds_read_b128 v[60:63], v68 offset:8288
	v_mul_f64 v[4:5], v[4:5], v[54:55]
	v_fmac_f64_e32 v[4:5], v[6:7], v[52:53]
	v_add_f64 v[86:87], v[86:87], v[92:93]
	v_add_f64 v[84:85], v[4:5], v[84:85]
	ds_read_b128 v[4:7], v68 offset:8304
	s_waitcnt lgkmcnt(1)
	v_mul_f64 v[92:93], v[62:63], v[10:11]
	v_mul_f64 v[10:11], v[60:61], v[10:11]
	v_fma_f64 v[92:93], v[60:61], v[8:9], -v[92:93]
	v_fmac_f64_e32 v[10:11], v[62:63], v[8:9]
	v_mul_f64 v[8:9], v[62:63], v[54:55]
	v_add_f64 v[80:81], v[80:81], v[92:93]
	v_add_f64 v[82:83], v[10:11], v[82:83]
	v_fma_f64 v[92:93], v[60:61], v[52:53], -v[8:9]
	v_mul_f64 v[54:55], v[60:61], v[54:55]
	ds_read_b128 v[8:11], v70 offset:3584
	v_fmac_f64_e32 v[54:55], v[62:63], v[52:53]
	v_add_f64 v[62:63], v[54:55], v[90:91]
	ds_read_b128 v[52:55], v70 offset:3840
	v_add_f64 v[60:61], v[88:89], v[92:93]
	s_waitcnt lgkmcnt(1)
	v_mul_f64 v[88:89], v[58:59], v[10:11]
	v_fma_f64 v[88:89], v[56:57], v[8:9], -v[88:89]
	v_add_f64 v[64:65], v[64:65], v[88:89]
	s_waitcnt lgkmcnt(0)
	v_mul_f64 v[88:89], v[58:59], v[54:55]
	v_mul_f64 v[90:91], v[56:57], v[10:11]
	v_fma_f64 v[88:89], v[56:57], v[52:53], -v[88:89]
	v_mul_f64 v[56:57], v[56:57], v[54:55]
	v_fmac_f64_e32 v[56:57], v[58:59], v[52:53]
	v_add_f64 v[84:85], v[56:57], v[84:85]
	v_mul_f64 v[56:57], v[6:7], v[10:11]
	v_mul_f64 v[10:11], v[4:5], v[10:11]
	v_fmac_f64_e32 v[90:91], v[58:59], v[8:9]
	v_fma_f64 v[56:57], v[4:5], v[8:9], -v[56:57]
	v_fmac_f64_e32 v[10:11], v[6:7], v[8:9]
	v_mul_f64 v[8:9], v[6:7], v[54:55]
	v_mul_f64 v[54:55], v[4:5], v[54:55]
	v_add_f64 v[80:81], v[80:81], v[56:57]
	v_add_f64 v[82:83], v[10:11], v[82:83]
	v_fma_f64 v[56:57], v[4:5], v[52:53], -v[8:9]
	v_fmac_f64_e32 v[54:55], v[6:7], v[52:53]
	ds_read_b128 v[4:7], v68 offset:128
	ds_read_b128 v[8:11], v70 offset:4096
	v_add_f64 v[66:67], v[90:91], v[66:67]
	v_add_f64 v[86:87], v[86:87], v[88:89]
	v_add_f64 v[88:89], v[60:61], v[56:57]
	v_add_f64 v[90:91], v[54:55], v[62:63]
	ds_read_b128 v[52:55], v70 offset:4352
	ds_read_b128 v[56:59], v68 offset:144
	s_waitcnt lgkmcnt(2)
	v_mul_f64 v[60:61], v[6:7], v[10:11]
	v_fma_f64 v[60:61], v[4:5], v[8:9], -v[60:61]
	v_mul_f64 v[62:63], v[4:5], v[10:11]
	;; [unrolled: 61-line block ×13, first 2 shown]
	v_fmac_f64_e32 v[62:63], v[6:7], v[8:9]
	v_add_f64 v[64:65], v[64:65], v[60:61]
	s_waitcnt lgkmcnt(1)
	v_mul_f64 v[60:61], v[6:7], v[54:55]
	v_add_f64 v[66:67], v[62:63], v[66:67]
	v_fma_f64 v[92:93], v[4:5], v[52:53], -v[60:61]
	ds_read_b128 v[60:63], v68 offset:8672
	v_mul_f64 v[4:5], v[4:5], v[54:55]
	v_fmac_f64_e32 v[4:5], v[6:7], v[52:53]
	v_add_f64 v[86:87], v[86:87], v[92:93]
	v_add_f64 v[84:85], v[4:5], v[84:85]
	ds_read_b128 v[4:7], v68 offset:8688
	s_waitcnt lgkmcnt(1)
	v_mul_f64 v[92:93], v[62:63], v[10:11]
	v_mul_f64 v[10:11], v[60:61], v[10:11]
	v_fma_f64 v[92:93], v[60:61], v[8:9], -v[92:93]
	v_fmac_f64_e32 v[10:11], v[62:63], v[8:9]
	v_mul_f64 v[8:9], v[62:63], v[54:55]
	v_add_f64 v[80:81], v[80:81], v[92:93]
	v_add_f64 v[82:83], v[10:11], v[82:83]
	v_fma_f64 v[92:93], v[60:61], v[52:53], -v[8:9]
	v_mul_f64 v[54:55], v[60:61], v[54:55]
	ds_read_b128 v[8:11], v70 offset:15872
	v_fmac_f64_e32 v[54:55], v[62:63], v[52:53]
	v_add_f64 v[90:91], v[54:55], v[90:91]
	ds_read_b128 v[52:55], v70 offset:16128
	s_add_u32 s28, s28, 32
	s_waitcnt lgkmcnt(1)
	v_mul_f64 v[60:61], v[58:59], v[10:11]
	v_fma_f64 v[60:61], v[56:57], v[8:9], -v[60:61]
	v_add_f64 v[64:65], v[64:65], v[60:61]
	s_waitcnt lgkmcnt(0)
	v_mul_f64 v[60:61], v[58:59], v[54:55]
	v_mul_f64 v[62:63], v[56:57], v[10:11]
	v_fma_f64 v[60:61], v[56:57], v[52:53], -v[60:61]
	v_mul_f64 v[56:57], v[56:57], v[54:55]
	v_fmac_f64_e32 v[62:63], v[58:59], v[8:9]
	v_fmac_f64_e32 v[56:57], v[58:59], v[52:53]
	v_add_f64 v[66:67], v[62:63], v[66:67]
	v_add_f64 v[62:63], v[56:57], v[84:85]
	v_mul_f64 v[56:57], v[6:7], v[10:11]
	v_mul_f64 v[10:11], v[4:5], v[10:11]
	v_fma_f64 v[56:57], v[4:5], v[8:9], -v[56:57]
	v_fmac_f64_e32 v[10:11], v[6:7], v[8:9]
	v_mul_f64 v[8:9], v[6:7], v[54:55]
	v_fma_f64 v[8:9], v[4:5], v[52:53], -v[8:9]
	v_mul_f64 v[4:5], v[4:5], v[54:55]
	v_add_f64 v[88:89], v[88:89], v[92:93]
	v_fmac_f64_e32 v[4:5], v[6:7], v[52:53]
	s_addc_u32 s29, s29, 0
	s_sub_i32 s4, s28, 32
	v_add_f64 v[60:61], v[86:87], v[60:61]
	v_add_f64 v[56:57], v[80:81], v[56:57]
	;; [unrolled: 1-line block ×5, first 2 shown]
	v_lshl_add_u64 v[50:51], v[50:51], 0, s[42:43]
	v_lshl_add_u64 v[48:49], v[48:49], 0, s[38:39]
	s_cmp_ge_i32 s4, s46
	v_lshl_add_u64 v[46:47], v[46:47], 0, s[38:39]
	s_barrier
	s_cbranch_scc1 .LBB129_55
.LBB129_7:                              ;   Parent Loop BB129_4 Depth=1
                                        ; =>  This Inner Loop Header: Depth=2
	v_lshl_add_u64 v[6:7], v[14:15], 0, s[28:29]
	v_cmp_eq_u64_e64 s[4:5], s[28:29], v[36:37]
	v_cmp_gt_i64_e64 s[10:11], v[6:7], v[34:35]
	s_and_b64 s[40:41], s[34:35], s[4:5]
	s_or_b64 s[4:5], s[6:7], s[10:11]
	v_cmp_le_i64_e64 s[12:13], s[30:31], v[6:7]
	s_or_b64 s[4:5], s[4:5], s[40:41]
	v_lshl_add_u64 v[4:5], v[48:49], 0, v[38:39]
	s_nor_b64 s[4:5], s[12:13], s[4:5]
	s_and_saveexec_b64 s[14:15], s[4:5]
	s_xor_b64 s[4:5], exec, s[14:15]
	s_cbranch_execz .LBB129_9
; %bb.8:                                ;   in Loop: Header=BB129_7 Depth=2
	global_load_dwordx4 v[8:11], v[4:5], off
	s_waitcnt vmcnt(0)
	v_xor_b32_e32 v11, 0x80000000, v11
	ds_write_b128 v69, v[8:11]
.LBB129_9:                              ;   in Loop: Header=BB129_7 Depth=2
	s_or_saveexec_b64 s[4:5], s[4:5]
	s_xor_b64 s[36:37], s[40:41], -1
	s_xor_b64 exec, exec, s[4:5]
	s_cbranch_execz .LBB129_15
; %bb.10:                               ;   in Loop: Header=BB129_7 Depth=2
	s_and_saveexec_b64 s[14:15], s[36:37]
	s_xor_b64 s[14:15], exec, s[14:15]
; %bb.11:                               ;   in Loop: Header=BB129_7 Depth=2
	ds_write_b128 v69, v[76:79]
; %bb.12:                               ;   in Loop: Header=BB129_7 Depth=2
	s_andn2_saveexec_b64 s[14:15], s[14:15]
; %bb.13:                               ;   in Loop: Header=BB129_7 Depth=2
	ds_write_b128 v69, v[0:3]
; %bb.14:                               ;   in Loop: Header=BB129_7 Depth=2
	s_or_b64 exec, exec, s[14:15]
.LBB129_15:                             ;   in Loop: Header=BB129_7 Depth=2
	s_or_b64 exec, exec, s[4:5]
	v_lshl_add_u64 v[8:9], v[6:7], 0, 16
	v_cmp_eq_u64_e64 s[4:5], s[28:29], v[44:45]
	s_and_b64 s[44:45], s[34:35], s[4:5]
	v_cmp_gt_i64_e64 s[4:5], v[8:9], v[34:35]
	s_or_b64 s[4:5], s[6:7], s[4:5]
	v_cmp_le_i64_e64 s[14:15], s[30:31], v[8:9]
	s_or_b64 s[4:5], s[4:5], s[44:45]
	s_nor_b64 s[4:5], s[14:15], s[4:5]
	v_lshl_add_u64 v[8:9], v[46:47], 0, v[38:39]
	s_and_saveexec_b64 s[48:49], s[4:5]
	s_xor_b64 s[4:5], exec, s[48:49]
	s_cbranch_execz .LBB129_17
; %bb.16:                               ;   in Loop: Header=BB129_7 Depth=2
	global_load_dwordx4 v[80:83], v[8:9], off
	s_waitcnt vmcnt(0)
	v_xor_b32_e32 v83, 0x80000000, v83
	ds_write_b128 v69, v[80:83] offset:256
.LBB129_17:                             ;   in Loop: Header=BB129_7 Depth=2
	s_andn2_saveexec_b64 s[4:5], s[4:5]
	s_cbranch_execz .LBB129_23
; %bb.18:                               ;   in Loop: Header=BB129_7 Depth=2
	s_xor_b64 s[44:45], s[44:45], -1
	s_and_saveexec_b64 s[48:49], s[44:45]
	s_xor_b64 s[44:45], exec, s[48:49]
; %bb.19:                               ;   in Loop: Header=BB129_7 Depth=2
	ds_write_b128 v69, v[76:79] offset:256
; %bb.20:                               ;   in Loop: Header=BB129_7 Depth=2
	s_andn2_saveexec_b64 s[44:45], s[44:45]
; %bb.21:                               ;   in Loop: Header=BB129_7 Depth=2
	ds_write_b128 v69, v[0:3] offset:256
; %bb.22:                               ;   in Loop: Header=BB129_7 Depth=2
	s_or_b64 exec, exec, s[44:45]
.LBB129_23:                             ;   in Loop: Header=BB129_7 Depth=2
	s_or_b64 exec, exec, s[4:5]
	v_cmp_eq_u64_e64 s[4:5], s[28:29], v[42:43]
	s_and_b64 s[44:45], s[34:35], s[4:5]
	v_cmp_gt_i64_e64 s[4:5], v[6:7], v[40:41]
	s_or_b64 s[4:5], s[8:9], s[4:5]
	s_or_b64 s[4:5], s[4:5], s[44:45]
	s_nor_b64 s[4:5], s[12:13], s[4:5]
	s_and_saveexec_b64 s[12:13], s[4:5]
	s_xor_b64 s[4:5], exec, s[12:13]
	s_cbranch_execz .LBB129_25
; %bb.24:                               ;   in Loop: Header=BB129_7 Depth=2
	global_load_dwordx4 v[4:7], v[4:5], off offset:256
	s_waitcnt vmcnt(0)
	v_xor_b32_e32 v7, 0x80000000, v7
	ds_write_b128 v69, v[4:7] offset:8192
.LBB129_25:                             ;   in Loop: Header=BB129_7 Depth=2
	s_andn2_saveexec_b64 s[4:5], s[4:5]
	s_cbranch_execz .LBB129_31
; %bb.26:                               ;   in Loop: Header=BB129_7 Depth=2
	s_xor_b64 s[12:13], s[44:45], -1
	s_and_saveexec_b64 s[44:45], s[12:13]
	s_xor_b64 s[12:13], exec, s[44:45]
; %bb.27:                               ;   in Loop: Header=BB129_7 Depth=2
	ds_write_b128 v69, v[76:79] offset:8192
; %bb.28:                               ;   in Loop: Header=BB129_7 Depth=2
	s_andn2_saveexec_b64 s[12:13], s[12:13]
; %bb.29:                               ;   in Loop: Header=BB129_7 Depth=2
	ds_write_b128 v69, v[0:3] offset:8192
; %bb.30:                               ;   in Loop: Header=BB129_7 Depth=2
	s_or_b64 exec, exec, s[12:13]
.LBB129_31:                             ;   in Loop: Header=BB129_7 Depth=2
	s_or_b64 exec, exec, s[4:5]
	s_or_b64 s[4:5], s[8:9], s[10:11]
	s_or_b64 s[4:5], s[4:5], s[40:41]
	s_nor_b64 s[4:5], s[14:15], s[4:5]
	s_and_saveexec_b64 s[10:11], s[4:5]
	s_xor_b64 s[4:5], exec, s[10:11]
	s_cbranch_execz .LBB129_33
; %bb.32:                               ;   in Loop: Header=BB129_7 Depth=2
	global_load_dwordx4 v[4:7], v[8:9], off offset:256
	s_waitcnt vmcnt(0)
	v_xor_b32_e32 v7, 0x80000000, v7
	ds_write_b128 v69, v[4:7] offset:8448
.LBB129_33:                             ;   in Loop: Header=BB129_7 Depth=2
	s_andn2_saveexec_b64 s[4:5], s[4:5]
	s_cbranch_execz .LBB129_39
; %bb.34:                               ;   in Loop: Header=BB129_7 Depth=2
	s_and_saveexec_b64 s[10:11], s[36:37]
	s_xor_b64 s[10:11], exec, s[10:11]
; %bb.35:                               ;   in Loop: Header=BB129_7 Depth=2
	ds_write_b128 v69, v[76:79] offset:8448
; %bb.36:                               ;   in Loop: Header=BB129_7 Depth=2
	s_andn2_saveexec_b64 s[10:11], s[10:11]
; %bb.37:                               ;   in Loop: Header=BB129_7 Depth=2
	ds_write_b128 v69, v[0:3] offset:8448
; %bb.38:                               ;   in Loop: Header=BB129_7 Depth=2
	s_or_b64 exec, exec, s[10:11]
.LBB129_39:                             ;   in Loop: Header=BB129_7 Depth=2
	s_or_b64 exec, exec, s[4:5]
	v_lshl_add_u64 v[4:5], v[12:13], 0, s[28:29]
	v_cmp_le_i64_e64 s[10:11], s[30:31], v[4:5]
	v_lshl_add_u64 v[6:7], v[50:51], 0, v[26:27]
	s_nor_b64 s[4:5], s[10:11], vcc
	s_and_saveexec_b64 s[12:13], s[4:5]
	s_xor_b64 s[4:5], exec, s[12:13]
	s_cbranch_execz .LBB129_41
; %bb.40:                               ;   in Loop: Header=BB129_7 Depth=2
	global_load_dwordx4 v[8:11], v[6:7], off offset:-256
	s_waitcnt vmcnt(0)
	ds_write2_b64 v71, v[8:9], v[10:11] offset1:1
.LBB129_41:                             ;   in Loop: Header=BB129_7 Depth=2
	s_andn2_saveexec_b64 s[4:5], s[4:5]
; %bb.42:                               ;   in Loop: Header=BB129_7 Depth=2
	ds_write_b128 v71, v[76:79]
; %bb.43:                               ;   in Loop: Header=BB129_7 Depth=2
	s_or_b64 exec, exec, s[4:5]
	s_nor_b64 s[4:5], s[10:11], s[0:1]
	s_and_saveexec_b64 s[10:11], s[4:5]
	s_xor_b64 s[4:5], exec, s[10:11]
	s_cbranch_execz .LBB129_45
; %bb.44:                               ;   in Loop: Header=BB129_7 Depth=2
	global_load_dwordx4 v[6:9], v[6:7], off
	s_waitcnt vmcnt(0)
	ds_write2_b64 v72, v[6:7], v[8:9] offset1:1
.LBB129_45:                             ;   in Loop: Header=BB129_7 Depth=2
	s_andn2_saveexec_b64 s[4:5], s[4:5]
; %bb.46:                               ;   in Loop: Header=BB129_7 Depth=2
	ds_write_b128 v71, v[76:79] offset:256
; %bb.47:                               ;   in Loop: Header=BB129_7 Depth=2
	s_or_b64 exec, exec, s[4:5]
	v_cmp_le_i64_e64 s[10:11], s[52:53], v[4:5]
	v_lshl_add_u64 v[4:5], v[50:51], 0, v[30:31]
	s_nor_b64 s[4:5], s[10:11], vcc
	s_and_saveexec_b64 s[12:13], s[4:5]
	s_xor_b64 s[4:5], exec, s[12:13]
	s_cbranch_execz .LBB129_49
; %bb.48:                               ;   in Loop: Header=BB129_7 Depth=2
	global_load_dwordx4 v[6:9], v[4:5], off offset:-256
	s_waitcnt vmcnt(0)
	ds_write2_b64 v73, v[6:7], v[8:9] offset1:1
.LBB129_49:                             ;   in Loop: Header=BB129_7 Depth=2
	s_andn2_saveexec_b64 s[4:5], s[4:5]
; %bb.50:                               ;   in Loop: Header=BB129_7 Depth=2
	ds_write_b128 v71, v[76:79] offset:8192
; %bb.51:                               ;   in Loop: Header=BB129_7 Depth=2
	s_or_b64 exec, exec, s[4:5]
	s_nor_b64 s[4:5], s[10:11], s[0:1]
	s_and_saveexec_b64 s[10:11], s[4:5]
	s_xor_b64 s[4:5], exec, s[10:11]
	s_cbranch_execz .LBB129_53
; %bb.52:                               ;   in Loop: Header=BB129_7 Depth=2
	global_load_dwordx4 v[4:7], v[4:5], off
	s_waitcnt vmcnt(0)
	ds_write2_b64 v74, v[4:5], v[6:7] offset1:1
.LBB129_53:                             ;   in Loop: Header=BB129_7 Depth=2
	s_andn2_saveexec_b64 s[4:5], s[4:5]
	s_cbranch_execz .LBB129_6
; %bb.54:                               ;   in Loop: Header=BB129_7 Depth=2
	ds_write_b128 v71, v[76:79] offset:8448
	s_branch .LBB129_6
.LBB129_55:                             ;   in Loop: Header=BB129_4 Depth=1
	v_mul_lo_u32 v6, s21, v34
	v_mul_lo_u32 v7, s20, v35
	v_mad_u64_u32 v[4:5], s[4:5], s20, v34, 0
	v_cmp_gt_i32_e64 s[6:7], s30, v34
	v_add3_u32 v5, v5, v7, v6
	v_lshl_add_u64 v[4:5], v[4:5], 4, s[22:23]
	s_and_b64 s[8:9], s[16:17], s[6:7]
	s_and_saveexec_b64 s[4:5], s[8:9]
	s_cbranch_execz .LBB129_57
; %bb.56:                               ;   in Loop: Header=BB129_4 Depth=1
	v_lshl_add_u64 v[10:11], v[16:17], 4, v[4:5]
	global_load_dwordx4 v[6:9], v[10:11], off
	v_mul_f64 v[36:37], s[26:27], v[66:67]
	v_mul_f64 v[38:39], s[24:25], v[66:67]
	v_fma_f64 v[36:37], s[24:25], v[64:65], -v[36:37]
	v_fmac_f64_e32 v[38:39], s[26:27], v[64:65]
	s_waitcnt vmcnt(0)
	v_add_f64 v[6:7], v[6:7], v[36:37]
	v_add_f64 v[8:9], v[38:39], v[8:9]
	global_store_dwordx4 v[10:11], v[6:9], off
.LBB129_57:                             ;   in Loop: Header=BB129_4 Depth=1
	s_or_b64 exec, exec, s[4:5]
	s_and_b64 s[6:7], s[18:19], s[6:7]
	s_and_saveexec_b64 s[4:5], s[6:7]
	s_cbranch_execz .LBB129_59
; %bb.58:                               ;   in Loop: Header=BB129_4 Depth=1
	v_lshl_add_u64 v[8:9], v[20:21], 4, v[4:5]
	global_load_dwordx4 v[4:7], v[8:9], off
	v_mul_f64 v[10:11], s[26:27], v[62:63]
	v_mul_f64 v[36:37], s[24:25], v[62:63]
	v_fma_f64 v[10:11], s[24:25], v[60:61], -v[10:11]
	v_fmac_f64_e32 v[36:37], s[26:27], v[60:61]
	s_waitcnt vmcnt(0)
	v_add_f64 v[4:5], v[4:5], v[10:11]
	v_add_f64 v[6:7], v[36:37], v[6:7]
	global_store_dwordx4 v[8:9], v[4:7], off
.LBB129_59:                             ;   in Loop: Header=BB129_4 Depth=1
	s_or_b64 exec, exec, s[4:5]
	s_nop 0
	v_add_u32_e32 v4, 16, v34
	v_ashrrev_i32_e32 v5, 31, v4
	v_cmp_gt_i32_e64 s[6:7], s30, v4
	v_mul_lo_u32 v6, s20, v5
	v_mul_lo_u32 v7, s21, v4
	v_mad_u64_u32 v[4:5], s[4:5], s20, v4, 0
	v_add3_u32 v5, v5, v6, v7
	v_lshl_add_u64 v[4:5], v[4:5], 4, s[22:23]
	s_and_b64 s[8:9], s[16:17], s[6:7]
	s_and_saveexec_b64 s[4:5], s[8:9]
	s_cbranch_execz .LBB129_61
; %bb.60:                               ;   in Loop: Header=BB129_4 Depth=1
	v_lshl_add_u64 v[10:11], v[16:17], 4, v[4:5]
	global_load_dwordx4 v[6:9], v[10:11], off
	v_mul_f64 v[34:35], s[26:27], v[58:59]
	v_mul_f64 v[36:37], s[24:25], v[58:59]
	v_fma_f64 v[34:35], s[24:25], v[56:57], -v[34:35]
	v_fmac_f64_e32 v[36:37], s[26:27], v[56:57]
	s_waitcnt vmcnt(0)
	v_add_f64 v[6:7], v[6:7], v[34:35]
	v_add_f64 v[8:9], v[36:37], v[8:9]
	global_store_dwordx4 v[10:11], v[6:9], off
.LBB129_61:                             ;   in Loop: Header=BB129_4 Depth=1
	s_or_b64 exec, exec, s[4:5]
	s_and_b64 s[6:7], s[18:19], s[6:7]
	s_and_saveexec_b64 s[4:5], s[6:7]
	s_cbranch_execz .LBB129_3
; %bb.62:                               ;   in Loop: Header=BB129_4 Depth=1
	v_lshl_add_u64 v[8:9], v[20:21], 4, v[4:5]
	global_load_dwordx4 v[4:7], v[8:9], off
	v_mul_f64 v[10:11], s[26:27], v[52:53]
	v_mul_f64 v[34:35], s[24:25], v[52:53]
	v_fma_f64 v[10:11], s[24:25], v[54:55], -v[10:11]
	v_fmac_f64_e32 v[34:35], s[26:27], v[54:55]
	s_waitcnt vmcnt(0)
	v_add_f64 v[4:5], v[4:5], v[10:11]
	v_add_f64 v[6:7], v[34:35], v[6:7]
	global_store_dwordx4 v[8:9], v[4:7], off
	s_branch .LBB129_3
.LBB129_63:
	s_endpgm
	.section	.rodata,"a",@progbits
	.p2align	6, 0x0
	.amdhsa_kernel _ZL30rocblas_trmm_outofplace_kernelI19rocblas_complex_numIdELi32ELi2ELb0ELb0ELb1ELb1ES1_KS1_S1_Ev17rocblas_diagonal_iiT6_lPT7_lllS6_lllPT8_llli
		.amdhsa_group_segment_fixed_size 32768
		.amdhsa_private_segment_fixed_size 0
		.amdhsa_kernarg_size 400
		.amdhsa_user_sgpr_count 2
		.amdhsa_user_sgpr_dispatch_ptr 0
		.amdhsa_user_sgpr_queue_ptr 0
		.amdhsa_user_sgpr_kernarg_segment_ptr 1
		.amdhsa_user_sgpr_dispatch_id 0
		.amdhsa_user_sgpr_kernarg_preload_length 0
		.amdhsa_user_sgpr_kernarg_preload_offset 0
		.amdhsa_user_sgpr_private_segment_size 0
		.amdhsa_uses_dynamic_stack 0
		.amdhsa_enable_private_segment 0
		.amdhsa_system_sgpr_workgroup_id_x 1
		.amdhsa_system_sgpr_workgroup_id_y 1
		.amdhsa_system_sgpr_workgroup_id_z 1
		.amdhsa_system_sgpr_workgroup_info 0
		.amdhsa_system_vgpr_workitem_id 1
		.amdhsa_next_free_vgpr 102
		.amdhsa_next_free_sgpr 55
		.amdhsa_accum_offset 104
		.amdhsa_reserve_vcc 1
		.amdhsa_float_round_mode_32 0
		.amdhsa_float_round_mode_16_64 0
		.amdhsa_float_denorm_mode_32 3
		.amdhsa_float_denorm_mode_16_64 3
		.amdhsa_dx10_clamp 1
		.amdhsa_ieee_mode 1
		.amdhsa_fp16_overflow 0
		.amdhsa_tg_split 0
		.amdhsa_exception_fp_ieee_invalid_op 0
		.amdhsa_exception_fp_denorm_src 0
		.amdhsa_exception_fp_ieee_div_zero 0
		.amdhsa_exception_fp_ieee_overflow 0
		.amdhsa_exception_fp_ieee_underflow 0
		.amdhsa_exception_fp_ieee_inexact 0
		.amdhsa_exception_int_div_zero 0
	.end_amdhsa_kernel
	.section	.text._ZL30rocblas_trmm_outofplace_kernelI19rocblas_complex_numIdELi32ELi2ELb0ELb0ELb1ELb1ES1_KS1_S1_Ev17rocblas_diagonal_iiT6_lPT7_lllS6_lllPT8_llli,"axG",@progbits,_ZL30rocblas_trmm_outofplace_kernelI19rocblas_complex_numIdELi32ELi2ELb0ELb0ELb1ELb1ES1_KS1_S1_Ev17rocblas_diagonal_iiT6_lPT7_lllS6_lllPT8_llli,comdat
.Lfunc_end129:
	.size	_ZL30rocblas_trmm_outofplace_kernelI19rocblas_complex_numIdELi32ELi2ELb0ELb0ELb1ELb1ES1_KS1_S1_Ev17rocblas_diagonal_iiT6_lPT7_lllS6_lllPT8_llli, .Lfunc_end129-_ZL30rocblas_trmm_outofplace_kernelI19rocblas_complex_numIdELi32ELi2ELb0ELb0ELb1ELb1ES1_KS1_S1_Ev17rocblas_diagonal_iiT6_lPT7_lllS6_lllPT8_llli
                                        ; -- End function
	.set _ZL30rocblas_trmm_outofplace_kernelI19rocblas_complex_numIdELi32ELi2ELb0ELb0ELb1ELb1ES1_KS1_S1_Ev17rocblas_diagonal_iiT6_lPT7_lllS6_lllPT8_llli.num_vgpr, 102
	.set _ZL30rocblas_trmm_outofplace_kernelI19rocblas_complex_numIdELi32ELi2ELb0ELb0ELb1ELb1ES1_KS1_S1_Ev17rocblas_diagonal_iiT6_lPT7_lllS6_lllPT8_llli.num_agpr, 0
	.set _ZL30rocblas_trmm_outofplace_kernelI19rocblas_complex_numIdELi32ELi2ELb0ELb0ELb1ELb1ES1_KS1_S1_Ev17rocblas_diagonal_iiT6_lPT7_lllS6_lllPT8_llli.numbered_sgpr, 55
	.set _ZL30rocblas_trmm_outofplace_kernelI19rocblas_complex_numIdELi32ELi2ELb0ELb0ELb1ELb1ES1_KS1_S1_Ev17rocblas_diagonal_iiT6_lPT7_lllS6_lllPT8_llli.num_named_barrier, 0
	.set _ZL30rocblas_trmm_outofplace_kernelI19rocblas_complex_numIdELi32ELi2ELb0ELb0ELb1ELb1ES1_KS1_S1_Ev17rocblas_diagonal_iiT6_lPT7_lllS6_lllPT8_llli.private_seg_size, 0
	.set _ZL30rocblas_trmm_outofplace_kernelI19rocblas_complex_numIdELi32ELi2ELb0ELb0ELb1ELb1ES1_KS1_S1_Ev17rocblas_diagonal_iiT6_lPT7_lllS6_lllPT8_llli.uses_vcc, 1
	.set _ZL30rocblas_trmm_outofplace_kernelI19rocblas_complex_numIdELi32ELi2ELb0ELb0ELb1ELb1ES1_KS1_S1_Ev17rocblas_diagonal_iiT6_lPT7_lllS6_lllPT8_llli.uses_flat_scratch, 0
	.set _ZL30rocblas_trmm_outofplace_kernelI19rocblas_complex_numIdELi32ELi2ELb0ELb0ELb1ELb1ES1_KS1_S1_Ev17rocblas_diagonal_iiT6_lPT7_lllS6_lllPT8_llli.has_dyn_sized_stack, 0
	.set _ZL30rocblas_trmm_outofplace_kernelI19rocblas_complex_numIdELi32ELi2ELb0ELb0ELb1ELb1ES1_KS1_S1_Ev17rocblas_diagonal_iiT6_lPT7_lllS6_lllPT8_llli.has_recursion, 0
	.set _ZL30rocblas_trmm_outofplace_kernelI19rocblas_complex_numIdELi32ELi2ELb0ELb0ELb1ELb1ES1_KS1_S1_Ev17rocblas_diagonal_iiT6_lPT7_lllS6_lllPT8_llli.has_indirect_call, 0
	.section	.AMDGPU.csdata,"",@progbits
; Kernel info:
; codeLenInByte = 9092
; TotalNumSgprs: 61
; NumVgprs: 102
; NumAgprs: 0
; TotalNumVgprs: 102
; ScratchSize: 0
; MemoryBound: 0
; FloatMode: 240
; IeeeMode: 1
; LDSByteSize: 32768 bytes/workgroup (compile time only)
; SGPRBlocks: 7
; VGPRBlocks: 12
; NumSGPRsForWavesPerEU: 61
; NumVGPRsForWavesPerEU: 102
; AccumOffset: 104
; Occupancy: 4
; WaveLimiterHint : 0
; COMPUTE_PGM_RSRC2:SCRATCH_EN: 0
; COMPUTE_PGM_RSRC2:USER_SGPR: 2
; COMPUTE_PGM_RSRC2:TRAP_HANDLER: 0
; COMPUTE_PGM_RSRC2:TGID_X_EN: 1
; COMPUTE_PGM_RSRC2:TGID_Y_EN: 1
; COMPUTE_PGM_RSRC2:TGID_Z_EN: 1
; COMPUTE_PGM_RSRC2:TIDIG_COMP_CNT: 1
; COMPUTE_PGM_RSRC3_GFX90A:ACCUM_OFFSET: 25
; COMPUTE_PGM_RSRC3_GFX90A:TG_SPLIT: 0
	.section	.text._ZL30rocblas_trmm_outofplace_kernelI19rocblas_complex_numIdELi32ELi2ELb0ELb1ELb1ELb1EPKS1_S2_S1_Ev17rocblas_diagonal_iiT6_lPT7_lllS7_lllPT8_llli,"axG",@progbits,_ZL30rocblas_trmm_outofplace_kernelI19rocblas_complex_numIdELi32ELi2ELb0ELb1ELb1ELb1EPKS1_S2_S1_Ev17rocblas_diagonal_iiT6_lPT7_lllS7_lllPT8_llli,comdat
	.globl	_ZL30rocblas_trmm_outofplace_kernelI19rocblas_complex_numIdELi32ELi2ELb0ELb1ELb1ELb1EPKS1_S2_S1_Ev17rocblas_diagonal_iiT6_lPT7_lllS7_lllPT8_llli ; -- Begin function _ZL30rocblas_trmm_outofplace_kernelI19rocblas_complex_numIdELi32ELi2ELb0ELb1ELb1ELb1EPKS1_S2_S1_Ev17rocblas_diagonal_iiT6_lPT7_lllS7_lllPT8_llli
	.p2align	8
	.type	_ZL30rocblas_trmm_outofplace_kernelI19rocblas_complex_numIdELi32ELi2ELb0ELb1ELb1ELb1EPKS1_S2_S1_Ev17rocblas_diagonal_iiT6_lPT7_lllS7_lllPT8_llli,@function
_ZL30rocblas_trmm_outofplace_kernelI19rocblas_complex_numIdELi32ELi2ELb0ELb1ELb1ELb1EPKS1_S2_S1_Ev17rocblas_diagonal_iiT6_lPT7_lllS7_lllPT8_llli: ; @_ZL30rocblas_trmm_outofplace_kernelI19rocblas_complex_numIdELi32ELi2ELb0ELb1ELb1ELb1EPKS1_S2_S1_Ev17rocblas_diagonal_iiT6_lPT7_lllS7_lllPT8_llli
; %bb.0:
	s_load_dwordx16 s[16:31], s[0:1], 0x10
	s_waitcnt lgkmcnt(0)
	s_mul_i32 s5, s19, s4
	s_mul_hi_u32 s6, s18, s4
	s_add_i32 s7, s6, s5
	s_mul_i32 s6, s18, s4
	s_lshl_b64 s[6:7], s[6:7], 4
	s_add_u32 s6, s16, s6
	s_addc_u32 s7, s17, s7
	s_load_dwordx4 s[44:47], s[6:7], 0x0
	s_waitcnt lgkmcnt(0)
	v_cmp_eq_f64_e64 s[6:7], s[44:45], 0
	v_cmp_eq_f64_e64 s[8:9], s[46:47], 0
	s_and_b64 s[6:7], s[6:7], s[8:9]
	s_and_b64 vcc, exec, s[6:7]
	s_cbranch_vccnz .LBB130_64
; %bb.1:
	s_load_dwordx4 s[48:51], s[0:1], 0x0
	s_waitcnt lgkmcnt(0)
	s_add_i32 s5, s50, -1
	s_ashr_i32 s6, s5, 31
	s_lshr_b32 s6, s6, 27
	s_add_i32 s5, s5, s6
	s_ashr_i32 s33, s5, 5
	s_cmp_gt_i32 s3, s33
	s_cbranch_scc1 .LBB130_64
; %bb.2:
	s_load_dwordx8 s[36:43], s[0:1], 0x50
	s_load_dwordx4 s[52:55], s[0:1], 0x70
	s_load_dword s60, s[0:1], 0x8c
	v_and_b32_e32 v2, 0x3ff, v0
	v_lshl_add_u32 v16, s2, 5, v2
	s_waitcnt lgkmcnt(0)
	s_mul_i32 s5, s39, s4
	s_mul_hi_u32 s7, s38, s4
	s_mul_i32 s6, s38, s4
	s_add_i32 s7, s7, s5
	s_lshl_b64 s[6:7], s[6:7], 4
	s_add_u32 s5, s28, s6
	s_addc_u32 s8, s29, s7
	s_lshl_b64 s[6:7], s[30:31], 4
	s_add_u32 s6, s5, s6
	s_mul_i32 s0, s55, s4
	s_mul_hi_u32 s1, s54, s4
	s_addc_u32 s7, s8, s7
	s_add_i32 s1, s1, s0
	s_mul_i32 s0, s54, s4
	s_lshl_b64 s[0:1], s[0:1], 4
	s_add_u32 s5, s40, s0
	s_addc_u32 s8, s41, s1
	s_lshl_b64 s[0:1], s[42:43], 4
	s_add_u32 s28, s5, s0
	s_addc_u32 s29, s8, s1
	s_cmpk_eq_i32 s48, 0x84
	s_cselect_b64 s[30:31], -1, 0
	s_ashr_i32 s51, s50, 31
	s_ashr_i32 s0, s49, 31
	s_lshl_b64 s[34:35], s[24:25], 9
	s_lshl_b64 s[38:39], s[36:37], 9
	s_add_u32 s40, s50, -16
	v_bfe_u32 v66, v0, 10, 10
	v_ashrrev_i32_e32 v17, 31, v16
	s_addc_u32 s41, s51, -1
	s_lshl_b32 s5, s3, 5
	v_lshl_add_u64 v[18:19], v[16:17], 4, s[6:7]
	v_add_u32_e32 v22, s5, v2
	v_add_u32_e32 v24, s5, v66
	s_mul_i32 s5, s27, s4
	s_mul_hi_u32 s6, s26, s4
	s_add_i32 s5, s6, s5
	s_mul_i32 s4, s26, s4
	s_lshl_b32 s2, s60, 5
	s_lshl_b64 s[42:43], s[36:37], 4
	s_lshl_b64 s[4:5], s[4:5], 4
	;; [unrolled: 1-line block ×3, first 2 shown]
	v_lshlrev_b32_e32 v3, 4, v2
	v_mov_b32_e32 v1, s0
	v_sub_co_u32_e32 v0, vcc, s49, v16
	s_add_u32 s4, s4, s6
	v_lshlrev_b32_e32 v67, 9, v66
	v_subb_co_u32_e32 v1, vcc, v1, v17, vcc
	v_or_b32_e32 v69, 0x4000, v3
	s_addc_u32 s5, s5, s7
	v_add_u32_e32 v70, v69, v67
	v_cmp_gt_i64_e32 vcc, 1, v[0:1]
	v_cmp_gt_i64_e64 s[0:1], 17, v[0:1]
	v_add_u32_e32 v20, 16, v16
	s_add_u32 s20, s20, s4
	v_mov_b32_e32 v0, 0
	v_add_u32_e32 v68, v67, v3
	v_add_u32_e32 v71, 0x100, v70
	;; [unrolled: 1-line block ×4, first 2 shown]
	v_cmp_gt_i32_e64 s[16:17], s49, v16
	v_cmp_gt_i32_e64 s[18:19], s49, v20
	v_ashrrev_i32_e32 v21, 31, v20
	s_addc_u32 s21, s21, s5
	s_lshl_b64 s[22:23], s[24:25], 4
	s_mov_b64 s[26:27], 0x100
	v_mov_b64_e32 v[26:27], 0x100
	v_mov_b32_e32 v1, v0
	v_mov_b32_e32 v2, v0
	;; [unrolled: 1-line block ×7, first 2 shown]
	s_branch .LBB130_4
.LBB130_3:                              ;   in Loop: Header=BB130_4 Depth=1
	s_or_b64 exec, exec, s[4:5]
	s_add_i32 s3, s60, s3
	v_add_u32_e32 v22, s2, v22
	s_cmp_le_i32 s3, s33
	v_add_u32_e32 v24, s2, v24
	s_cbranch_scc0 .LBB130_64
.LBB130_4:                              ; =>This Loop Header: Depth=1
                                        ;     Child Loop BB130_7 Depth 2
	s_lshl_b32 s4, s3, 5
	v_add_u32_e32 v28, s4, v66
	s_sub_i32 s61, s50, s4
	v_ashrrev_i32_e32 v23, 31, v22
	v_ashrrev_i32_e32 v25, 31, v24
	s_cmp_lt_i32 s61, 1
	v_ashrrev_i32_e32 v29, 31, v28
	s_cbranch_scc1 .LBB130_55
; %bb.5:                                ;   in Loop: Header=BB130_4 Depth=1
	v_sub_co_u32_e64 v30, s[4:5], v24, v22
	v_mul_lo_u32 v8, s42, v25
	s_nop 0
	v_subb_co_u32_e64 v31, s[4:5], v25, v23, s[4:5]
	v_mad_u64_u32 v[32:33], s[4:5], s42, v24, v[26:27]
	v_mul_lo_u32 v9, s43, v24
	v_lshlrev_b64 v[34:35], 4, v[24:25]
	v_add3_u32 v33, v9, v33, v8
	v_lshl_add_u64 v[8:9], v[34:35], 0, s[26:27]
	v_mul_lo_u32 v9, s36, v9
	v_mul_lo_u32 v10, s37, v8
	v_mad_u64_u32 v[36:37], s[4:5], s36, v8, v[26:27]
	v_add3_u32 v37, v10, v37, v9
	v_mov_b64_e32 v[8:9], s[20:21]
	v_mad_u64_u32 v[38:39], s[4:5], s22, v22, v[8:9]
	v_mul_lo_u32 v10, s22, v23
	v_mul_lo_u32 v11, s23, v22
	v_add3_u32 v39, v11, v39, v10
	v_lshl_add_u64 v[10:11], v[22:23], 4, v[26:27]
	v_mul_lo_u32 v11, s24, v11
	v_mul_lo_u32 v12, s25, v10
	v_mad_u64_u32 v[40:41], s[4:5], s24, v10, v[8:9]
	v_lshl_add_u64 v[42:43], v[28:29], 0, 16
	v_add3_u32 v41, v12, v41, v11
	v_cmp_le_i32_e64 s[6:7], s50, v28
	v_cmp_le_i64_e64 s[8:9], s[50:51], v[42:43]
	v_lshl_add_u64 v[44:45], v[30:31], 0, 16
	v_lshl_add_u64 v[46:47], v[30:31], 0, -16
	v_mov_b64_e32 v[50:51], 0
	s_mov_b64 s[48:49], 0
	v_mov_b64_e32 v[48:49], v[18:19]
	v_mov_b64_e32 v[52:53], 0
	;; [unrolled: 1-line block ×8, first 2 shown]
	s_branch .LBB130_7
.LBB130_6:                              ;   in Loop: Header=BB130_7 Depth=2
	s_or_b64 exec, exec, s[4:5]
	s_waitcnt lgkmcnt(0)
	s_barrier
	ds_read_b128 v[74:77], v67
	ds_read_b128 v[78:81], v67 offset:16
	ds_read_b128 v[12:15], v67 offset:32
	;; [unrolled: 1-line block ×3, first 2 shown]
	ds_read_b128 v[82:85], v69
	s_add_u32 s48, s48, 32
	s_addc_u32 s49, s49, 0
	v_lshl_add_u64 v[48:49], v[48:49], 0, s[38:39]
	v_lshl_add_u64 v[38:39], v[38:39], 0, s[34:35]
	s_waitcnt lgkmcnt(0)
	v_mul_f64 v[86:87], v[76:77], v[84:85]
	v_mul_f64 v[88:89], v[74:75], v[84:85]
	v_fma_f64 v[86:87], v[74:75], v[82:83], -v[86:87]
	v_fmac_f64_e32 v[88:89], v[76:77], v[82:83]
	v_add_f64 v[86:87], v[62:63], v[86:87]
	v_add_f64 v[88:89], v[88:89], v[64:65]
	ds_read_b128 v[62:65], v69 offset:256
	v_lshl_add_u64 v[40:41], v[40:41], 0, s[34:35]
	s_cmp_ge_i32 s48, s61
	s_waitcnt lgkmcnt(0)
	v_mul_f64 v[90:91], v[76:77], v[64:65]
	v_fma_f64 v[90:91], v[74:75], v[62:63], -v[90:91]
	v_mul_f64 v[74:75], v[74:75], v[64:65]
	v_fmac_f64_e32 v[74:75], v[76:77], v[62:63]
	v_add_f64 v[76:77], v[54:55], v[90:91]
	v_add_f64 v[74:75], v[74:75], v[56:57]
	ds_read_b128 v[54:57], v67 offset:8192
	s_waitcnt lgkmcnt(0)
	v_mul_f64 v[90:91], v[56:57], v[84:85]
	v_fma_f64 v[90:91], v[54:55], v[82:83], -v[90:91]
	v_mul_f64 v[84:85], v[54:55], v[84:85]
	v_fmac_f64_e32 v[84:85], v[56:57], v[82:83]
	v_add_f64 v[82:83], v[58:59], v[90:91]
	v_mul_f64 v[58:59], v[56:57], v[64:65]
	v_fma_f64 v[58:59], v[54:55], v[62:63], -v[58:59]
	v_mul_f64 v[54:55], v[54:55], v[64:65]
	v_fmac_f64_e32 v[54:55], v[56:57], v[62:63]
	v_add_f64 v[92:93], v[54:55], v[50:51]
	ds_read_b128 v[54:57], v69 offset:512
	ds_read_b128 v[62:65], v67 offset:8208
	v_add_f64 v[84:85], v[84:85], v[60:61]
	v_add_f64 v[90:91], v[52:53], v[58:59]
	ds_read_b128 v[58:61], v69 offset:768
	s_waitcnt lgkmcnt(2)
	v_mul_f64 v[52:53], v[78:79], v[56:57]
	v_fmac_f64_e32 v[52:53], v[80:81], v[54:55]
	v_mul_f64 v[50:51], v[80:81], v[56:57]
	v_add_f64 v[88:89], v[52:53], v[88:89]
	s_waitcnt lgkmcnt(0)
	v_mul_f64 v[52:53], v[78:79], v[60:61]
	v_fma_f64 v[50:51], v[78:79], v[54:55], -v[50:51]
	v_fmac_f64_e32 v[52:53], v[80:81], v[58:59]
	v_add_f64 v[86:87], v[86:87], v[50:51]
	v_mul_f64 v[50:51], v[80:81], v[60:61]
	v_add_f64 v[52:53], v[52:53], v[74:75]
	v_mul_f64 v[74:75], v[64:65], v[56:57]
	v_mul_f64 v[56:57], v[62:63], v[56:57]
	v_fma_f64 v[50:51], v[78:79], v[58:59], -v[50:51]
	v_fmac_f64_e32 v[56:57], v[64:65], v[54:55]
	v_add_f64 v[50:51], v[76:77], v[50:51]
	v_fma_f64 v[74:75], v[62:63], v[54:55], -v[74:75]
	v_add_f64 v[76:77], v[56:57], v[84:85]
	v_mul_f64 v[54:55], v[64:65], v[60:61]
	v_mul_f64 v[56:57], v[62:63], v[60:61]
	v_fma_f64 v[54:55], v[62:63], v[58:59], -v[54:55]
	v_fmac_f64_e32 v[56:57], v[64:65], v[58:59]
	v_add_f64 v[62:63], v[90:91], v[54:55]
	v_add_f64 v[64:65], v[56:57], v[92:93]
	ds_read_b128 v[54:57], v69 offset:1024
	v_add_f64 v[74:75], v[82:83], v[74:75]
	s_waitcnt lgkmcnt(0)
	v_mul_f64 v[58:59], v[14:15], v[56:57]
	v_mul_f64 v[60:61], v[12:13], v[56:57]
	v_fma_f64 v[58:59], v[12:13], v[54:55], -v[58:59]
	v_fmac_f64_e32 v[60:61], v[14:15], v[54:55]
	v_add_f64 v[78:79], v[86:87], v[58:59]
	v_add_f64 v[80:81], v[60:61], v[88:89]
	ds_read_b128 v[58:61], v69 offset:1280
	s_waitcnt lgkmcnt(0)
	v_mul_f64 v[82:83], v[14:15], v[60:61]
	v_fma_f64 v[82:83], v[12:13], v[58:59], -v[82:83]
	v_mul_f64 v[12:13], v[12:13], v[60:61]
	v_fmac_f64_e32 v[12:13], v[14:15], v[58:59]
	v_add_f64 v[84:85], v[12:13], v[52:53]
	ds_read_b128 v[12:15], v67 offset:8224
	v_add_f64 v[82:83], v[50:51], v[82:83]
	s_waitcnt lgkmcnt(0)
	v_mul_f64 v[50:51], v[14:15], v[56:57]
	v_fma_f64 v[50:51], v[12:13], v[54:55], -v[50:51]
	v_mul_f64 v[52:53], v[12:13], v[56:57]
	v_fmac_f64_e32 v[52:53], v[14:15], v[54:55]
	v_add_f64 v[54:55], v[74:75], v[50:51]
	v_mul_f64 v[50:51], v[14:15], v[60:61]
	v_fma_f64 v[50:51], v[12:13], v[58:59], -v[50:51]
	v_mul_f64 v[12:13], v[12:13], v[60:61]
	v_fmac_f64_e32 v[12:13], v[14:15], v[58:59]
	v_add_f64 v[60:61], v[12:13], v[64:65]
	ds_read_b128 v[12:15], v69 offset:1536
	v_add_f64 v[56:57], v[52:53], v[76:77]
	v_add_f64 v[58:59], v[62:63], v[50:51]
	s_waitcnt lgkmcnt(0)
	v_mul_f64 v[50:51], v[10:11], v[14:15]
	v_mul_f64 v[52:53], v[8:9], v[14:15]
	v_fma_f64 v[50:51], v[8:9], v[12:13], -v[50:51]
	v_fmac_f64_e32 v[52:53], v[10:11], v[12:13]
	v_add_f64 v[62:63], v[78:79], v[50:51]
	v_add_f64 v[64:65], v[52:53], v[80:81]
	ds_read_b128 v[50:53], v69 offset:1792
	s_waitcnt lgkmcnt(0)
	v_mul_f64 v[74:75], v[10:11], v[52:53]
	v_fma_f64 v[74:75], v[8:9], v[50:51], -v[74:75]
	v_mul_f64 v[8:9], v[8:9], v[52:53]
	v_fmac_f64_e32 v[8:9], v[10:11], v[50:51]
	v_add_f64 v[76:77], v[8:9], v[84:85]
	ds_read_b128 v[8:11], v67 offset:8240
	v_add_f64 v[74:75], v[82:83], v[74:75]
	s_waitcnt lgkmcnt(0)
	v_mul_f64 v[78:79], v[10:11], v[14:15]
	v_mul_f64 v[14:15], v[8:9], v[14:15]
	v_fma_f64 v[78:79], v[8:9], v[12:13], -v[78:79]
	v_fmac_f64_e32 v[14:15], v[10:11], v[12:13]
	v_mul_f64 v[12:13], v[10:11], v[52:53]
	v_fma_f64 v[12:13], v[8:9], v[50:51], -v[12:13]
	v_mul_f64 v[8:9], v[8:9], v[52:53]
	v_fmac_f64_e32 v[8:9], v[10:11], v[50:51]
	v_add_f64 v[56:57], v[14:15], v[56:57]
	v_add_f64 v[58:59], v[58:59], v[12:13]
	v_add_f64 v[60:61], v[8:9], v[60:61]
	ds_read_b128 v[8:11], v67 offset:64
	ds_read_b128 v[12:15], v69 offset:2048
	v_add_f64 v[54:55], v[54:55], v[78:79]
	s_waitcnt lgkmcnt(0)
	v_mul_f64 v[50:51], v[10:11], v[14:15]
	v_mul_f64 v[52:53], v[8:9], v[14:15]
	v_fma_f64 v[50:51], v[8:9], v[12:13], -v[50:51]
	v_fmac_f64_e32 v[52:53], v[10:11], v[12:13]
	v_add_f64 v[62:63], v[62:63], v[50:51]
	v_add_f64 v[64:65], v[52:53], v[64:65]
	ds_read_b128 v[50:53], v69 offset:2304
	s_waitcnt lgkmcnt(0)
	v_mul_f64 v[78:79], v[10:11], v[52:53]
	v_fma_f64 v[78:79], v[8:9], v[50:51], -v[78:79]
	v_mul_f64 v[8:9], v[8:9], v[52:53]
	v_fmac_f64_e32 v[8:9], v[10:11], v[50:51]
	v_add_f64 v[76:77], v[8:9], v[76:77]
	ds_read_b128 v[8:11], v67 offset:8256
	v_add_f64 v[74:75], v[74:75], v[78:79]
	s_waitcnt lgkmcnt(0)
	v_mul_f64 v[78:79], v[10:11], v[14:15]
	v_fma_f64 v[78:79], v[8:9], v[12:13], -v[78:79]
	v_mul_f64 v[14:15], v[8:9], v[14:15]
	v_fmac_f64_e32 v[14:15], v[10:11], v[12:13]
	v_add_f64 v[12:13], v[54:55], v[78:79]
	v_mul_f64 v[54:55], v[10:11], v[52:53]
	v_mul_f64 v[52:53], v[8:9], v[52:53]
	v_fma_f64 v[54:55], v[8:9], v[50:51], -v[54:55]
	v_fmac_f64_e32 v[52:53], v[10:11], v[50:51]
	v_add_f64 v[14:15], v[14:15], v[56:57]
	v_add_f64 v[8:9], v[58:59], v[54:55]
	v_add_f64 v[10:11], v[52:53], v[60:61]
	ds_read_b128 v[50:53], v67 offset:80
	ds_read_b128 v[54:57], v69 offset:2560
	s_waitcnt lgkmcnt(0)
	v_mul_f64 v[58:59], v[52:53], v[56:57]
	v_mul_f64 v[60:61], v[50:51], v[56:57]
	v_fma_f64 v[58:59], v[50:51], v[54:55], -v[58:59]
	v_fmac_f64_e32 v[60:61], v[52:53], v[54:55]
	v_add_f64 v[62:63], v[62:63], v[58:59]
	v_add_f64 v[64:65], v[60:61], v[64:65]
	ds_read_b128 v[58:61], v69 offset:2816
	s_waitcnt lgkmcnt(0)
	v_mul_f64 v[78:79], v[52:53], v[60:61]
	v_fma_f64 v[78:79], v[50:51], v[58:59], -v[78:79]
	v_mul_f64 v[50:51], v[50:51], v[60:61]
	v_fmac_f64_e32 v[50:51], v[52:53], v[58:59]
	v_add_f64 v[76:77], v[50:51], v[76:77]
	ds_read_b128 v[50:53], v67 offset:8272
	v_add_f64 v[74:75], v[74:75], v[78:79]
	s_waitcnt lgkmcnt(0)
	v_mul_f64 v[78:79], v[52:53], v[56:57]
	v_mul_f64 v[56:57], v[50:51], v[56:57]
	v_fma_f64 v[78:79], v[50:51], v[54:55], -v[78:79]
	v_fmac_f64_e32 v[56:57], v[52:53], v[54:55]
	v_add_f64 v[54:55], v[12:13], v[78:79]
	v_add_f64 v[56:57], v[56:57], v[14:15]
	v_mul_f64 v[12:13], v[52:53], v[60:61]
	v_mul_f64 v[14:15], v[50:51], v[60:61]
	v_fma_f64 v[12:13], v[50:51], v[58:59], -v[12:13]
	v_fmac_f64_e32 v[14:15], v[52:53], v[58:59]
	v_add_f64 v[58:59], v[8:9], v[12:13]
	v_add_f64 v[60:61], v[14:15], v[10:11]
	ds_read_b128 v[8:11], v67 offset:96
	ds_read_b128 v[12:15], v69 offset:3072
	s_waitcnt lgkmcnt(0)
	v_mul_f64 v[50:51], v[10:11], v[14:15]
	v_mul_f64 v[52:53], v[8:9], v[14:15]
	v_fma_f64 v[50:51], v[8:9], v[12:13], -v[50:51]
	v_fmac_f64_e32 v[52:53], v[10:11], v[12:13]
	v_add_f64 v[62:63], v[62:63], v[50:51]
	v_add_f64 v[64:65], v[52:53], v[64:65]
	ds_read_b128 v[50:53], v69 offset:3328
	s_waitcnt lgkmcnt(0)
	v_mul_f64 v[78:79], v[10:11], v[52:53]
	v_fma_f64 v[78:79], v[8:9], v[50:51], -v[78:79]
	v_mul_f64 v[8:9], v[8:9], v[52:53]
	v_fmac_f64_e32 v[8:9], v[10:11], v[50:51]
	v_add_f64 v[76:77], v[8:9], v[76:77]
	ds_read_b128 v[8:11], v67 offset:8288
	v_add_f64 v[74:75], v[74:75], v[78:79]
	s_waitcnt lgkmcnt(0)
	v_mul_f64 v[78:79], v[10:11], v[14:15]
	v_fma_f64 v[78:79], v[8:9], v[12:13], -v[78:79]
	v_mul_f64 v[14:15], v[8:9], v[14:15]
	v_fmac_f64_e32 v[14:15], v[10:11], v[12:13]
	v_add_f64 v[12:13], v[54:55], v[78:79]
	v_mul_f64 v[54:55], v[10:11], v[52:53]
	v_mul_f64 v[52:53], v[8:9], v[52:53]
	v_fma_f64 v[54:55], v[8:9], v[50:51], -v[54:55]
	v_fmac_f64_e32 v[52:53], v[10:11], v[50:51]
	v_add_f64 v[14:15], v[14:15], v[56:57]
	v_add_f64 v[8:9], v[58:59], v[54:55]
	v_add_f64 v[10:11], v[52:53], v[60:61]
	ds_read_b128 v[50:53], v67 offset:112
	ds_read_b128 v[54:57], v69 offset:3584
	s_waitcnt lgkmcnt(0)
	v_mul_f64 v[58:59], v[52:53], v[56:57]
	v_mul_f64 v[60:61], v[50:51], v[56:57]
	v_fma_f64 v[58:59], v[50:51], v[54:55], -v[58:59]
	v_fmac_f64_e32 v[60:61], v[52:53], v[54:55]
	v_add_f64 v[62:63], v[62:63], v[58:59]
	v_add_f64 v[64:65], v[60:61], v[64:65]
	ds_read_b128 v[58:61], v69 offset:3840
	s_waitcnt lgkmcnt(0)
	v_mul_f64 v[78:79], v[52:53], v[60:61]
	v_fma_f64 v[78:79], v[50:51], v[58:59], -v[78:79]
	v_mul_f64 v[50:51], v[50:51], v[60:61]
	v_fmac_f64_e32 v[50:51], v[52:53], v[58:59]
	v_add_f64 v[76:77], v[50:51], v[76:77]
	ds_read_b128 v[50:53], v67 offset:8304
	v_add_f64 v[74:75], v[74:75], v[78:79]
	s_waitcnt lgkmcnt(0)
	v_mul_f64 v[78:79], v[52:53], v[56:57]
	v_mul_f64 v[56:57], v[50:51], v[56:57]
	v_fma_f64 v[78:79], v[50:51], v[54:55], -v[78:79]
	v_fmac_f64_e32 v[56:57], v[52:53], v[54:55]
	v_add_f64 v[54:55], v[12:13], v[78:79]
	v_add_f64 v[56:57], v[56:57], v[14:15]
	v_mul_f64 v[12:13], v[52:53], v[60:61]
	v_mul_f64 v[14:15], v[50:51], v[60:61]
	v_fma_f64 v[12:13], v[50:51], v[58:59], -v[12:13]
	v_fmac_f64_e32 v[14:15], v[52:53], v[58:59]
	v_add_f64 v[58:59], v[8:9], v[12:13]
	v_add_f64 v[60:61], v[14:15], v[10:11]
	ds_read_b128 v[8:11], v67 offset:128
	ds_read_b128 v[12:15], v69 offset:4096
	;; [unrolled: 62-line block ×13, first 2 shown]
	s_waitcnt lgkmcnt(0)
	v_mul_f64 v[50:51], v[10:11], v[14:15]
	v_mul_f64 v[52:53], v[8:9], v[14:15]
	v_fma_f64 v[50:51], v[8:9], v[12:13], -v[50:51]
	v_fmac_f64_e32 v[52:53], v[10:11], v[12:13]
	v_add_f64 v[62:63], v[62:63], v[50:51]
	v_add_f64 v[64:65], v[52:53], v[64:65]
	ds_read_b128 v[50:53], v69 offset:15616
	s_waitcnt lgkmcnt(0)
	v_mul_f64 v[78:79], v[10:11], v[52:53]
	v_fma_f64 v[78:79], v[8:9], v[50:51], -v[78:79]
	v_mul_f64 v[8:9], v[8:9], v[52:53]
	v_fmac_f64_e32 v[8:9], v[10:11], v[50:51]
	v_add_f64 v[80:81], v[8:9], v[76:77]
	ds_read_b128 v[8:11], v67 offset:8672
	v_add_f64 v[78:79], v[74:75], v[78:79]
	s_waitcnt lgkmcnt(0)
	v_mul_f64 v[74:75], v[10:11], v[14:15]
	v_fma_f64 v[74:75], v[8:9], v[12:13], -v[74:75]
	v_mul_f64 v[14:15], v[8:9], v[14:15]
	v_fmac_f64_e32 v[14:15], v[10:11], v[12:13]
	v_add_f64 v[12:13], v[54:55], v[74:75]
	v_mul_f64 v[54:55], v[10:11], v[52:53]
	v_mul_f64 v[52:53], v[8:9], v[52:53]
	v_fma_f64 v[54:55], v[8:9], v[50:51], -v[54:55]
	v_fmac_f64_e32 v[52:53], v[10:11], v[50:51]
	v_add_f64 v[8:9], v[58:59], v[54:55]
	v_add_f64 v[10:11], v[52:53], v[60:61]
	ds_read_b128 v[50:53], v67 offset:496
	ds_read_b128 v[58:61], v69 offset:15872
	;; [unrolled: 1-line block ×3, first 2 shown]
	v_add_f64 v[14:15], v[14:15], v[56:57]
	s_waitcnt lgkmcnt(1)
	v_mul_f64 v[54:55], v[52:53], v[60:61]
	v_fma_f64 v[54:55], v[50:51], v[58:59], -v[54:55]
	v_add_f64 v[62:63], v[62:63], v[54:55]
	s_waitcnt lgkmcnt(0)
	v_mul_f64 v[54:55], v[52:53], v[76:77]
	v_mul_f64 v[56:57], v[50:51], v[60:61]
	v_fma_f64 v[54:55], v[50:51], v[74:75], -v[54:55]
	v_mul_f64 v[50:51], v[50:51], v[76:77]
	v_fmac_f64_e32 v[56:57], v[52:53], v[58:59]
	v_fmac_f64_e32 v[50:51], v[52:53], v[74:75]
	v_add_f64 v[64:65], v[56:57], v[64:65]
	v_add_f64 v[56:57], v[50:51], v[80:81]
	ds_read_b128 v[50:53], v67 offset:8688
	v_add_f64 v[54:55], v[78:79], v[54:55]
	s_waitcnt lgkmcnt(0)
	s_barrier
	v_mul_f64 v[78:79], v[52:53], v[60:61]
	v_mul_f64 v[60:61], v[50:51], v[60:61]
	v_fma_f64 v[78:79], v[50:51], v[58:59], -v[78:79]
	v_fmac_f64_e32 v[60:61], v[52:53], v[58:59]
	v_add_f64 v[58:59], v[12:13], v[78:79]
	v_add_f64 v[60:61], v[60:61], v[14:15]
	v_mul_f64 v[12:13], v[52:53], v[76:77]
	v_mul_f64 v[14:15], v[50:51], v[76:77]
	v_fma_f64 v[12:13], v[50:51], v[74:75], -v[12:13]
	v_fmac_f64_e32 v[14:15], v[52:53], v[74:75]
	v_add_f64 v[52:53], v[8:9], v[12:13]
	v_add_f64 v[50:51], v[14:15], v[10:11]
	s_cbranch_scc1 .LBB130_56
.LBB130_7:                              ;   Parent Loop BB130_4 Depth=1
                                        ; =>  This Inner Loop Header: Depth=2
	v_lshl_add_u64 v[10:11], v[22:23], 0, s[48:49]
	v_cmp_eq_u64_e64 s[4:5], s[48:49], v[30:31]
	v_cmp_lt_i64_e64 s[10:11], v[10:11], v[28:29]
	s_and_b64 s[56:57], s[30:31], s[4:5]
	v_cmp_le_i64_e64 s[12:13], s[50:51], v[10:11]
	s_or_b64 s[4:5], s[6:7], s[10:11]
	s_or_b64 s[4:5], s[12:13], s[4:5]
	v_lshl_add_u64 v[8:9], v[38:39], 0, v[34:35]
	s_nor_b64 s[4:5], s[4:5], s[56:57]
	s_and_saveexec_b64 s[14:15], s[4:5]
	s_xor_b64 s[4:5], exec, s[14:15]
	s_cbranch_execz .LBB130_9
; %bb.8:                                ;   in Loop: Header=BB130_7 Depth=2
	global_load_dwordx4 v[12:15], v[8:9], off
	s_waitcnt vmcnt(0)
	v_xor_b32_e32 v15, 0x80000000, v15
	ds_write_b128 v68, v[12:15]
.LBB130_9:                              ;   in Loop: Header=BB130_7 Depth=2
	s_or_saveexec_b64 s[4:5], s[4:5]
	s_xor_b64 s[54:55], s[56:57], -1
	s_xor_b64 exec, exec, s[4:5]
	s_cbranch_execz .LBB130_15
; %bb.10:                               ;   in Loop: Header=BB130_7 Depth=2
	s_and_saveexec_b64 s[14:15], s[54:55]
	s_xor_b64 s[14:15], exec, s[14:15]
; %bb.11:                               ;   in Loop: Header=BB130_7 Depth=2
	ds_write_b128 v68, v[0:3]
; %bb.12:                               ;   in Loop: Header=BB130_7 Depth=2
	s_andn2_saveexec_b64 s[14:15], s[14:15]
; %bb.13:                               ;   in Loop: Header=BB130_7 Depth=2
	ds_write_b128 v68, v[4:7]
; %bb.14:                               ;   in Loop: Header=BB130_7 Depth=2
	s_or_b64 exec, exec, s[14:15]
.LBB130_15:                             ;   in Loop: Header=BB130_7 Depth=2
	s_or_b64 exec, exec, s[4:5]
	v_lshl_add_u64 v[12:13], v[10:11], 0, 16
	v_cmp_eq_u64_e64 s[4:5], s[48:49], v[46:47]
	s_and_b64 s[58:59], s[30:31], s[4:5]
	v_cmp_lt_i64_e64 s[4:5], v[12:13], v[28:29]
	v_cmp_le_i64_e64 s[14:15], s[50:51], v[12:13]
	s_or_b64 s[4:5], s[6:7], s[4:5]
	s_or_b64 s[4:5], s[14:15], s[4:5]
	s_nor_b64 s[4:5], s[4:5], s[58:59]
	v_lshl_add_u64 v[12:13], v[40:41], 0, v[34:35]
	s_and_saveexec_b64 s[62:63], s[4:5]
	s_xor_b64 s[4:5], exec, s[62:63]
	s_cbranch_execz .LBB130_17
; %bb.16:                               ;   in Loop: Header=BB130_7 Depth=2
	global_load_dwordx4 v[74:77], v[12:13], off
	s_waitcnt vmcnt(0)
	v_xor_b32_e32 v77, 0x80000000, v77
	ds_write_b128 v68, v[74:77] offset:256
.LBB130_17:                             ;   in Loop: Header=BB130_7 Depth=2
	s_andn2_saveexec_b64 s[4:5], s[4:5]
	s_cbranch_execz .LBB130_23
; %bb.18:                               ;   in Loop: Header=BB130_7 Depth=2
	s_xor_b64 s[58:59], s[58:59], -1
	s_and_saveexec_b64 s[62:63], s[58:59]
	s_xor_b64 s[58:59], exec, s[62:63]
; %bb.19:                               ;   in Loop: Header=BB130_7 Depth=2
	ds_write_b128 v68, v[0:3] offset:256
; %bb.20:                               ;   in Loop: Header=BB130_7 Depth=2
	s_andn2_saveexec_b64 s[58:59], s[58:59]
; %bb.21:                               ;   in Loop: Header=BB130_7 Depth=2
	ds_write_b128 v68, v[4:7] offset:256
; %bb.22:                               ;   in Loop: Header=BB130_7 Depth=2
	s_or_b64 exec, exec, s[58:59]
.LBB130_23:                             ;   in Loop: Header=BB130_7 Depth=2
	s_or_b64 exec, exec, s[4:5]
	v_cmp_eq_u64_e64 s[4:5], s[48:49], v[44:45]
	s_and_b64 s[58:59], s[30:31], s[4:5]
	v_cmp_lt_i64_e64 s[4:5], v[10:11], v[42:43]
	s_or_b64 s[4:5], s[8:9], s[4:5]
	s_or_b64 s[4:5], s[4:5], s[58:59]
	s_nor_b64 s[4:5], s[12:13], s[4:5]
	s_and_saveexec_b64 s[12:13], s[4:5]
	s_xor_b64 s[4:5], exec, s[12:13]
	s_cbranch_execz .LBB130_25
; %bb.24:                               ;   in Loop: Header=BB130_7 Depth=2
	global_load_dwordx4 v[8:11], v[8:9], off offset:256
	s_waitcnt vmcnt(0)
	v_xor_b32_e32 v11, 0x80000000, v11
	ds_write_b128 v68, v[8:11] offset:8192
.LBB130_25:                             ;   in Loop: Header=BB130_7 Depth=2
	s_andn2_saveexec_b64 s[4:5], s[4:5]
	s_cbranch_execz .LBB130_31
; %bb.26:                               ;   in Loop: Header=BB130_7 Depth=2
	s_xor_b64 s[12:13], s[58:59], -1
	s_and_saveexec_b64 s[58:59], s[12:13]
	s_xor_b64 s[12:13], exec, s[58:59]
; %bb.27:                               ;   in Loop: Header=BB130_7 Depth=2
	ds_write_b128 v68, v[0:3] offset:8192
; %bb.28:                               ;   in Loop: Header=BB130_7 Depth=2
	s_andn2_saveexec_b64 s[12:13], s[12:13]
; %bb.29:                               ;   in Loop: Header=BB130_7 Depth=2
	ds_write_b128 v68, v[4:7] offset:8192
; %bb.30:                               ;   in Loop: Header=BB130_7 Depth=2
	s_or_b64 exec, exec, s[12:13]
.LBB130_31:                             ;   in Loop: Header=BB130_7 Depth=2
	s_or_b64 exec, exec, s[4:5]
	s_or_b64 s[4:5], s[8:9], s[10:11]
	s_or_b64 s[4:5], s[14:15], s[4:5]
	s_nor_b64 s[4:5], s[4:5], s[56:57]
	s_and_saveexec_b64 s[10:11], s[4:5]
	s_xor_b64 s[4:5], exec, s[10:11]
	s_cbranch_execz .LBB130_33
; %bb.32:                               ;   in Loop: Header=BB130_7 Depth=2
	global_load_dwordx4 v[8:11], v[12:13], off offset:256
	s_waitcnt vmcnt(0)
	v_xor_b32_e32 v11, 0x80000000, v11
	ds_write_b128 v68, v[8:11] offset:8448
.LBB130_33:                             ;   in Loop: Header=BB130_7 Depth=2
	s_andn2_saveexec_b64 s[4:5], s[4:5]
	s_cbranch_execz .LBB130_39
; %bb.34:                               ;   in Loop: Header=BB130_7 Depth=2
	s_and_saveexec_b64 s[10:11], s[54:55]
	s_xor_b64 s[10:11], exec, s[10:11]
; %bb.35:                               ;   in Loop: Header=BB130_7 Depth=2
	ds_write_b128 v68, v[0:3] offset:8448
; %bb.36:                               ;   in Loop: Header=BB130_7 Depth=2
	s_andn2_saveexec_b64 s[10:11], s[10:11]
; %bb.37:                               ;   in Loop: Header=BB130_7 Depth=2
	ds_write_b128 v68, v[4:7] offset:8448
; %bb.38:                               ;   in Loop: Header=BB130_7 Depth=2
	s_or_b64 exec, exec, s[10:11]
.LBB130_39:                             ;   in Loop: Header=BB130_7 Depth=2
	s_or_b64 exec, exec, s[4:5]
	v_lshl_add_u64 v[8:9], v[24:25], 0, s[48:49]
	v_cmp_le_i64_e64 s[10:11], s[50:51], v[8:9]
	v_lshl_add_u64 v[10:11], v[48:49], 0, v[32:33]
	s_nor_b64 s[4:5], s[10:11], vcc
	s_and_saveexec_b64 s[12:13], s[4:5]
	s_xor_b64 s[4:5], exec, s[12:13]
	s_cbranch_execz .LBB130_41
; %bb.40:                               ;   in Loop: Header=BB130_7 Depth=2
	global_load_dwordx4 v[12:15], v[10:11], off offset:-256
	s_waitcnt vmcnt(0)
	ds_write2_b64 v70, v[12:13], v[14:15] offset1:1
.LBB130_41:                             ;   in Loop: Header=BB130_7 Depth=2
	s_andn2_saveexec_b64 s[4:5], s[4:5]
; %bb.42:                               ;   in Loop: Header=BB130_7 Depth=2
	ds_write_b128 v70, v[0:3]
; %bb.43:                               ;   in Loop: Header=BB130_7 Depth=2
	s_or_b64 exec, exec, s[4:5]
	s_nor_b64 s[4:5], s[10:11], s[0:1]
	s_and_saveexec_b64 s[10:11], s[4:5]
	s_xor_b64 s[4:5], exec, s[10:11]
	s_cbranch_execz .LBB130_45
; %bb.44:                               ;   in Loop: Header=BB130_7 Depth=2
	global_load_dwordx4 v[10:13], v[10:11], off
	s_waitcnt vmcnt(0)
	ds_write2_b64 v71, v[10:11], v[12:13] offset1:1
.LBB130_45:                             ;   in Loop: Header=BB130_7 Depth=2
	s_andn2_saveexec_b64 s[4:5], s[4:5]
; %bb.46:                               ;   in Loop: Header=BB130_7 Depth=2
	ds_write_b128 v70, v[0:3] offset:256
; %bb.47:                               ;   in Loop: Header=BB130_7 Depth=2
	s_or_b64 exec, exec, s[4:5]
	v_cmp_le_i64_e64 s[10:11], s[40:41], v[8:9]
	v_lshl_add_u64 v[8:9], v[48:49], 0, v[36:37]
	s_nor_b64 s[4:5], s[10:11], vcc
	s_and_saveexec_b64 s[12:13], s[4:5]
	s_xor_b64 s[4:5], exec, s[12:13]
	s_cbranch_execz .LBB130_49
; %bb.48:                               ;   in Loop: Header=BB130_7 Depth=2
	global_load_dwordx4 v[10:13], v[8:9], off offset:-256
	s_waitcnt vmcnt(0)
	ds_write2_b64 v72, v[10:11], v[12:13] offset1:1
.LBB130_49:                             ;   in Loop: Header=BB130_7 Depth=2
	s_andn2_saveexec_b64 s[4:5], s[4:5]
; %bb.50:                               ;   in Loop: Header=BB130_7 Depth=2
	ds_write_b128 v70, v[0:3] offset:8192
; %bb.51:                               ;   in Loop: Header=BB130_7 Depth=2
	s_or_b64 exec, exec, s[4:5]
	s_nor_b64 s[4:5], s[10:11], s[0:1]
	s_and_saveexec_b64 s[10:11], s[4:5]
	s_xor_b64 s[4:5], exec, s[10:11]
	s_cbranch_execz .LBB130_53
; %bb.52:                               ;   in Loop: Header=BB130_7 Depth=2
	global_load_dwordx4 v[8:11], v[8:9], off
	s_waitcnt vmcnt(0)
	ds_write2_b64 v73, v[8:9], v[10:11] offset1:1
.LBB130_53:                             ;   in Loop: Header=BB130_7 Depth=2
	s_andn2_saveexec_b64 s[4:5], s[4:5]
	s_cbranch_execz .LBB130_6
; %bb.54:                               ;   in Loop: Header=BB130_7 Depth=2
	ds_write_b128 v70, v[0:3] offset:8448
	s_branch .LBB130_6
.LBB130_55:                             ;   in Loop: Header=BB130_4 Depth=1
	v_mov_b64_e32 v[62:63], 0
	v_mov_b64_e32 v[64:65], 0
	;; [unrolled: 1-line block ×8, first 2 shown]
.LBB130_56:                             ;   in Loop: Header=BB130_4 Depth=1
	v_mul_lo_u32 v10, s53, v28
	v_mul_lo_u32 v11, s52, v29
	v_mad_u64_u32 v[8:9], s[4:5], s52, v28, 0
	v_cmp_gt_i32_e64 s[6:7], s50, v28
	v_add3_u32 v9, v9, v11, v10
	v_lshl_add_u64 v[8:9], v[8:9], 4, s[28:29]
	s_and_b64 s[8:9], s[16:17], s[6:7]
	s_and_saveexec_b64 s[4:5], s[8:9]
	s_cbranch_execz .LBB130_58
; %bb.57:                               ;   in Loop: Header=BB130_4 Depth=1
	v_lshl_add_u64 v[14:15], v[16:17], 4, v[8:9]
	global_load_dwordx4 v[10:13], v[14:15], off
	v_mul_f64 v[30:31], s[46:47], v[64:65]
	v_mul_f64 v[32:33], s[44:45], v[64:65]
	v_fma_f64 v[30:31], s[44:45], v[62:63], -v[30:31]
	v_fmac_f64_e32 v[32:33], s[46:47], v[62:63]
	s_waitcnt vmcnt(0)
	v_add_f64 v[10:11], v[10:11], v[30:31]
	v_add_f64 v[12:13], v[32:33], v[12:13]
	global_store_dwordx4 v[14:15], v[10:13], off
.LBB130_58:                             ;   in Loop: Header=BB130_4 Depth=1
	s_or_b64 exec, exec, s[4:5]
	s_and_b64 s[6:7], s[18:19], s[6:7]
	s_and_saveexec_b64 s[4:5], s[6:7]
	s_cbranch_execz .LBB130_60
; %bb.59:                               ;   in Loop: Header=BB130_4 Depth=1
	v_lshl_add_u64 v[12:13], v[20:21], 4, v[8:9]
	global_load_dwordx4 v[8:11], v[12:13], off
	v_mul_f64 v[14:15], s[46:47], v[56:57]
	v_mul_f64 v[30:31], s[44:45], v[56:57]
	v_fma_f64 v[14:15], s[44:45], v[54:55], -v[14:15]
	v_fmac_f64_e32 v[30:31], s[46:47], v[54:55]
	s_waitcnt vmcnt(0)
	v_add_f64 v[8:9], v[8:9], v[14:15]
	v_add_f64 v[10:11], v[30:31], v[10:11]
	global_store_dwordx4 v[12:13], v[8:11], off
.LBB130_60:                             ;   in Loop: Header=BB130_4 Depth=1
	s_or_b64 exec, exec, s[4:5]
	s_nop 0
	v_add_u32_e32 v8, 16, v28
	v_ashrrev_i32_e32 v9, 31, v8
	v_cmp_gt_i32_e64 s[6:7], s50, v8
	v_mul_lo_u32 v10, s52, v9
	v_mul_lo_u32 v11, s53, v8
	v_mad_u64_u32 v[8:9], s[4:5], s52, v8, 0
	v_add3_u32 v9, v9, v10, v11
	v_lshl_add_u64 v[8:9], v[8:9], 4, s[28:29]
	s_and_b64 s[8:9], s[16:17], s[6:7]
	s_and_saveexec_b64 s[4:5], s[8:9]
	s_cbranch_execz .LBB130_62
; %bb.61:                               ;   in Loop: Header=BB130_4 Depth=1
	v_lshl_add_u64 v[14:15], v[16:17], 4, v[8:9]
	global_load_dwordx4 v[10:13], v[14:15], off
	v_mul_f64 v[28:29], s[46:47], v[60:61]
	v_mul_f64 v[30:31], s[44:45], v[60:61]
	v_fma_f64 v[28:29], s[44:45], v[58:59], -v[28:29]
	v_fmac_f64_e32 v[30:31], s[46:47], v[58:59]
	s_waitcnt vmcnt(0)
	v_add_f64 v[10:11], v[10:11], v[28:29]
	v_add_f64 v[12:13], v[30:31], v[12:13]
	global_store_dwordx4 v[14:15], v[10:13], off
.LBB130_62:                             ;   in Loop: Header=BB130_4 Depth=1
	s_or_b64 exec, exec, s[4:5]
	s_and_b64 s[6:7], s[18:19], s[6:7]
	s_and_saveexec_b64 s[4:5], s[6:7]
	s_cbranch_execz .LBB130_3
; %bb.63:                               ;   in Loop: Header=BB130_4 Depth=1
	v_lshl_add_u64 v[12:13], v[20:21], 4, v[8:9]
	global_load_dwordx4 v[8:11], v[12:13], off
	v_mul_f64 v[14:15], s[46:47], v[50:51]
	v_mul_f64 v[28:29], s[44:45], v[50:51]
	v_fma_f64 v[14:15], s[44:45], v[52:53], -v[14:15]
	v_fmac_f64_e32 v[28:29], s[46:47], v[52:53]
	s_waitcnt vmcnt(0)
	v_add_f64 v[8:9], v[8:9], v[14:15]
	v_add_f64 v[10:11], v[28:29], v[10:11]
	global_store_dwordx4 v[12:13], v[8:11], off
	s_branch .LBB130_3
.LBB130_64:
	s_endpgm
	.section	.rodata,"a",@progbits
	.p2align	6, 0x0
	.amdhsa_kernel _ZL30rocblas_trmm_outofplace_kernelI19rocblas_complex_numIdELi32ELi2ELb0ELb1ELb1ELb1EPKS1_S2_S1_Ev17rocblas_diagonal_iiT6_lPT7_lllS7_lllPT8_llli
		.amdhsa_group_segment_fixed_size 32768
		.amdhsa_private_segment_fixed_size 0
		.amdhsa_kernarg_size 392
		.amdhsa_user_sgpr_count 2
		.amdhsa_user_sgpr_dispatch_ptr 0
		.amdhsa_user_sgpr_queue_ptr 0
		.amdhsa_user_sgpr_kernarg_segment_ptr 1
		.amdhsa_user_sgpr_dispatch_id 0
		.amdhsa_user_sgpr_kernarg_preload_length 0
		.amdhsa_user_sgpr_kernarg_preload_offset 0
		.amdhsa_user_sgpr_private_segment_size 0
		.amdhsa_uses_dynamic_stack 0
		.amdhsa_enable_private_segment 0
		.amdhsa_system_sgpr_workgroup_id_x 1
		.amdhsa_system_sgpr_workgroup_id_y 1
		.amdhsa_system_sgpr_workgroup_id_z 1
		.amdhsa_system_sgpr_workgroup_info 0
		.amdhsa_system_vgpr_workitem_id 1
		.amdhsa_next_free_vgpr 94
		.amdhsa_next_free_sgpr 64
		.amdhsa_accum_offset 96
		.amdhsa_reserve_vcc 1
		.amdhsa_float_round_mode_32 0
		.amdhsa_float_round_mode_16_64 0
		.amdhsa_float_denorm_mode_32 3
		.amdhsa_float_denorm_mode_16_64 3
		.amdhsa_dx10_clamp 1
		.amdhsa_ieee_mode 1
		.amdhsa_fp16_overflow 0
		.amdhsa_tg_split 0
		.amdhsa_exception_fp_ieee_invalid_op 0
		.amdhsa_exception_fp_denorm_src 0
		.amdhsa_exception_fp_ieee_div_zero 0
		.amdhsa_exception_fp_ieee_overflow 0
		.amdhsa_exception_fp_ieee_underflow 0
		.amdhsa_exception_fp_ieee_inexact 0
		.amdhsa_exception_int_div_zero 0
	.end_amdhsa_kernel
	.section	.text._ZL30rocblas_trmm_outofplace_kernelI19rocblas_complex_numIdELi32ELi2ELb0ELb1ELb1ELb1EPKS1_S2_S1_Ev17rocblas_diagonal_iiT6_lPT7_lllS7_lllPT8_llli,"axG",@progbits,_ZL30rocblas_trmm_outofplace_kernelI19rocblas_complex_numIdELi32ELi2ELb0ELb1ELb1ELb1EPKS1_S2_S1_Ev17rocblas_diagonal_iiT6_lPT7_lllS7_lllPT8_llli,comdat
.Lfunc_end130:
	.size	_ZL30rocblas_trmm_outofplace_kernelI19rocblas_complex_numIdELi32ELi2ELb0ELb1ELb1ELb1EPKS1_S2_S1_Ev17rocblas_diagonal_iiT6_lPT7_lllS7_lllPT8_llli, .Lfunc_end130-_ZL30rocblas_trmm_outofplace_kernelI19rocblas_complex_numIdELi32ELi2ELb0ELb1ELb1ELb1EPKS1_S2_S1_Ev17rocblas_diagonal_iiT6_lPT7_lllS7_lllPT8_llli
                                        ; -- End function
	.set _ZL30rocblas_trmm_outofplace_kernelI19rocblas_complex_numIdELi32ELi2ELb0ELb1ELb1ELb1EPKS1_S2_S1_Ev17rocblas_diagonal_iiT6_lPT7_lllS7_lllPT8_llli.num_vgpr, 94
	.set _ZL30rocblas_trmm_outofplace_kernelI19rocblas_complex_numIdELi32ELi2ELb0ELb1ELb1ELb1EPKS1_S2_S1_Ev17rocblas_diagonal_iiT6_lPT7_lllS7_lllPT8_llli.num_agpr, 0
	.set _ZL30rocblas_trmm_outofplace_kernelI19rocblas_complex_numIdELi32ELi2ELb0ELb1ELb1ELb1EPKS1_S2_S1_Ev17rocblas_diagonal_iiT6_lPT7_lllS7_lllPT8_llli.numbered_sgpr, 64
	.set _ZL30rocblas_trmm_outofplace_kernelI19rocblas_complex_numIdELi32ELi2ELb0ELb1ELb1ELb1EPKS1_S2_S1_Ev17rocblas_diagonal_iiT6_lPT7_lllS7_lllPT8_llli.num_named_barrier, 0
	.set _ZL30rocblas_trmm_outofplace_kernelI19rocblas_complex_numIdELi32ELi2ELb0ELb1ELb1ELb1EPKS1_S2_S1_Ev17rocblas_diagonal_iiT6_lPT7_lllS7_lllPT8_llli.private_seg_size, 0
	.set _ZL30rocblas_trmm_outofplace_kernelI19rocblas_complex_numIdELi32ELi2ELb0ELb1ELb1ELb1EPKS1_S2_S1_Ev17rocblas_diagonal_iiT6_lPT7_lllS7_lllPT8_llli.uses_vcc, 1
	.set _ZL30rocblas_trmm_outofplace_kernelI19rocblas_complex_numIdELi32ELi2ELb0ELb1ELb1ELb1EPKS1_S2_S1_Ev17rocblas_diagonal_iiT6_lPT7_lllS7_lllPT8_llli.uses_flat_scratch, 0
	.set _ZL30rocblas_trmm_outofplace_kernelI19rocblas_complex_numIdELi32ELi2ELb0ELb1ELb1ELb1EPKS1_S2_S1_Ev17rocblas_diagonal_iiT6_lPT7_lllS7_lllPT8_llli.has_dyn_sized_stack, 0
	.set _ZL30rocblas_trmm_outofplace_kernelI19rocblas_complex_numIdELi32ELi2ELb0ELb1ELb1ELb1EPKS1_S2_S1_Ev17rocblas_diagonal_iiT6_lPT7_lllS7_lllPT8_llli.has_recursion, 0
	.set _ZL30rocblas_trmm_outofplace_kernelI19rocblas_complex_numIdELi32ELi2ELb0ELb1ELb1ELb1EPKS1_S2_S1_Ev17rocblas_diagonal_iiT6_lPT7_lllS7_lllPT8_llli.has_indirect_call, 0
	.section	.AMDGPU.csdata,"",@progbits
; Kernel info:
; codeLenInByte = 9176
; TotalNumSgprs: 70
; NumVgprs: 94
; NumAgprs: 0
; TotalNumVgprs: 94
; ScratchSize: 0
; MemoryBound: 0
; FloatMode: 240
; IeeeMode: 1
; LDSByteSize: 32768 bytes/workgroup (compile time only)
; SGPRBlocks: 8
; VGPRBlocks: 11
; NumSGPRsForWavesPerEU: 70
; NumVGPRsForWavesPerEU: 94
; AccumOffset: 96
; Occupancy: 5
; WaveLimiterHint : 0
; COMPUTE_PGM_RSRC2:SCRATCH_EN: 0
; COMPUTE_PGM_RSRC2:USER_SGPR: 2
; COMPUTE_PGM_RSRC2:TRAP_HANDLER: 0
; COMPUTE_PGM_RSRC2:TGID_X_EN: 1
; COMPUTE_PGM_RSRC2:TGID_Y_EN: 1
; COMPUTE_PGM_RSRC2:TGID_Z_EN: 1
; COMPUTE_PGM_RSRC2:TIDIG_COMP_CNT: 1
; COMPUTE_PGM_RSRC3_GFX90A:ACCUM_OFFSET: 23
; COMPUTE_PGM_RSRC3_GFX90A:TG_SPLIT: 0
	.section	.text._ZL30rocblas_trmm_outofplace_kernelI19rocblas_complex_numIdELi32ELi2ELb0ELb1ELb1ELb1ES1_KS1_S1_Ev17rocblas_diagonal_iiT6_lPT7_lllS6_lllPT8_llli,"axG",@progbits,_ZL30rocblas_trmm_outofplace_kernelI19rocblas_complex_numIdELi32ELi2ELb0ELb1ELb1ELb1ES1_KS1_S1_Ev17rocblas_diagonal_iiT6_lPT7_lllS6_lllPT8_llli,comdat
	.globl	_ZL30rocblas_trmm_outofplace_kernelI19rocblas_complex_numIdELi32ELi2ELb0ELb1ELb1ELb1ES1_KS1_S1_Ev17rocblas_diagonal_iiT6_lPT7_lllS6_lllPT8_llli ; -- Begin function _ZL30rocblas_trmm_outofplace_kernelI19rocblas_complex_numIdELi32ELi2ELb0ELb1ELb1ELb1ES1_KS1_S1_Ev17rocblas_diagonal_iiT6_lPT7_lllS6_lllPT8_llli
	.p2align	8
	.type	_ZL30rocblas_trmm_outofplace_kernelI19rocblas_complex_numIdELi32ELi2ELb0ELb1ELb1ELb1ES1_KS1_S1_Ev17rocblas_diagonal_iiT6_lPT7_lllS6_lllPT8_llli,@function
_ZL30rocblas_trmm_outofplace_kernelI19rocblas_complex_numIdELi32ELi2ELb0ELb1ELb1ELb1ES1_KS1_S1_Ev17rocblas_diagonal_iiT6_lPT7_lllS6_lllPT8_llli: ; @_ZL30rocblas_trmm_outofplace_kernelI19rocblas_complex_numIdELi32ELi2ELb0ELb1ELb1ELb1ES1_KS1_S1_Ev17rocblas_diagonal_iiT6_lPT7_lllS6_lllPT8_llli
; %bb.0:
	s_load_dwordx4 s[24:27], s[0:1], 0x10
	s_waitcnt lgkmcnt(0)
	v_cmp_eq_f64_e64 s[6:7], s[24:25], 0
	v_cmp_eq_f64_e64 s[8:9], s[26:27], 0
	s_and_b64 s[6:7], s[6:7], s[8:9]
	s_and_b64 vcc, exec, s[6:7]
	s_cbranch_vccnz .LBB131_64
; %bb.1:
	s_load_dwordx4 s[28:31], s[0:1], 0x0
	s_waitcnt lgkmcnt(0)
	s_add_i32 s5, s30, -1
	s_ashr_i32 s6, s5, 31
	s_lshr_b32 s6, s6, 27
	s_add_i32 s5, s5, s6
	s_ashr_i32 s33, s5, 5
	s_cmp_gt_i32 s3, s33
	s_cbranch_scc1 .LBB131_64
; %bb.2:
	s_load_dwordx16 s[36:51], s[0:1], 0x28
	s_load_dwordx8 s[16:23], s[0:1], 0x68
	v_and_b32_e32 v2, 0x3ff, v0
	v_lshl_add_u32 v16, s2, 5, v2
	v_bfe_u32 v66, v0, 10, 10
	s_waitcnt lgkmcnt(0)
	s_mul_i32 s5, s51, s4
	s_mul_hi_u32 s7, s50, s4
	s_mul_i32 s6, s50, s4
	s_add_i32 s7, s7, s5
	s_lshl_b64 s[6:7], s[6:7], 4
	s_add_u32 s5, s44, s6
	s_addc_u32 s8, s45, s7
	s_lshl_b64 s[6:7], s[46:47], 4
	s_add_u32 s6, s5, s6
	s_addc_u32 s7, s8, s7
	s_mul_i32 s5, s23, s4
	s_mul_hi_u32 s8, s22, s4
	s_add_i32 s9, s8, s5
	s_mul_i32 s8, s22, s4
	s_lshl_b64 s[8:9], s[8:9], 4
	s_add_u32 s5, s16, s8
	s_addc_u32 s10, s17, s9
	s_lshl_b64 s[8:9], s[18:19], 4
	s_add_u32 s22, s5, s8
	s_addc_u32 s23, s10, s9
	s_cmpk_eq_i32 s28, 0x84
	s_cselect_b64 s[34:35], -1, 0
	s_ashr_i32 s2, s29, 31
	s_ashr_i32 s31, s30, 31
	v_mov_b32_e32 v1, s2
	s_lshl_b64 s[44:45], s[40:41], 9
	s_lshl_b64 s[46:47], s[48:49], 9
	s_load_dword s2, s[0:1], 0x94
	s_add_u32 s50, s30, -16
	v_ashrrev_i32_e32 v17, 31, v16
	s_addc_u32 s51, s31, -1
	s_lshl_b32 s5, s3, 5
	v_lshl_add_u64 v[18:19], v[16:17], 4, s[6:7]
	v_add_u32_e32 v22, s5, v2
	v_add_u32_e32 v24, s5, v66
	s_mul_i32 s5, s43, s4
	s_mul_hi_u32 s6, s42, s4
	v_add_u32_e32 v20, 16, v16
	s_add_i32 s5, s6, s5
	s_mul_i32 s4, s42, s4
	v_sub_co_u32_e32 v0, vcc, s29, v16
	v_cmp_gt_i32_e64 s[16:17], s29, v16
	v_cmp_gt_i32_e64 s[18:19], s29, v20
	s_waitcnt lgkmcnt(0)
	s_lshl_b32 s60, s2, 5
	s_lshl_b64 s[28:29], s[48:49], 4
	s_lshl_b64 s[4:5], s[4:5], 4
	;; [unrolled: 1-line block ×3, first 2 shown]
	v_lshlrev_b32_e32 v3, 4, v2
	s_add_u32 s4, s4, s6
	v_lshlrev_b32_e32 v67, 9, v66
	v_subb_co_u32_e32 v1, vcc, v1, v17, vcc
	v_or_b32_e32 v69, 0x4000, v3
	s_addc_u32 s5, s5, s7
	v_add_u32_e32 v70, v69, v67
	v_cmp_gt_i64_e32 vcc, 1, v[0:1]
	v_cmp_gt_i64_e64 s[0:1], 17, v[0:1]
	s_add_u32 s36, s36, s4
	v_mov_b32_e32 v0, 0
	v_add_u32_e32 v68, v67, v3
	v_add_u32_e32 v71, 0x100, v70
	;; [unrolled: 1-line block ×4, first 2 shown]
	v_ashrrev_i32_e32 v21, 31, v20
	s_addc_u32 s37, s37, s5
	s_lshl_b64 s[38:39], s[40:41], 4
	s_mov_b64 s[42:43], 0x100
	v_mov_b64_e32 v[26:27], 0x100
	v_mov_b32_e32 v1, v0
	v_mov_b32_e32 v2, v0
	;; [unrolled: 1-line block ×7, first 2 shown]
	s_branch .LBB131_4
.LBB131_3:                              ;   in Loop: Header=BB131_4 Depth=1
	s_or_b64 exec, exec, s[4:5]
	s_add_i32 s3, s2, s3
	v_add_u32_e32 v22, s60, v22
	s_cmp_le_i32 s3, s33
	v_add_u32_e32 v24, s60, v24
	s_cbranch_scc0 .LBB131_64
.LBB131_4:                              ; =>This Loop Header: Depth=1
                                        ;     Child Loop BB131_7 Depth 2
	s_lshl_b32 s4, s3, 5
	v_add_u32_e32 v28, s4, v66
	s_sub_i32 s61, s30, s4
	v_ashrrev_i32_e32 v23, 31, v22
	v_ashrrev_i32_e32 v25, 31, v24
	s_cmp_lt_i32 s61, 1
	v_ashrrev_i32_e32 v29, 31, v28
	s_cbranch_scc1 .LBB131_55
; %bb.5:                                ;   in Loop: Header=BB131_4 Depth=1
	v_sub_co_u32_e64 v30, s[4:5], v24, v22
	v_mul_lo_u32 v8, s28, v25
	s_nop 0
	v_subb_co_u32_e64 v31, s[4:5], v25, v23, s[4:5]
	v_mad_u64_u32 v[32:33], s[4:5], s28, v24, v[26:27]
	v_mul_lo_u32 v9, s29, v24
	v_lshlrev_b64 v[34:35], 4, v[24:25]
	v_add3_u32 v33, v9, v33, v8
	v_lshl_add_u64 v[8:9], v[34:35], 0, s[42:43]
	v_mul_lo_u32 v9, s48, v9
	v_mul_lo_u32 v10, s49, v8
	v_mad_u64_u32 v[36:37], s[4:5], s48, v8, v[26:27]
	v_add3_u32 v37, v10, v37, v9
	v_mov_b64_e32 v[8:9], s[36:37]
	v_mad_u64_u32 v[38:39], s[4:5], s38, v22, v[8:9]
	v_mul_lo_u32 v10, s38, v23
	v_mul_lo_u32 v11, s39, v22
	v_add3_u32 v39, v11, v39, v10
	v_lshl_add_u64 v[10:11], v[22:23], 4, v[26:27]
	v_mul_lo_u32 v11, s40, v11
	v_mul_lo_u32 v12, s41, v10
	v_mad_u64_u32 v[40:41], s[4:5], s40, v10, v[8:9]
	v_lshl_add_u64 v[42:43], v[28:29], 0, 16
	v_add3_u32 v41, v12, v41, v11
	v_cmp_le_i32_e64 s[6:7], s30, v28
	v_cmp_le_i64_e64 s[8:9], s[30:31], v[42:43]
	v_lshl_add_u64 v[44:45], v[30:31], 0, 16
	v_lshl_add_u64 v[46:47], v[30:31], 0, -16
	v_mov_b64_e32 v[50:51], 0
	s_mov_b64 s[52:53], 0
	v_mov_b64_e32 v[48:49], v[18:19]
	v_mov_b64_e32 v[52:53], 0
	;; [unrolled: 1-line block ×8, first 2 shown]
	s_branch .LBB131_7
.LBB131_6:                              ;   in Loop: Header=BB131_7 Depth=2
	s_or_b64 exec, exec, s[4:5]
	s_waitcnt lgkmcnt(0)
	s_barrier
	ds_read_b128 v[74:77], v67
	ds_read_b128 v[78:81], v67 offset:16
	ds_read_b128 v[12:15], v67 offset:32
	;; [unrolled: 1-line block ×3, first 2 shown]
	ds_read_b128 v[82:85], v69
	s_add_u32 s52, s52, 32
	s_addc_u32 s53, s53, 0
	v_lshl_add_u64 v[48:49], v[48:49], 0, s[46:47]
	v_lshl_add_u64 v[38:39], v[38:39], 0, s[44:45]
	s_waitcnt lgkmcnt(0)
	v_mul_f64 v[86:87], v[76:77], v[84:85]
	v_mul_f64 v[88:89], v[74:75], v[84:85]
	v_fma_f64 v[86:87], v[74:75], v[82:83], -v[86:87]
	v_fmac_f64_e32 v[88:89], v[76:77], v[82:83]
	v_add_f64 v[86:87], v[62:63], v[86:87]
	v_add_f64 v[88:89], v[88:89], v[64:65]
	ds_read_b128 v[62:65], v69 offset:256
	v_lshl_add_u64 v[40:41], v[40:41], 0, s[44:45]
	s_cmp_ge_i32 s52, s61
	s_waitcnt lgkmcnt(0)
	v_mul_f64 v[90:91], v[76:77], v[64:65]
	v_fma_f64 v[90:91], v[74:75], v[62:63], -v[90:91]
	v_mul_f64 v[74:75], v[74:75], v[64:65]
	v_fmac_f64_e32 v[74:75], v[76:77], v[62:63]
	v_add_f64 v[76:77], v[54:55], v[90:91]
	v_add_f64 v[74:75], v[74:75], v[56:57]
	ds_read_b128 v[54:57], v67 offset:8192
	s_waitcnt lgkmcnt(0)
	v_mul_f64 v[90:91], v[56:57], v[84:85]
	v_fma_f64 v[90:91], v[54:55], v[82:83], -v[90:91]
	v_mul_f64 v[84:85], v[54:55], v[84:85]
	v_fmac_f64_e32 v[84:85], v[56:57], v[82:83]
	v_add_f64 v[82:83], v[58:59], v[90:91]
	v_mul_f64 v[58:59], v[56:57], v[64:65]
	v_fma_f64 v[58:59], v[54:55], v[62:63], -v[58:59]
	v_mul_f64 v[54:55], v[54:55], v[64:65]
	v_fmac_f64_e32 v[54:55], v[56:57], v[62:63]
	v_add_f64 v[92:93], v[54:55], v[50:51]
	ds_read_b128 v[54:57], v69 offset:512
	ds_read_b128 v[62:65], v67 offset:8208
	v_add_f64 v[84:85], v[84:85], v[60:61]
	v_add_f64 v[90:91], v[52:53], v[58:59]
	ds_read_b128 v[58:61], v69 offset:768
	s_waitcnt lgkmcnt(2)
	v_mul_f64 v[52:53], v[78:79], v[56:57]
	v_fmac_f64_e32 v[52:53], v[80:81], v[54:55]
	v_mul_f64 v[50:51], v[80:81], v[56:57]
	v_add_f64 v[88:89], v[52:53], v[88:89]
	s_waitcnt lgkmcnt(0)
	v_mul_f64 v[52:53], v[78:79], v[60:61]
	v_fma_f64 v[50:51], v[78:79], v[54:55], -v[50:51]
	v_fmac_f64_e32 v[52:53], v[80:81], v[58:59]
	v_add_f64 v[86:87], v[86:87], v[50:51]
	v_mul_f64 v[50:51], v[80:81], v[60:61]
	v_add_f64 v[52:53], v[52:53], v[74:75]
	v_mul_f64 v[74:75], v[64:65], v[56:57]
	v_mul_f64 v[56:57], v[62:63], v[56:57]
	v_fma_f64 v[50:51], v[78:79], v[58:59], -v[50:51]
	v_fmac_f64_e32 v[56:57], v[64:65], v[54:55]
	v_add_f64 v[50:51], v[76:77], v[50:51]
	v_fma_f64 v[74:75], v[62:63], v[54:55], -v[74:75]
	v_add_f64 v[76:77], v[56:57], v[84:85]
	v_mul_f64 v[54:55], v[64:65], v[60:61]
	v_mul_f64 v[56:57], v[62:63], v[60:61]
	v_fma_f64 v[54:55], v[62:63], v[58:59], -v[54:55]
	v_fmac_f64_e32 v[56:57], v[64:65], v[58:59]
	v_add_f64 v[62:63], v[90:91], v[54:55]
	v_add_f64 v[64:65], v[56:57], v[92:93]
	ds_read_b128 v[54:57], v69 offset:1024
	v_add_f64 v[74:75], v[82:83], v[74:75]
	s_waitcnt lgkmcnt(0)
	v_mul_f64 v[58:59], v[14:15], v[56:57]
	v_mul_f64 v[60:61], v[12:13], v[56:57]
	v_fma_f64 v[58:59], v[12:13], v[54:55], -v[58:59]
	v_fmac_f64_e32 v[60:61], v[14:15], v[54:55]
	v_add_f64 v[78:79], v[86:87], v[58:59]
	v_add_f64 v[80:81], v[60:61], v[88:89]
	ds_read_b128 v[58:61], v69 offset:1280
	s_waitcnt lgkmcnt(0)
	v_mul_f64 v[82:83], v[14:15], v[60:61]
	v_fma_f64 v[82:83], v[12:13], v[58:59], -v[82:83]
	v_mul_f64 v[12:13], v[12:13], v[60:61]
	v_fmac_f64_e32 v[12:13], v[14:15], v[58:59]
	v_add_f64 v[84:85], v[12:13], v[52:53]
	ds_read_b128 v[12:15], v67 offset:8224
	v_add_f64 v[82:83], v[50:51], v[82:83]
	s_waitcnt lgkmcnt(0)
	v_mul_f64 v[50:51], v[14:15], v[56:57]
	v_fma_f64 v[50:51], v[12:13], v[54:55], -v[50:51]
	v_mul_f64 v[52:53], v[12:13], v[56:57]
	v_fmac_f64_e32 v[52:53], v[14:15], v[54:55]
	v_add_f64 v[54:55], v[74:75], v[50:51]
	v_mul_f64 v[50:51], v[14:15], v[60:61]
	v_fma_f64 v[50:51], v[12:13], v[58:59], -v[50:51]
	v_mul_f64 v[12:13], v[12:13], v[60:61]
	v_fmac_f64_e32 v[12:13], v[14:15], v[58:59]
	v_add_f64 v[60:61], v[12:13], v[64:65]
	ds_read_b128 v[12:15], v69 offset:1536
	v_add_f64 v[56:57], v[52:53], v[76:77]
	v_add_f64 v[58:59], v[62:63], v[50:51]
	s_waitcnt lgkmcnt(0)
	v_mul_f64 v[50:51], v[10:11], v[14:15]
	v_mul_f64 v[52:53], v[8:9], v[14:15]
	v_fma_f64 v[50:51], v[8:9], v[12:13], -v[50:51]
	v_fmac_f64_e32 v[52:53], v[10:11], v[12:13]
	v_add_f64 v[62:63], v[78:79], v[50:51]
	v_add_f64 v[64:65], v[52:53], v[80:81]
	ds_read_b128 v[50:53], v69 offset:1792
	s_waitcnt lgkmcnt(0)
	v_mul_f64 v[74:75], v[10:11], v[52:53]
	v_fma_f64 v[74:75], v[8:9], v[50:51], -v[74:75]
	v_mul_f64 v[8:9], v[8:9], v[52:53]
	v_fmac_f64_e32 v[8:9], v[10:11], v[50:51]
	v_add_f64 v[76:77], v[8:9], v[84:85]
	ds_read_b128 v[8:11], v67 offset:8240
	v_add_f64 v[74:75], v[82:83], v[74:75]
	s_waitcnt lgkmcnt(0)
	v_mul_f64 v[78:79], v[10:11], v[14:15]
	v_mul_f64 v[14:15], v[8:9], v[14:15]
	v_fma_f64 v[78:79], v[8:9], v[12:13], -v[78:79]
	v_fmac_f64_e32 v[14:15], v[10:11], v[12:13]
	v_mul_f64 v[12:13], v[10:11], v[52:53]
	v_fma_f64 v[12:13], v[8:9], v[50:51], -v[12:13]
	v_mul_f64 v[8:9], v[8:9], v[52:53]
	v_fmac_f64_e32 v[8:9], v[10:11], v[50:51]
	v_add_f64 v[56:57], v[14:15], v[56:57]
	v_add_f64 v[58:59], v[58:59], v[12:13]
	;; [unrolled: 1-line block ×3, first 2 shown]
	ds_read_b128 v[8:11], v67 offset:64
	ds_read_b128 v[12:15], v69 offset:2048
	v_add_f64 v[54:55], v[54:55], v[78:79]
	s_waitcnt lgkmcnt(0)
	v_mul_f64 v[50:51], v[10:11], v[14:15]
	v_mul_f64 v[52:53], v[8:9], v[14:15]
	v_fma_f64 v[50:51], v[8:9], v[12:13], -v[50:51]
	v_fmac_f64_e32 v[52:53], v[10:11], v[12:13]
	v_add_f64 v[62:63], v[62:63], v[50:51]
	v_add_f64 v[64:65], v[52:53], v[64:65]
	ds_read_b128 v[50:53], v69 offset:2304
	s_waitcnt lgkmcnt(0)
	v_mul_f64 v[78:79], v[10:11], v[52:53]
	v_fma_f64 v[78:79], v[8:9], v[50:51], -v[78:79]
	v_mul_f64 v[8:9], v[8:9], v[52:53]
	v_fmac_f64_e32 v[8:9], v[10:11], v[50:51]
	v_add_f64 v[76:77], v[8:9], v[76:77]
	ds_read_b128 v[8:11], v67 offset:8256
	v_add_f64 v[74:75], v[74:75], v[78:79]
	s_waitcnt lgkmcnt(0)
	v_mul_f64 v[78:79], v[10:11], v[14:15]
	v_fma_f64 v[78:79], v[8:9], v[12:13], -v[78:79]
	v_mul_f64 v[14:15], v[8:9], v[14:15]
	v_fmac_f64_e32 v[14:15], v[10:11], v[12:13]
	v_add_f64 v[12:13], v[54:55], v[78:79]
	v_mul_f64 v[54:55], v[10:11], v[52:53]
	v_mul_f64 v[52:53], v[8:9], v[52:53]
	v_fma_f64 v[54:55], v[8:9], v[50:51], -v[54:55]
	v_fmac_f64_e32 v[52:53], v[10:11], v[50:51]
	v_add_f64 v[14:15], v[14:15], v[56:57]
	v_add_f64 v[8:9], v[58:59], v[54:55]
	v_add_f64 v[10:11], v[52:53], v[60:61]
	ds_read_b128 v[50:53], v67 offset:80
	ds_read_b128 v[54:57], v69 offset:2560
	s_waitcnt lgkmcnt(0)
	v_mul_f64 v[58:59], v[52:53], v[56:57]
	v_mul_f64 v[60:61], v[50:51], v[56:57]
	v_fma_f64 v[58:59], v[50:51], v[54:55], -v[58:59]
	v_fmac_f64_e32 v[60:61], v[52:53], v[54:55]
	v_add_f64 v[62:63], v[62:63], v[58:59]
	v_add_f64 v[64:65], v[60:61], v[64:65]
	ds_read_b128 v[58:61], v69 offset:2816
	s_waitcnt lgkmcnt(0)
	v_mul_f64 v[78:79], v[52:53], v[60:61]
	v_fma_f64 v[78:79], v[50:51], v[58:59], -v[78:79]
	v_mul_f64 v[50:51], v[50:51], v[60:61]
	v_fmac_f64_e32 v[50:51], v[52:53], v[58:59]
	v_add_f64 v[76:77], v[50:51], v[76:77]
	ds_read_b128 v[50:53], v67 offset:8272
	v_add_f64 v[74:75], v[74:75], v[78:79]
	s_waitcnt lgkmcnt(0)
	v_mul_f64 v[78:79], v[52:53], v[56:57]
	v_mul_f64 v[56:57], v[50:51], v[56:57]
	v_fma_f64 v[78:79], v[50:51], v[54:55], -v[78:79]
	v_fmac_f64_e32 v[56:57], v[52:53], v[54:55]
	v_add_f64 v[54:55], v[12:13], v[78:79]
	v_add_f64 v[56:57], v[56:57], v[14:15]
	v_mul_f64 v[12:13], v[52:53], v[60:61]
	v_mul_f64 v[14:15], v[50:51], v[60:61]
	v_fma_f64 v[12:13], v[50:51], v[58:59], -v[12:13]
	v_fmac_f64_e32 v[14:15], v[52:53], v[58:59]
	v_add_f64 v[58:59], v[8:9], v[12:13]
	v_add_f64 v[60:61], v[14:15], v[10:11]
	ds_read_b128 v[8:11], v67 offset:96
	ds_read_b128 v[12:15], v69 offset:3072
	s_waitcnt lgkmcnt(0)
	v_mul_f64 v[50:51], v[10:11], v[14:15]
	v_mul_f64 v[52:53], v[8:9], v[14:15]
	v_fma_f64 v[50:51], v[8:9], v[12:13], -v[50:51]
	v_fmac_f64_e32 v[52:53], v[10:11], v[12:13]
	v_add_f64 v[62:63], v[62:63], v[50:51]
	v_add_f64 v[64:65], v[52:53], v[64:65]
	ds_read_b128 v[50:53], v69 offset:3328
	s_waitcnt lgkmcnt(0)
	v_mul_f64 v[78:79], v[10:11], v[52:53]
	v_fma_f64 v[78:79], v[8:9], v[50:51], -v[78:79]
	v_mul_f64 v[8:9], v[8:9], v[52:53]
	v_fmac_f64_e32 v[8:9], v[10:11], v[50:51]
	v_add_f64 v[76:77], v[8:9], v[76:77]
	ds_read_b128 v[8:11], v67 offset:8288
	v_add_f64 v[74:75], v[74:75], v[78:79]
	s_waitcnt lgkmcnt(0)
	v_mul_f64 v[78:79], v[10:11], v[14:15]
	v_fma_f64 v[78:79], v[8:9], v[12:13], -v[78:79]
	v_mul_f64 v[14:15], v[8:9], v[14:15]
	v_fmac_f64_e32 v[14:15], v[10:11], v[12:13]
	v_add_f64 v[12:13], v[54:55], v[78:79]
	v_mul_f64 v[54:55], v[10:11], v[52:53]
	v_mul_f64 v[52:53], v[8:9], v[52:53]
	v_fma_f64 v[54:55], v[8:9], v[50:51], -v[54:55]
	v_fmac_f64_e32 v[52:53], v[10:11], v[50:51]
	v_add_f64 v[14:15], v[14:15], v[56:57]
	v_add_f64 v[8:9], v[58:59], v[54:55]
	v_add_f64 v[10:11], v[52:53], v[60:61]
	ds_read_b128 v[50:53], v67 offset:112
	ds_read_b128 v[54:57], v69 offset:3584
	s_waitcnt lgkmcnt(0)
	v_mul_f64 v[58:59], v[52:53], v[56:57]
	v_mul_f64 v[60:61], v[50:51], v[56:57]
	v_fma_f64 v[58:59], v[50:51], v[54:55], -v[58:59]
	v_fmac_f64_e32 v[60:61], v[52:53], v[54:55]
	v_add_f64 v[62:63], v[62:63], v[58:59]
	v_add_f64 v[64:65], v[60:61], v[64:65]
	ds_read_b128 v[58:61], v69 offset:3840
	s_waitcnt lgkmcnt(0)
	v_mul_f64 v[78:79], v[52:53], v[60:61]
	v_fma_f64 v[78:79], v[50:51], v[58:59], -v[78:79]
	v_mul_f64 v[50:51], v[50:51], v[60:61]
	v_fmac_f64_e32 v[50:51], v[52:53], v[58:59]
	v_add_f64 v[76:77], v[50:51], v[76:77]
	ds_read_b128 v[50:53], v67 offset:8304
	v_add_f64 v[74:75], v[74:75], v[78:79]
	s_waitcnt lgkmcnt(0)
	v_mul_f64 v[78:79], v[52:53], v[56:57]
	v_mul_f64 v[56:57], v[50:51], v[56:57]
	v_fma_f64 v[78:79], v[50:51], v[54:55], -v[78:79]
	v_fmac_f64_e32 v[56:57], v[52:53], v[54:55]
	v_add_f64 v[54:55], v[12:13], v[78:79]
	v_add_f64 v[56:57], v[56:57], v[14:15]
	v_mul_f64 v[12:13], v[52:53], v[60:61]
	v_mul_f64 v[14:15], v[50:51], v[60:61]
	v_fma_f64 v[12:13], v[50:51], v[58:59], -v[12:13]
	v_fmac_f64_e32 v[14:15], v[52:53], v[58:59]
	v_add_f64 v[58:59], v[8:9], v[12:13]
	v_add_f64 v[60:61], v[14:15], v[10:11]
	ds_read_b128 v[8:11], v67 offset:128
	ds_read_b128 v[12:15], v69 offset:4096
	;; [unrolled: 62-line block ×13, first 2 shown]
	s_waitcnt lgkmcnt(0)
	v_mul_f64 v[50:51], v[10:11], v[14:15]
	v_mul_f64 v[52:53], v[8:9], v[14:15]
	v_fma_f64 v[50:51], v[8:9], v[12:13], -v[50:51]
	v_fmac_f64_e32 v[52:53], v[10:11], v[12:13]
	v_add_f64 v[62:63], v[62:63], v[50:51]
	v_add_f64 v[64:65], v[52:53], v[64:65]
	ds_read_b128 v[50:53], v69 offset:15616
	s_waitcnt lgkmcnt(0)
	v_mul_f64 v[78:79], v[10:11], v[52:53]
	v_fma_f64 v[78:79], v[8:9], v[50:51], -v[78:79]
	v_mul_f64 v[8:9], v[8:9], v[52:53]
	v_fmac_f64_e32 v[8:9], v[10:11], v[50:51]
	v_add_f64 v[80:81], v[8:9], v[76:77]
	ds_read_b128 v[8:11], v67 offset:8672
	v_add_f64 v[78:79], v[74:75], v[78:79]
	s_waitcnt lgkmcnt(0)
	v_mul_f64 v[74:75], v[10:11], v[14:15]
	v_fma_f64 v[74:75], v[8:9], v[12:13], -v[74:75]
	v_mul_f64 v[14:15], v[8:9], v[14:15]
	v_fmac_f64_e32 v[14:15], v[10:11], v[12:13]
	v_add_f64 v[12:13], v[54:55], v[74:75]
	v_mul_f64 v[54:55], v[10:11], v[52:53]
	v_mul_f64 v[52:53], v[8:9], v[52:53]
	v_fma_f64 v[54:55], v[8:9], v[50:51], -v[54:55]
	v_fmac_f64_e32 v[52:53], v[10:11], v[50:51]
	v_add_f64 v[8:9], v[58:59], v[54:55]
	v_add_f64 v[10:11], v[52:53], v[60:61]
	ds_read_b128 v[50:53], v67 offset:496
	ds_read_b128 v[58:61], v69 offset:15872
	;; [unrolled: 1-line block ×3, first 2 shown]
	v_add_f64 v[14:15], v[14:15], v[56:57]
	s_waitcnt lgkmcnt(1)
	v_mul_f64 v[54:55], v[52:53], v[60:61]
	v_fma_f64 v[54:55], v[50:51], v[58:59], -v[54:55]
	v_add_f64 v[62:63], v[62:63], v[54:55]
	s_waitcnt lgkmcnt(0)
	v_mul_f64 v[54:55], v[52:53], v[76:77]
	v_mul_f64 v[56:57], v[50:51], v[60:61]
	v_fma_f64 v[54:55], v[50:51], v[74:75], -v[54:55]
	v_mul_f64 v[50:51], v[50:51], v[76:77]
	v_fmac_f64_e32 v[56:57], v[52:53], v[58:59]
	v_fmac_f64_e32 v[50:51], v[52:53], v[74:75]
	v_add_f64 v[64:65], v[56:57], v[64:65]
	v_add_f64 v[56:57], v[50:51], v[80:81]
	ds_read_b128 v[50:53], v67 offset:8688
	v_add_f64 v[54:55], v[78:79], v[54:55]
	s_waitcnt lgkmcnt(0)
	s_barrier
	v_mul_f64 v[78:79], v[52:53], v[60:61]
	v_mul_f64 v[60:61], v[50:51], v[60:61]
	v_fma_f64 v[78:79], v[50:51], v[58:59], -v[78:79]
	v_fmac_f64_e32 v[60:61], v[52:53], v[58:59]
	v_add_f64 v[58:59], v[12:13], v[78:79]
	v_add_f64 v[60:61], v[60:61], v[14:15]
	v_mul_f64 v[12:13], v[52:53], v[76:77]
	v_mul_f64 v[14:15], v[50:51], v[76:77]
	v_fma_f64 v[12:13], v[50:51], v[74:75], -v[12:13]
	v_fmac_f64_e32 v[14:15], v[52:53], v[74:75]
	v_add_f64 v[52:53], v[8:9], v[12:13]
	v_add_f64 v[50:51], v[14:15], v[10:11]
	s_cbranch_scc1 .LBB131_56
.LBB131_7:                              ;   Parent Loop BB131_4 Depth=1
                                        ; =>  This Inner Loop Header: Depth=2
	v_lshl_add_u64 v[10:11], v[22:23], 0, s[52:53]
	v_cmp_eq_u64_e64 s[4:5], s[52:53], v[30:31]
	v_cmp_lt_i64_e64 s[10:11], v[10:11], v[28:29]
	s_and_b64 s[56:57], s[34:35], s[4:5]
	v_cmp_le_i64_e64 s[12:13], s[30:31], v[10:11]
	s_or_b64 s[4:5], s[6:7], s[10:11]
	s_or_b64 s[4:5], s[12:13], s[4:5]
	v_lshl_add_u64 v[8:9], v[38:39], 0, v[34:35]
	s_nor_b64 s[4:5], s[4:5], s[56:57]
	s_and_saveexec_b64 s[14:15], s[4:5]
	s_xor_b64 s[4:5], exec, s[14:15]
	s_cbranch_execz .LBB131_9
; %bb.8:                                ;   in Loop: Header=BB131_7 Depth=2
	global_load_dwordx4 v[12:15], v[8:9], off
	s_waitcnt vmcnt(0)
	v_xor_b32_e32 v15, 0x80000000, v15
	ds_write_b128 v68, v[12:15]
.LBB131_9:                              ;   in Loop: Header=BB131_7 Depth=2
	s_or_saveexec_b64 s[4:5], s[4:5]
	s_xor_b64 s[54:55], s[56:57], -1
	s_xor_b64 exec, exec, s[4:5]
	s_cbranch_execz .LBB131_15
; %bb.10:                               ;   in Loop: Header=BB131_7 Depth=2
	s_and_saveexec_b64 s[14:15], s[54:55]
	s_xor_b64 s[14:15], exec, s[14:15]
; %bb.11:                               ;   in Loop: Header=BB131_7 Depth=2
	ds_write_b128 v68, v[0:3]
; %bb.12:                               ;   in Loop: Header=BB131_7 Depth=2
	s_andn2_saveexec_b64 s[14:15], s[14:15]
; %bb.13:                               ;   in Loop: Header=BB131_7 Depth=2
	ds_write_b128 v68, v[4:7]
; %bb.14:                               ;   in Loop: Header=BB131_7 Depth=2
	s_or_b64 exec, exec, s[14:15]
.LBB131_15:                             ;   in Loop: Header=BB131_7 Depth=2
	s_or_b64 exec, exec, s[4:5]
	v_lshl_add_u64 v[12:13], v[10:11], 0, 16
	v_cmp_eq_u64_e64 s[4:5], s[52:53], v[46:47]
	s_and_b64 s[58:59], s[34:35], s[4:5]
	v_cmp_lt_i64_e64 s[4:5], v[12:13], v[28:29]
	v_cmp_le_i64_e64 s[14:15], s[30:31], v[12:13]
	s_or_b64 s[4:5], s[6:7], s[4:5]
	s_or_b64 s[4:5], s[14:15], s[4:5]
	s_nor_b64 s[4:5], s[4:5], s[58:59]
	v_lshl_add_u64 v[12:13], v[40:41], 0, v[34:35]
	s_and_saveexec_b64 s[62:63], s[4:5]
	s_xor_b64 s[4:5], exec, s[62:63]
	s_cbranch_execz .LBB131_17
; %bb.16:                               ;   in Loop: Header=BB131_7 Depth=2
	global_load_dwordx4 v[74:77], v[12:13], off
	s_waitcnt vmcnt(0)
	v_xor_b32_e32 v77, 0x80000000, v77
	ds_write_b128 v68, v[74:77] offset:256
.LBB131_17:                             ;   in Loop: Header=BB131_7 Depth=2
	s_andn2_saveexec_b64 s[4:5], s[4:5]
	s_cbranch_execz .LBB131_23
; %bb.18:                               ;   in Loop: Header=BB131_7 Depth=2
	s_xor_b64 s[58:59], s[58:59], -1
	s_and_saveexec_b64 s[62:63], s[58:59]
	s_xor_b64 s[58:59], exec, s[62:63]
; %bb.19:                               ;   in Loop: Header=BB131_7 Depth=2
	ds_write_b128 v68, v[0:3] offset:256
; %bb.20:                               ;   in Loop: Header=BB131_7 Depth=2
	s_andn2_saveexec_b64 s[58:59], s[58:59]
; %bb.21:                               ;   in Loop: Header=BB131_7 Depth=2
	ds_write_b128 v68, v[4:7] offset:256
; %bb.22:                               ;   in Loop: Header=BB131_7 Depth=2
	s_or_b64 exec, exec, s[58:59]
.LBB131_23:                             ;   in Loop: Header=BB131_7 Depth=2
	s_or_b64 exec, exec, s[4:5]
	v_cmp_eq_u64_e64 s[4:5], s[52:53], v[44:45]
	s_and_b64 s[58:59], s[34:35], s[4:5]
	v_cmp_lt_i64_e64 s[4:5], v[10:11], v[42:43]
	s_or_b64 s[4:5], s[8:9], s[4:5]
	s_or_b64 s[4:5], s[4:5], s[58:59]
	s_nor_b64 s[4:5], s[12:13], s[4:5]
	s_and_saveexec_b64 s[12:13], s[4:5]
	s_xor_b64 s[4:5], exec, s[12:13]
	s_cbranch_execz .LBB131_25
; %bb.24:                               ;   in Loop: Header=BB131_7 Depth=2
	global_load_dwordx4 v[8:11], v[8:9], off offset:256
	s_waitcnt vmcnt(0)
	v_xor_b32_e32 v11, 0x80000000, v11
	ds_write_b128 v68, v[8:11] offset:8192
.LBB131_25:                             ;   in Loop: Header=BB131_7 Depth=2
	s_andn2_saveexec_b64 s[4:5], s[4:5]
	s_cbranch_execz .LBB131_31
; %bb.26:                               ;   in Loop: Header=BB131_7 Depth=2
	s_xor_b64 s[12:13], s[58:59], -1
	s_and_saveexec_b64 s[58:59], s[12:13]
	s_xor_b64 s[12:13], exec, s[58:59]
; %bb.27:                               ;   in Loop: Header=BB131_7 Depth=2
	ds_write_b128 v68, v[0:3] offset:8192
; %bb.28:                               ;   in Loop: Header=BB131_7 Depth=2
	s_andn2_saveexec_b64 s[12:13], s[12:13]
; %bb.29:                               ;   in Loop: Header=BB131_7 Depth=2
	ds_write_b128 v68, v[4:7] offset:8192
; %bb.30:                               ;   in Loop: Header=BB131_7 Depth=2
	s_or_b64 exec, exec, s[12:13]
.LBB131_31:                             ;   in Loop: Header=BB131_7 Depth=2
	s_or_b64 exec, exec, s[4:5]
	s_or_b64 s[4:5], s[8:9], s[10:11]
	s_or_b64 s[4:5], s[14:15], s[4:5]
	s_nor_b64 s[4:5], s[4:5], s[56:57]
	s_and_saveexec_b64 s[10:11], s[4:5]
	s_xor_b64 s[4:5], exec, s[10:11]
	s_cbranch_execz .LBB131_33
; %bb.32:                               ;   in Loop: Header=BB131_7 Depth=2
	global_load_dwordx4 v[8:11], v[12:13], off offset:256
	s_waitcnt vmcnt(0)
	v_xor_b32_e32 v11, 0x80000000, v11
	ds_write_b128 v68, v[8:11] offset:8448
.LBB131_33:                             ;   in Loop: Header=BB131_7 Depth=2
	s_andn2_saveexec_b64 s[4:5], s[4:5]
	s_cbranch_execz .LBB131_39
; %bb.34:                               ;   in Loop: Header=BB131_7 Depth=2
	s_and_saveexec_b64 s[10:11], s[54:55]
	s_xor_b64 s[10:11], exec, s[10:11]
; %bb.35:                               ;   in Loop: Header=BB131_7 Depth=2
	ds_write_b128 v68, v[0:3] offset:8448
; %bb.36:                               ;   in Loop: Header=BB131_7 Depth=2
	s_andn2_saveexec_b64 s[10:11], s[10:11]
; %bb.37:                               ;   in Loop: Header=BB131_7 Depth=2
	ds_write_b128 v68, v[4:7] offset:8448
; %bb.38:                               ;   in Loop: Header=BB131_7 Depth=2
	s_or_b64 exec, exec, s[10:11]
.LBB131_39:                             ;   in Loop: Header=BB131_7 Depth=2
	s_or_b64 exec, exec, s[4:5]
	v_lshl_add_u64 v[8:9], v[24:25], 0, s[52:53]
	v_cmp_le_i64_e64 s[10:11], s[30:31], v[8:9]
	v_lshl_add_u64 v[10:11], v[48:49], 0, v[32:33]
	s_nor_b64 s[4:5], s[10:11], vcc
	s_and_saveexec_b64 s[12:13], s[4:5]
	s_xor_b64 s[4:5], exec, s[12:13]
	s_cbranch_execz .LBB131_41
; %bb.40:                               ;   in Loop: Header=BB131_7 Depth=2
	global_load_dwordx4 v[12:15], v[10:11], off offset:-256
	s_waitcnt vmcnt(0)
	ds_write2_b64 v70, v[12:13], v[14:15] offset1:1
.LBB131_41:                             ;   in Loop: Header=BB131_7 Depth=2
	s_andn2_saveexec_b64 s[4:5], s[4:5]
; %bb.42:                               ;   in Loop: Header=BB131_7 Depth=2
	ds_write_b128 v70, v[0:3]
; %bb.43:                               ;   in Loop: Header=BB131_7 Depth=2
	s_or_b64 exec, exec, s[4:5]
	s_nor_b64 s[4:5], s[10:11], s[0:1]
	s_and_saveexec_b64 s[10:11], s[4:5]
	s_xor_b64 s[4:5], exec, s[10:11]
	s_cbranch_execz .LBB131_45
; %bb.44:                               ;   in Loop: Header=BB131_7 Depth=2
	global_load_dwordx4 v[10:13], v[10:11], off
	s_waitcnt vmcnt(0)
	ds_write2_b64 v71, v[10:11], v[12:13] offset1:1
.LBB131_45:                             ;   in Loop: Header=BB131_7 Depth=2
	s_andn2_saveexec_b64 s[4:5], s[4:5]
; %bb.46:                               ;   in Loop: Header=BB131_7 Depth=2
	ds_write_b128 v70, v[0:3] offset:256
; %bb.47:                               ;   in Loop: Header=BB131_7 Depth=2
	s_or_b64 exec, exec, s[4:5]
	v_cmp_le_i64_e64 s[10:11], s[50:51], v[8:9]
	v_lshl_add_u64 v[8:9], v[48:49], 0, v[36:37]
	s_nor_b64 s[4:5], s[10:11], vcc
	s_and_saveexec_b64 s[12:13], s[4:5]
	s_xor_b64 s[4:5], exec, s[12:13]
	s_cbranch_execz .LBB131_49
; %bb.48:                               ;   in Loop: Header=BB131_7 Depth=2
	global_load_dwordx4 v[10:13], v[8:9], off offset:-256
	s_waitcnt vmcnt(0)
	ds_write2_b64 v72, v[10:11], v[12:13] offset1:1
.LBB131_49:                             ;   in Loop: Header=BB131_7 Depth=2
	s_andn2_saveexec_b64 s[4:5], s[4:5]
; %bb.50:                               ;   in Loop: Header=BB131_7 Depth=2
	ds_write_b128 v70, v[0:3] offset:8192
; %bb.51:                               ;   in Loop: Header=BB131_7 Depth=2
	s_or_b64 exec, exec, s[4:5]
	s_nor_b64 s[4:5], s[10:11], s[0:1]
	s_and_saveexec_b64 s[10:11], s[4:5]
	s_xor_b64 s[4:5], exec, s[10:11]
	s_cbranch_execz .LBB131_53
; %bb.52:                               ;   in Loop: Header=BB131_7 Depth=2
	global_load_dwordx4 v[8:11], v[8:9], off
	s_waitcnt vmcnt(0)
	ds_write2_b64 v73, v[8:9], v[10:11] offset1:1
.LBB131_53:                             ;   in Loop: Header=BB131_7 Depth=2
	s_andn2_saveexec_b64 s[4:5], s[4:5]
	s_cbranch_execz .LBB131_6
; %bb.54:                               ;   in Loop: Header=BB131_7 Depth=2
	ds_write_b128 v70, v[0:3] offset:8448
	s_branch .LBB131_6
.LBB131_55:                             ;   in Loop: Header=BB131_4 Depth=1
	v_mov_b64_e32 v[62:63], 0
	v_mov_b64_e32 v[64:65], 0
	;; [unrolled: 1-line block ×8, first 2 shown]
.LBB131_56:                             ;   in Loop: Header=BB131_4 Depth=1
	v_mul_lo_u32 v10, s21, v28
	v_mul_lo_u32 v11, s20, v29
	v_mad_u64_u32 v[8:9], s[4:5], s20, v28, 0
	v_cmp_gt_i32_e64 s[6:7], s30, v28
	v_add3_u32 v9, v9, v11, v10
	v_lshl_add_u64 v[8:9], v[8:9], 4, s[22:23]
	s_and_b64 s[8:9], s[16:17], s[6:7]
	s_and_saveexec_b64 s[4:5], s[8:9]
	s_cbranch_execz .LBB131_58
; %bb.57:                               ;   in Loop: Header=BB131_4 Depth=1
	v_lshl_add_u64 v[14:15], v[16:17], 4, v[8:9]
	global_load_dwordx4 v[10:13], v[14:15], off
	v_mul_f64 v[30:31], s[26:27], v[64:65]
	v_mul_f64 v[32:33], s[24:25], v[64:65]
	v_fma_f64 v[30:31], s[24:25], v[62:63], -v[30:31]
	v_fmac_f64_e32 v[32:33], s[26:27], v[62:63]
	s_waitcnt vmcnt(0)
	v_add_f64 v[10:11], v[10:11], v[30:31]
	v_add_f64 v[12:13], v[32:33], v[12:13]
	global_store_dwordx4 v[14:15], v[10:13], off
.LBB131_58:                             ;   in Loop: Header=BB131_4 Depth=1
	s_or_b64 exec, exec, s[4:5]
	s_and_b64 s[6:7], s[18:19], s[6:7]
	s_and_saveexec_b64 s[4:5], s[6:7]
	s_cbranch_execz .LBB131_60
; %bb.59:                               ;   in Loop: Header=BB131_4 Depth=1
	v_lshl_add_u64 v[12:13], v[20:21], 4, v[8:9]
	global_load_dwordx4 v[8:11], v[12:13], off
	v_mul_f64 v[14:15], s[26:27], v[56:57]
	v_mul_f64 v[30:31], s[24:25], v[56:57]
	v_fma_f64 v[14:15], s[24:25], v[54:55], -v[14:15]
	v_fmac_f64_e32 v[30:31], s[26:27], v[54:55]
	s_waitcnt vmcnt(0)
	v_add_f64 v[8:9], v[8:9], v[14:15]
	v_add_f64 v[10:11], v[30:31], v[10:11]
	global_store_dwordx4 v[12:13], v[8:11], off
.LBB131_60:                             ;   in Loop: Header=BB131_4 Depth=1
	s_or_b64 exec, exec, s[4:5]
	s_nop 0
	v_add_u32_e32 v8, 16, v28
	v_ashrrev_i32_e32 v9, 31, v8
	v_cmp_gt_i32_e64 s[6:7], s30, v8
	v_mul_lo_u32 v10, s20, v9
	v_mul_lo_u32 v11, s21, v8
	v_mad_u64_u32 v[8:9], s[4:5], s20, v8, 0
	v_add3_u32 v9, v9, v10, v11
	v_lshl_add_u64 v[8:9], v[8:9], 4, s[22:23]
	s_and_b64 s[8:9], s[16:17], s[6:7]
	s_and_saveexec_b64 s[4:5], s[8:9]
	s_cbranch_execz .LBB131_62
; %bb.61:                               ;   in Loop: Header=BB131_4 Depth=1
	v_lshl_add_u64 v[14:15], v[16:17], 4, v[8:9]
	global_load_dwordx4 v[10:13], v[14:15], off
	v_mul_f64 v[28:29], s[26:27], v[60:61]
	v_mul_f64 v[30:31], s[24:25], v[60:61]
	v_fma_f64 v[28:29], s[24:25], v[58:59], -v[28:29]
	v_fmac_f64_e32 v[30:31], s[26:27], v[58:59]
	s_waitcnt vmcnt(0)
	v_add_f64 v[10:11], v[10:11], v[28:29]
	v_add_f64 v[12:13], v[30:31], v[12:13]
	global_store_dwordx4 v[14:15], v[10:13], off
.LBB131_62:                             ;   in Loop: Header=BB131_4 Depth=1
	s_or_b64 exec, exec, s[4:5]
	s_and_b64 s[6:7], s[18:19], s[6:7]
	s_and_saveexec_b64 s[4:5], s[6:7]
	s_cbranch_execz .LBB131_3
; %bb.63:                               ;   in Loop: Header=BB131_4 Depth=1
	v_lshl_add_u64 v[12:13], v[20:21], 4, v[8:9]
	global_load_dwordx4 v[8:11], v[12:13], off
	v_mul_f64 v[14:15], s[26:27], v[50:51]
	v_mul_f64 v[28:29], s[24:25], v[50:51]
	v_fma_f64 v[14:15], s[24:25], v[52:53], -v[14:15]
	v_fmac_f64_e32 v[28:29], s[26:27], v[52:53]
	s_waitcnt vmcnt(0)
	v_add_f64 v[8:9], v[8:9], v[14:15]
	v_add_f64 v[10:11], v[28:29], v[10:11]
	global_store_dwordx4 v[12:13], v[8:11], off
	s_branch .LBB131_3
.LBB131_64:
	s_endpgm
	.section	.rodata,"a",@progbits
	.p2align	6, 0x0
	.amdhsa_kernel _ZL30rocblas_trmm_outofplace_kernelI19rocblas_complex_numIdELi32ELi2ELb0ELb1ELb1ELb1ES1_KS1_S1_Ev17rocblas_diagonal_iiT6_lPT7_lllS6_lllPT8_llli
		.amdhsa_group_segment_fixed_size 32768
		.amdhsa_private_segment_fixed_size 0
		.amdhsa_kernarg_size 400
		.amdhsa_user_sgpr_count 2
		.amdhsa_user_sgpr_dispatch_ptr 0
		.amdhsa_user_sgpr_queue_ptr 0
		.amdhsa_user_sgpr_kernarg_segment_ptr 1
		.amdhsa_user_sgpr_dispatch_id 0
		.amdhsa_user_sgpr_kernarg_preload_length 0
		.amdhsa_user_sgpr_kernarg_preload_offset 0
		.amdhsa_user_sgpr_private_segment_size 0
		.amdhsa_uses_dynamic_stack 0
		.amdhsa_enable_private_segment 0
		.amdhsa_system_sgpr_workgroup_id_x 1
		.amdhsa_system_sgpr_workgroup_id_y 1
		.amdhsa_system_sgpr_workgroup_id_z 1
		.amdhsa_system_sgpr_workgroup_info 0
		.amdhsa_system_vgpr_workitem_id 1
		.amdhsa_next_free_vgpr 94
		.amdhsa_next_free_sgpr 64
		.amdhsa_accum_offset 96
		.amdhsa_reserve_vcc 1
		.amdhsa_float_round_mode_32 0
		.amdhsa_float_round_mode_16_64 0
		.amdhsa_float_denorm_mode_32 3
		.amdhsa_float_denorm_mode_16_64 3
		.amdhsa_dx10_clamp 1
		.amdhsa_ieee_mode 1
		.amdhsa_fp16_overflow 0
		.amdhsa_tg_split 0
		.amdhsa_exception_fp_ieee_invalid_op 0
		.amdhsa_exception_fp_denorm_src 0
		.amdhsa_exception_fp_ieee_div_zero 0
		.amdhsa_exception_fp_ieee_overflow 0
		.amdhsa_exception_fp_ieee_underflow 0
		.amdhsa_exception_fp_ieee_inexact 0
		.amdhsa_exception_int_div_zero 0
	.end_amdhsa_kernel
	.section	.text._ZL30rocblas_trmm_outofplace_kernelI19rocblas_complex_numIdELi32ELi2ELb0ELb1ELb1ELb1ES1_KS1_S1_Ev17rocblas_diagonal_iiT6_lPT7_lllS6_lllPT8_llli,"axG",@progbits,_ZL30rocblas_trmm_outofplace_kernelI19rocblas_complex_numIdELi32ELi2ELb0ELb1ELb1ELb1ES1_KS1_S1_Ev17rocblas_diagonal_iiT6_lPT7_lllS6_lllPT8_llli,comdat
.Lfunc_end131:
	.size	_ZL30rocblas_trmm_outofplace_kernelI19rocblas_complex_numIdELi32ELi2ELb0ELb1ELb1ELb1ES1_KS1_S1_Ev17rocblas_diagonal_iiT6_lPT7_lllS6_lllPT8_llli, .Lfunc_end131-_ZL30rocblas_trmm_outofplace_kernelI19rocblas_complex_numIdELi32ELi2ELb0ELb1ELb1ELb1ES1_KS1_S1_Ev17rocblas_diagonal_iiT6_lPT7_lllS6_lllPT8_llli
                                        ; -- End function
	.set _ZL30rocblas_trmm_outofplace_kernelI19rocblas_complex_numIdELi32ELi2ELb0ELb1ELb1ELb1ES1_KS1_S1_Ev17rocblas_diagonal_iiT6_lPT7_lllS6_lllPT8_llli.num_vgpr, 94
	.set _ZL30rocblas_trmm_outofplace_kernelI19rocblas_complex_numIdELi32ELi2ELb0ELb1ELb1ELb1ES1_KS1_S1_Ev17rocblas_diagonal_iiT6_lPT7_lllS6_lllPT8_llli.num_agpr, 0
	.set _ZL30rocblas_trmm_outofplace_kernelI19rocblas_complex_numIdELi32ELi2ELb0ELb1ELb1ELb1ES1_KS1_S1_Ev17rocblas_diagonal_iiT6_lPT7_lllS6_lllPT8_llli.numbered_sgpr, 64
	.set _ZL30rocblas_trmm_outofplace_kernelI19rocblas_complex_numIdELi32ELi2ELb0ELb1ELb1ELb1ES1_KS1_S1_Ev17rocblas_diagonal_iiT6_lPT7_lllS6_lllPT8_llli.num_named_barrier, 0
	.set _ZL30rocblas_trmm_outofplace_kernelI19rocblas_complex_numIdELi32ELi2ELb0ELb1ELb1ELb1ES1_KS1_S1_Ev17rocblas_diagonal_iiT6_lPT7_lllS6_lllPT8_llli.private_seg_size, 0
	.set _ZL30rocblas_trmm_outofplace_kernelI19rocblas_complex_numIdELi32ELi2ELb0ELb1ELb1ELb1ES1_KS1_S1_Ev17rocblas_diagonal_iiT6_lPT7_lllS6_lllPT8_llli.uses_vcc, 1
	.set _ZL30rocblas_trmm_outofplace_kernelI19rocblas_complex_numIdELi32ELi2ELb0ELb1ELb1ELb1ES1_KS1_S1_Ev17rocblas_diagonal_iiT6_lPT7_lllS6_lllPT8_llli.uses_flat_scratch, 0
	.set _ZL30rocblas_trmm_outofplace_kernelI19rocblas_complex_numIdELi32ELi2ELb0ELb1ELb1ELb1ES1_KS1_S1_Ev17rocblas_diagonal_iiT6_lPT7_lllS6_lllPT8_llli.has_dyn_sized_stack, 0
	.set _ZL30rocblas_trmm_outofplace_kernelI19rocblas_complex_numIdELi32ELi2ELb0ELb1ELb1ELb1ES1_KS1_S1_Ev17rocblas_diagonal_iiT6_lPT7_lllS6_lllPT8_llli.has_recursion, 0
	.set _ZL30rocblas_trmm_outofplace_kernelI19rocblas_complex_numIdELi32ELi2ELb0ELb1ELb1ELb1ES1_KS1_S1_Ev17rocblas_diagonal_iiT6_lPT7_lllS6_lllPT8_llli.has_indirect_call, 0
	.section	.AMDGPU.csdata,"",@progbits
; Kernel info:
; codeLenInByte = 9140
; TotalNumSgprs: 70
; NumVgprs: 94
; NumAgprs: 0
; TotalNumVgprs: 94
; ScratchSize: 0
; MemoryBound: 0
; FloatMode: 240
; IeeeMode: 1
; LDSByteSize: 32768 bytes/workgroup (compile time only)
; SGPRBlocks: 8
; VGPRBlocks: 11
; NumSGPRsForWavesPerEU: 70
; NumVGPRsForWavesPerEU: 94
; AccumOffset: 96
; Occupancy: 5
; WaveLimiterHint : 0
; COMPUTE_PGM_RSRC2:SCRATCH_EN: 0
; COMPUTE_PGM_RSRC2:USER_SGPR: 2
; COMPUTE_PGM_RSRC2:TRAP_HANDLER: 0
; COMPUTE_PGM_RSRC2:TGID_X_EN: 1
; COMPUTE_PGM_RSRC2:TGID_Y_EN: 1
; COMPUTE_PGM_RSRC2:TGID_Z_EN: 1
; COMPUTE_PGM_RSRC2:TIDIG_COMP_CNT: 1
; COMPUTE_PGM_RSRC3_GFX90A:ACCUM_OFFSET: 23
; COMPUTE_PGM_RSRC3_GFX90A:TG_SPLIT: 0
	.section	.text._ZL23rocblas_trmm_lNx_kernelILi16E19rocblas_complex_numIdEPKS1_S2_S1_Ev13rocblas_fill_17rocblas_diagonal_iiT1_lPT2_llS8_llPT3_lli,"axG",@progbits,_ZL23rocblas_trmm_lNx_kernelILi16E19rocblas_complex_numIdEPKS1_S2_S1_Ev13rocblas_fill_17rocblas_diagonal_iiT1_lPT2_llS8_llPT3_lli,comdat
	.globl	_ZL23rocblas_trmm_lNx_kernelILi16E19rocblas_complex_numIdEPKS1_S2_S1_Ev13rocblas_fill_17rocblas_diagonal_iiT1_lPT2_llS8_llPT3_lli ; -- Begin function _ZL23rocblas_trmm_lNx_kernelILi16E19rocblas_complex_numIdEPKS1_S2_S1_Ev13rocblas_fill_17rocblas_diagonal_iiT1_lPT2_llS8_llPT3_lli
	.p2align	8
	.type	_ZL23rocblas_trmm_lNx_kernelILi16E19rocblas_complex_numIdEPKS1_S2_S1_Ev13rocblas_fill_17rocblas_diagonal_iiT1_lPT2_llS8_llPT3_lli,@function
_ZL23rocblas_trmm_lNx_kernelILi16E19rocblas_complex_numIdEPKS1_S2_S1_Ev13rocblas_fill_17rocblas_diagonal_iiT1_lPT2_llS8_llPT3_lli: ; @_ZL23rocblas_trmm_lNx_kernelILi16E19rocblas_complex_numIdEPKS1_S2_S1_Ev13rocblas_fill_17rocblas_diagonal_iiT1_lPT2_llS8_llPT3_lli
; %bb.0:
	s_load_dwordx16 s[4:19], s[0:1], 0x10
	s_waitcnt lgkmcnt(0)
	s_mul_i32 s7, s7, s3
	s_mul_hi_u32 s20, s6, s3
	s_add_i32 s7, s20, s7
	s_mul_i32 s6, s6, s3
	s_lshl_b64 s[6:7], s[6:7], 4
	s_add_u32 s4, s4, s6
	s_addc_u32 s5, s5, s7
	s_load_dwordx4 s[20:23], s[4:5], 0x0
	s_waitcnt lgkmcnt(0)
	v_cmp_neq_f64_e64 s[4:5], s[20:21], 0
	v_cmp_neq_f64_e64 s[6:7], s[22:23], 0
	s_or_b64 s[4:5], s[4:5], s[6:7]
	s_andn2_b64 vcc, exec, s[4:5]
	s_cbranch_vccnz .LBB132_15
; %bb.1:
	s_load_dwordx4 s[24:27], s[0:1], 0x0
	s_mov_b32 s4, 0
	s_mov_b32 s6, s4
	;; [unrolled: 1-line block ×3, first 2 shown]
	v_and_b32_e32 v5, 0x3ff, v0
	v_bfe_u32 v2, v0, 10, 10
	s_mov_b32 s5, s4
	v_mov_b64_e32 v[8:9], s[6:7]
	v_lshlrev_b32_e32 v3, 4, v2
	v_mov_b64_e32 v[6:7], s[4:5]
	s_waitcnt lgkmcnt(0)
	v_cmp_gt_i32_e64 s[4:5], s26, v2
	v_cmp_gt_i32_e32 vcc, s26, v5
	v_add_lshl_u32 v4, v3, v5, 4
	s_and_b64 s[6:7], s[4:5], vcc
	v_lshlrev_b32_e32 v0, 4, v5
	ds_write_b128 v4, v[6:9]
	ds_write_b128 v4, v[6:9] offset:4096
	s_and_saveexec_b64 s[4:5], s[6:7]
	s_cbranch_execz .LBB132_3
; %bb.2:
	s_mul_i32 s6, s13, s3
	s_mul_hi_u32 s7, s12, s3
	s_add_i32 s7, s7, s6
	s_mul_i32 s6, s12, s3
	s_lshl_b64 s[6:7], s[6:7], 4
	s_add_u32 s6, s8, s6
	s_addc_u32 s7, s9, s7
	v_mad_u64_u32 v[6:7], s[8:9], s10, v2, 0
	v_mov_b32_e32 v8, v7
	v_mad_u64_u32 v[8:9], s[8:9], s11, v2, v[8:9]
	v_mov_b32_e32 v7, v8
	v_lshl_add_u64 v[6:7], v[6:7], 4, s[6:7]
	v_mov_b32_e32 v1, 0
	v_lshl_add_u64 v[6:7], v[6:7], 0, v[0:1]
	global_load_dwordx4 v[6:9], v[6:7], off
	s_waitcnt vmcnt(0)
	ds_write2_b64 v4, v[6:7], v[8:9] offset1:1
.LBB132_3:
	s_or_b64 exec, exec, s[4:5]
	s_add_i32 s4, s27, -1
	s_ashr_i32 s5, s4, 31
	s_lshr_b32 s5, s5, 28
	s_add_i32 s4, s4, s5
	s_ashr_i32 s5, s4, 4
	s_and_b32 s4, s4, -16
	s_sub_i32 s4, s27, s4
	s_cmp_ge_i32 s2, s5
	s_cselect_b32 s4, s4, 16
	s_lshl_b32 s2, s2, 4
	v_cmp_gt_i32_e64 s[4:5], s4, v2
	s_ashr_i32 s10, s2, 31
	s_and_b64 s[4:5], vcc, s[4:5]
	s_and_saveexec_b64 s[6:7], s[4:5]
	s_cbranch_execz .LBB132_5
; %bb.4:
	s_mul_i32 s8, s19, s3
	s_mul_hi_u32 s9, s18, s3
	s_add_i32 s9, s9, s8
	s_mul_i32 s8, s18, s3
	s_lshl_b64 s[8:9], s[8:9], 4
	s_add_u32 s11, s14, s8
	s_addc_u32 s12, s15, s9
	s_mul_i32 s8, s16, s10
	s_mul_hi_u32 s9, s16, s2
	s_add_i32 s8, s9, s8
	s_mul_i32 s9, s17, s2
	s_add_i32 s9, s8, s9
	s_mul_i32 s8, s16, s2
	s_lshl_b64 s[8:9], s[8:9], 4
	s_add_u32 s8, s11, s8
	s_addc_u32 s9, s12, s9
	v_mad_u64_u32 v[6:7], s[12:13], s16, v2, 0
	v_mov_b32_e32 v8, v7
	v_mad_u64_u32 v[8:9], s[12:13], s17, v2, v[8:9]
	v_mov_b32_e32 v7, v8
	v_lshl_add_u64 v[6:7], v[6:7], 4, s[8:9]
	v_mov_b32_e32 v1, 0
	v_lshl_add_u64 v[6:7], v[6:7], 0, v[0:1]
	global_load_dwordx4 v[6:9], v[6:7], off
	v_add_u32_e32 v1, 0x1000, v4
	s_waitcnt vmcnt(0)
	ds_write2_b64 v1, v[6:7], v[8:9] offset1:1
.LBB132_5:
	s_or_b64 exec, exec, s[6:7]
	s_cmpk_eq_i32 s25, 0x84
	s_cselect_b64 s[6:7], -1, 0
	v_cmp_eq_u32_e32 vcc, v2, v5
	s_and_b64 s[8:9], vcc, s[6:7]
	s_and_saveexec_b64 s[6:7], s[8:9]
; %bb.6:
	v_mov_b32_e32 v6, 0
	v_mov_b32_e32 v7, 0x3ff00000
	v_mov_b32_e32 v8, v6
	v_mov_b32_e32 v9, v6
	ds_write_b128 v4, v[6:9]
; %bb.7:
	s_or_b64 exec, exec, s[6:7]
	s_cmpk_lg_i32 s24, 0x79
	s_cbranch_scc0 .LBB132_9
; %bb.8:
	v_cmp_lt_u32_e32 vcc, v5, v2
	s_and_b64 s[6:7], vcc, exec
	s_cbranch_execz .LBB132_10
	s_branch .LBB132_11
.LBB132_9:
	s_mov_b64 s[6:7], 0
.LBB132_10:
	v_cmp_gt_u32_e32 vcc, v5, v2
	s_andn2_b64 s[6:7], s[6:7], exec
	s_and_b64 s[8:9], vcc, exec
	s_or_b64 s[6:7], s[6:7], s[8:9]
.LBB132_11:
	s_and_saveexec_b64 s[8:9], s[6:7]
; %bb.12:
	v_mov_b32_e32 v6, 0
	v_mov_b32_e32 v7, v6
	;; [unrolled: 1-line block ×4, first 2 shown]
	ds_write_b128 v4, v[6:9]
; %bb.13:
	s_or_b64 exec, exec, s[8:9]
	s_waitcnt lgkmcnt(0)
	s_barrier
	s_and_saveexec_b64 s[6:7], s[4:5]
	s_cbranch_execz .LBB132_15
; %bb.14:
	v_lshlrev_b32_e32 v1, 4, v3
	ds_read_b128 v[4:7], v0
	ds_read_b128 v[8:11], v1 offset:4096
	ds_read_b128 v[12:15], v1 offset:4112
	;; [unrolled: 1-line block ×5, first 2 shown]
	s_waitcnt lgkmcnt(4)
	v_mul_f64 v[28:29], v[8:9], v[6:7]
	v_fmac_f64_e32 v[28:29], v[10:11], v[4:5]
	v_add_f64 v[36:37], v[28:29], 0
	ds_read_b128 v[28:31], v0 offset:512
	ds_read_b128 v[32:35], v0 offset:768
	s_waitcnt lgkmcnt(2)
	v_mul_f64 v[38:39], v[12:13], v[26:27]
	v_fmac_f64_e32 v[38:39], v[14:15], v[24:25]
	v_add_f64 v[36:37], v[36:37], v[38:39]
	s_waitcnt lgkmcnt(1)
	v_mul_f64 v[38:39], v[16:17], v[30:31]
	v_fmac_f64_e32 v[38:39], v[18:19], v[28:29]
	v_add_f64 v[52:53], v[36:37], v[38:39]
	ds_read_b128 v[36:39], v1 offset:4160
	ds_read_b128 v[40:43], v0 offset:1024
	;; [unrolled: 1-line block ×4, first 2 shown]
	s_waitcnt lgkmcnt(4)
	v_mul_f64 v[54:55], v[20:21], v[34:35]
	v_fmac_f64_e32 v[54:55], v[22:23], v[32:33]
	v_add_f64 v[52:53], v[52:53], v[54:55]
	s_waitcnt lgkmcnt(2)
	v_mul_f64 v[54:55], v[36:37], v[42:43]
	v_fmac_f64_e32 v[54:55], v[38:39], v[40:41]
	v_add_f64 v[52:53], v[52:53], v[54:55]
	s_waitcnt lgkmcnt(0)
	v_mul_f64 v[54:55], v[44:45], v[50:51]
	v_fmac_f64_e32 v[54:55], v[46:47], v[48:49]
	v_mul_f64 v[6:7], v[10:11], v[6:7]
	v_add_f64 v[56:57], v[52:53], v[54:55]
	ds_read_b128 v[52:55], v1 offset:4192
	v_fma_f64 v[58:59], v[8:9], v[4:5], -v[6:7]
	ds_read_b128 v[4:7], v0 offset:1536
	v_mul_f64 v[8:9], v[14:15], v[26:27]
	v_fma_f64 v[60:61], v[12:13], v[24:25], -v[8:9]
	ds_read_b128 v[8:11], v1 offset:4208
	ds_read_b128 v[12:15], v0 offset:1792
	v_mul_f64 v[18:19], v[18:19], v[30:31]
	v_mul_f64 v[22:23], v[22:23], v[34:35]
	v_fma_f64 v[62:63], v[16:17], v[28:29], -v[18:19]
	ds_read_b128 v[16:19], v1 offset:4224
	v_fma_f64 v[66:67], v[20:21], v[32:33], -v[22:23]
	ds_read_b128 v[20:23], v0 offset:2048
	s_waitcnt lgkmcnt(4)
	v_mul_f64 v[24:25], v[52:53], v[6:7]
	v_fmac_f64_e32 v[24:25], v[54:55], v[4:5]
	s_waitcnt lgkmcnt(2)
	v_mul_f64 v[64:65], v[8:9], v[14:15]
	v_add_f64 v[56:57], v[56:57], v[24:25]
	v_fmac_f64_e32 v[64:65], v[10:11], v[12:13]
	s_waitcnt lgkmcnt(0)
	v_mul_f64 v[34:35], v[16:17], v[22:23]
	v_mul_f64 v[24:25], v[38:39], v[42:43]
	v_add_f64 v[32:33], v[56:57], v[64:65]
	v_fmac_f64_e32 v[34:35], v[18:19], v[20:21]
	v_fma_f64 v[68:69], v[36:37], v[40:41], -v[24:25]
	ds_read_b128 v[24:27], v1 offset:4240
	ds_read_b128 v[28:31], v0 offset:2304
	v_add_f64 v[40:41], v[32:33], v[34:35]
	v_mul_f64 v[32:33], v[46:47], v[50:51]
	v_fma_f64 v[56:57], v[44:45], v[48:49], -v[32:33]
	ds_read_b128 v[32:35], v0 offset:2560
	v_mul_f64 v[6:7], v[54:55], v[6:7]
	v_fma_f64 v[52:53], v[52:53], v[4:5], -v[6:7]
	ds_read_b128 v[4:7], v1 offset:4256
	ds_read_b128 v[36:39], v1 offset:4272
	s_waitcnt lgkmcnt(3)
	v_mul_f64 v[42:43], v[24:25], v[30:31]
	v_fmac_f64_e32 v[42:43], v[26:27], v[28:29]
	v_mul_f64 v[10:11], v[10:11], v[14:15]
	s_waitcnt lgkmcnt(1)
	v_mul_f64 v[14:15], v[4:5], v[34:35]
	v_fma_f64 v[54:55], v[8:9], v[12:13], -v[10:11]
	v_add_f64 v[12:13], v[40:41], v[42:43]
	v_fmac_f64_e32 v[14:15], v[6:7], v[32:33]
	v_add_f64 v[58:59], v[58:59], 0
	ds_read_b128 v[8:11], v0 offset:2816
	v_add_f64 v[40:41], v[12:13], v[14:15]
	v_mul_f64 v[12:13], v[18:19], v[22:23]
	v_add_f64 v[58:59], v[58:59], v[60:61]
	v_fma_f64 v[64:65], v[16:17], v[20:21], -v[12:13]
	ds_read_b128 v[12:15], v1 offset:4288
	ds_read_b128 v[16:19], v0 offset:3072
	v_add_f64 v[58:59], v[58:59], v[62:63]
	v_add_f64 v[58:59], v[58:59], v[66:67]
	;; [unrolled: 1-line block ×4, first 2 shown]
	s_waitcnt lgkmcnt(2)
	v_mul_f64 v[42:43], v[36:37], v[10:11]
	v_mul_f64 v[20:21], v[26:27], v[30:31]
	v_add_f64 v[52:53], v[56:57], v[52:53]
	v_fmac_f64_e32 v[42:43], v[38:39], v[8:9]
	v_fma_f64 v[70:71], v[24:25], v[28:29], -v[20:21]
	ds_read_b128 v[20:23], v1 offset:4304
	ds_read_b128 v[24:27], v0 offset:3328
	s_waitcnt lgkmcnt(2)
	v_mul_f64 v[30:31], v[12:13], v[18:19]
	s_load_dwordx2 s[8:9], s[0:1], 0x60
	s_load_dwordx4 s[4:7], s[0:1], 0x50
	v_add_f64 v[52:53], v[52:53], v[54:55]
	v_add_f64 v[28:29], v[40:41], v[42:43]
	v_fmac_f64_e32 v[30:31], v[14:15], v[16:17]
	v_add_f64 v[52:53], v[52:53], v[64:65]
	v_mul_f64 v[6:7], v[6:7], v[34:35]
	v_add_f64 v[72:73], v[28:29], v[30:31]
	ds_read_b128 v[28:31], v1 offset:4320
	ds_read_b128 v[40:43], v0 offset:3584
	v_add_f64 v[52:53], v[52:53], v[70:71]
	v_fma_f64 v[4:5], v[4:5], v[32:33], -v[6:7]
	v_mul_f64 v[6:7], v[38:39], v[10:11]
	v_add_f64 v[4:5], v[52:53], v[4:5]
	v_fma_f64 v[6:7], v[36:37], v[8:9], -v[6:7]
	ds_read_b128 v[44:47], v1 offset:4336
	ds_read_b128 v[48:51], v0 offset:3840
	v_add_f64 v[4:5], v[4:5], v[6:7]
	v_mul_f64 v[6:7], v[14:15], v[18:19]
	s_waitcnt lgkmcnt(0)
	v_mul_f64 v[74:75], v[20:21], v[26:27]
	s_mul_i32 s0, s9, s3
	s_mul_hi_u32 s1, s8, s3
	v_fma_f64 v[6:7], v[12:13], v[16:17], -v[6:7]
	v_fmac_f64_e32 v[74:75], v[22:23], v[24:25]
	s_add_i32 s1, s1, s0
	s_mul_i32 s0, s8, s3
	v_add_f64 v[4:5], v[4:5], v[6:7]
	v_mul_f64 v[6:7], v[22:23], v[26:27]
	v_add_f64 v[72:73], v[72:73], v[74:75]
	v_mul_f64 v[74:75], v[28:29], v[42:43]
	s_lshl_b64 s[0:1], s[0:1], 4
	v_fma_f64 v[6:7], v[20:21], v[24:25], -v[6:7]
	v_fmac_f64_e32 v[74:75], v[30:31], v[40:41]
	s_add_u32 s3, s4, s0
	v_add_f64 v[4:5], v[4:5], v[6:7]
	v_mul_f64 v[6:7], v[30:31], v[42:43]
	v_add_f64 v[72:73], v[72:73], v[74:75]
	v_mul_f64 v[74:75], v[44:45], v[50:51]
	s_addc_u32 s4, s5, s1
	s_mul_i32 s0, s6, s10
	s_mul_hi_u32 s1, s6, s2
	v_fma_f64 v[6:7], v[28:29], v[40:41], -v[6:7]
	v_fmac_f64_e32 v[74:75], v[46:47], v[48:49]
	s_add_i32 s0, s1, s0
	s_mul_i32 s1, s7, s2
	v_add_f64 v[4:5], v[4:5], v[6:7]
	v_mul_f64 v[6:7], v[46:47], v[50:51]
	v_add_f64 v[72:73], v[72:73], v[74:75]
	s_add_i32 s1, s0, s1
	s_mul_i32 s0, s6, s2
	v_fma_f64 v[6:7], v[44:45], v[48:49], -v[6:7]
	s_lshl_b64 s[0:1], s[0:1], 4
	v_add_f64 v[4:5], v[4:5], v[6:7]
	v_mul_f64 v[6:7], s[20:21], v[72:73]
	v_mul_f64 v[8:9], s[22:23], v[72:73]
	s_add_u32 s0, s3, s0
	v_fmac_f64_e32 v[6:7], s[22:23], v[4:5]
	v_fma_f64 v[4:5], s[20:21], v[4:5], -v[8:9]
	v_mad_u64_u32 v[8:9], s[2:3], s6, v2, 0
	v_mov_b32_e32 v10, v9
	v_mad_u64_u32 v[2:3], s[2:3], s7, v2, v[10:11]
	s_addc_u32 s1, s4, s1
	v_mov_b32_e32 v9, v2
	v_lshl_add_u64 v[2:3], v[8:9], 4, s[0:1]
	v_mov_b32_e32 v1, 0
	v_lshl_add_u64 v[0:1], v[2:3], 0, v[0:1]
	global_store_dwordx4 v[0:1], v[4:7], off
.LBB132_15:
	s_endpgm
	.section	.rodata,"a",@progbits
	.p2align	6, 0x0
	.amdhsa_kernel _ZL23rocblas_trmm_lNx_kernelILi16E19rocblas_complex_numIdEPKS1_S2_S1_Ev13rocblas_fill_17rocblas_diagonal_iiT1_lPT2_llS8_llPT3_lli
		.amdhsa_group_segment_fixed_size 8192
		.amdhsa_private_segment_fixed_size 0
		.amdhsa_kernarg_size 108
		.amdhsa_user_sgpr_count 2
		.amdhsa_user_sgpr_dispatch_ptr 0
		.amdhsa_user_sgpr_queue_ptr 0
		.amdhsa_user_sgpr_kernarg_segment_ptr 1
		.amdhsa_user_sgpr_dispatch_id 0
		.amdhsa_user_sgpr_kernarg_preload_length 0
		.amdhsa_user_sgpr_kernarg_preload_offset 0
		.amdhsa_user_sgpr_private_segment_size 0
		.amdhsa_uses_dynamic_stack 0
		.amdhsa_enable_private_segment 0
		.amdhsa_system_sgpr_workgroup_id_x 1
		.amdhsa_system_sgpr_workgroup_id_y 0
		.amdhsa_system_sgpr_workgroup_id_z 1
		.amdhsa_system_sgpr_workgroup_info 0
		.amdhsa_system_vgpr_workitem_id 1
		.amdhsa_next_free_vgpr 76
		.amdhsa_next_free_sgpr 28
		.amdhsa_accum_offset 76
		.amdhsa_reserve_vcc 1
		.amdhsa_float_round_mode_32 0
		.amdhsa_float_round_mode_16_64 0
		.amdhsa_float_denorm_mode_32 3
		.amdhsa_float_denorm_mode_16_64 3
		.amdhsa_dx10_clamp 1
		.amdhsa_ieee_mode 1
		.amdhsa_fp16_overflow 0
		.amdhsa_tg_split 0
		.amdhsa_exception_fp_ieee_invalid_op 0
		.amdhsa_exception_fp_denorm_src 0
		.amdhsa_exception_fp_ieee_div_zero 0
		.amdhsa_exception_fp_ieee_overflow 0
		.amdhsa_exception_fp_ieee_underflow 0
		.amdhsa_exception_fp_ieee_inexact 0
		.amdhsa_exception_int_div_zero 0
	.end_amdhsa_kernel
	.section	.text._ZL23rocblas_trmm_lNx_kernelILi16E19rocblas_complex_numIdEPKS1_S2_S1_Ev13rocblas_fill_17rocblas_diagonal_iiT1_lPT2_llS8_llPT3_lli,"axG",@progbits,_ZL23rocblas_trmm_lNx_kernelILi16E19rocblas_complex_numIdEPKS1_S2_S1_Ev13rocblas_fill_17rocblas_diagonal_iiT1_lPT2_llS8_llPT3_lli,comdat
.Lfunc_end132:
	.size	_ZL23rocblas_trmm_lNx_kernelILi16E19rocblas_complex_numIdEPKS1_S2_S1_Ev13rocblas_fill_17rocblas_diagonal_iiT1_lPT2_llS8_llPT3_lli, .Lfunc_end132-_ZL23rocblas_trmm_lNx_kernelILi16E19rocblas_complex_numIdEPKS1_S2_S1_Ev13rocblas_fill_17rocblas_diagonal_iiT1_lPT2_llS8_llPT3_lli
                                        ; -- End function
	.set _ZL23rocblas_trmm_lNx_kernelILi16E19rocblas_complex_numIdEPKS1_S2_S1_Ev13rocblas_fill_17rocblas_diagonal_iiT1_lPT2_llS8_llPT3_lli.num_vgpr, 76
	.set _ZL23rocblas_trmm_lNx_kernelILi16E19rocblas_complex_numIdEPKS1_S2_S1_Ev13rocblas_fill_17rocblas_diagonal_iiT1_lPT2_llS8_llPT3_lli.num_agpr, 0
	.set _ZL23rocblas_trmm_lNx_kernelILi16E19rocblas_complex_numIdEPKS1_S2_S1_Ev13rocblas_fill_17rocblas_diagonal_iiT1_lPT2_llS8_llPT3_lli.numbered_sgpr, 28
	.set _ZL23rocblas_trmm_lNx_kernelILi16E19rocblas_complex_numIdEPKS1_S2_S1_Ev13rocblas_fill_17rocblas_diagonal_iiT1_lPT2_llS8_llPT3_lli.num_named_barrier, 0
	.set _ZL23rocblas_trmm_lNx_kernelILi16E19rocblas_complex_numIdEPKS1_S2_S1_Ev13rocblas_fill_17rocblas_diagonal_iiT1_lPT2_llS8_llPT3_lli.private_seg_size, 0
	.set _ZL23rocblas_trmm_lNx_kernelILi16E19rocblas_complex_numIdEPKS1_S2_S1_Ev13rocblas_fill_17rocblas_diagonal_iiT1_lPT2_llS8_llPT3_lli.uses_vcc, 1
	.set _ZL23rocblas_trmm_lNx_kernelILi16E19rocblas_complex_numIdEPKS1_S2_S1_Ev13rocblas_fill_17rocblas_diagonal_iiT1_lPT2_llS8_llPT3_lli.uses_flat_scratch, 0
	.set _ZL23rocblas_trmm_lNx_kernelILi16E19rocblas_complex_numIdEPKS1_S2_S1_Ev13rocblas_fill_17rocblas_diagonal_iiT1_lPT2_llS8_llPT3_lli.has_dyn_sized_stack, 0
	.set _ZL23rocblas_trmm_lNx_kernelILi16E19rocblas_complex_numIdEPKS1_S2_S1_Ev13rocblas_fill_17rocblas_diagonal_iiT1_lPT2_llS8_llPT3_lli.has_recursion, 0
	.set _ZL23rocblas_trmm_lNx_kernelILi16E19rocblas_complex_numIdEPKS1_S2_S1_Ev13rocblas_fill_17rocblas_diagonal_iiT1_lPT2_llS8_llPT3_lli.has_indirect_call, 0
	.section	.AMDGPU.csdata,"",@progbits
; Kernel info:
; codeLenInByte = 1816
; TotalNumSgprs: 34
; NumVgprs: 76
; NumAgprs: 0
; TotalNumVgprs: 76
; ScratchSize: 0
; MemoryBound: 0
; FloatMode: 240
; IeeeMode: 1
; LDSByteSize: 8192 bytes/workgroup (compile time only)
; SGPRBlocks: 4
; VGPRBlocks: 9
; NumSGPRsForWavesPerEU: 34
; NumVGPRsForWavesPerEU: 76
; AccumOffset: 76
; Occupancy: 6
; WaveLimiterHint : 0
; COMPUTE_PGM_RSRC2:SCRATCH_EN: 0
; COMPUTE_PGM_RSRC2:USER_SGPR: 2
; COMPUTE_PGM_RSRC2:TRAP_HANDLER: 0
; COMPUTE_PGM_RSRC2:TGID_X_EN: 1
; COMPUTE_PGM_RSRC2:TGID_Y_EN: 0
; COMPUTE_PGM_RSRC2:TGID_Z_EN: 1
; COMPUTE_PGM_RSRC2:TIDIG_COMP_CNT: 1
; COMPUTE_PGM_RSRC3_GFX90A:ACCUM_OFFSET: 18
; COMPUTE_PGM_RSRC3_GFX90A:TG_SPLIT: 0
	.section	.text._ZL23rocblas_trmm_lNx_kernelILi16E19rocblas_complex_numIdES1_KS1_S1_Ev13rocblas_fill_17rocblas_diagonal_iiT1_lPT2_llS7_llPT3_lli,"axG",@progbits,_ZL23rocblas_trmm_lNx_kernelILi16E19rocblas_complex_numIdES1_KS1_S1_Ev13rocblas_fill_17rocblas_diagonal_iiT1_lPT2_llS7_llPT3_lli,comdat
	.globl	_ZL23rocblas_trmm_lNx_kernelILi16E19rocblas_complex_numIdES1_KS1_S1_Ev13rocblas_fill_17rocblas_diagonal_iiT1_lPT2_llS7_llPT3_lli ; -- Begin function _ZL23rocblas_trmm_lNx_kernelILi16E19rocblas_complex_numIdES1_KS1_S1_Ev13rocblas_fill_17rocblas_diagonal_iiT1_lPT2_llS7_llPT3_lli
	.p2align	8
	.type	_ZL23rocblas_trmm_lNx_kernelILi16E19rocblas_complex_numIdES1_KS1_S1_Ev13rocblas_fill_17rocblas_diagonal_iiT1_lPT2_llS7_llPT3_lli,@function
_ZL23rocblas_trmm_lNx_kernelILi16E19rocblas_complex_numIdES1_KS1_S1_Ev13rocblas_fill_17rocblas_diagonal_iiT1_lPT2_llS7_llPT3_lli: ; @_ZL23rocblas_trmm_lNx_kernelILi16E19rocblas_complex_numIdES1_KS1_S1_Ev13rocblas_fill_17rocblas_diagonal_iiT1_lPT2_llS7_llPT3_lli
; %bb.0:
	s_load_dwordx4 s[24:27], s[0:1], 0x10
	s_waitcnt lgkmcnt(0)
	v_cmp_neq_f64_e64 s[4:5], s[24:25], 0
	v_cmp_neq_f64_e64 s[6:7], s[26:27], 0
	s_or_b64 s[4:5], s[4:5], s[6:7]
	s_andn2_b64 vcc, exec, s[4:5]
	s_cbranch_vccnz .LBB133_15
; %bb.1:
	s_load_dwordx4 s[28:31], s[0:1], 0x0
	s_load_dwordx16 s[8:23], s[0:1], 0x28
	s_mov_b32 s4, 0
	s_mov_b32 s6, s4
	;; [unrolled: 1-line block ×3, first 2 shown]
	v_and_b32_e32 v5, 0x3ff, v0
	v_bfe_u32 v2, v0, 10, 10
	s_mov_b32 s5, s4
	v_mov_b64_e32 v[8:9], s[6:7]
	v_lshlrev_b32_e32 v3, 4, v2
	v_mov_b64_e32 v[6:7], s[4:5]
	s_waitcnt lgkmcnt(0)
	v_cmp_gt_i32_e64 s[4:5], s30, v2
	v_cmp_gt_i32_e32 vcc, s30, v5
	v_add_lshl_u32 v4, v3, v5, 4
	s_and_b64 s[6:7], s[4:5], vcc
	v_lshlrev_b32_e32 v0, 4, v5
	ds_write_b128 v4, v[6:9]
	ds_write_b128 v4, v[6:9] offset:4096
	s_and_saveexec_b64 s[4:5], s[6:7]
	s_cbranch_execz .LBB133_3
; %bb.2:
	s_mul_i32 s6, s13, s3
	s_mul_hi_u32 s7, s12, s3
	s_add_i32 s7, s7, s6
	s_mul_i32 s6, s12, s3
	s_lshl_b64 s[6:7], s[6:7], 4
	s_add_u32 s6, s8, s6
	s_addc_u32 s7, s9, s7
	v_mad_u64_u32 v[6:7], s[8:9], s10, v2, 0
	v_mov_b32_e32 v8, v7
	v_mad_u64_u32 v[8:9], s[8:9], s11, v2, v[8:9]
	v_mov_b32_e32 v7, v8
	v_lshl_add_u64 v[6:7], v[6:7], 4, s[6:7]
	v_mov_b32_e32 v1, 0
	v_lshl_add_u64 v[6:7], v[6:7], 0, v[0:1]
	global_load_dwordx4 v[6:9], v[6:7], off
	s_waitcnt vmcnt(0)
	ds_write2_b64 v4, v[6:7], v[8:9] offset1:1
.LBB133_3:
	s_or_b64 exec, exec, s[4:5]
	s_add_i32 s4, s31, -1
	s_ashr_i32 s5, s4, 31
	s_lshr_b32 s5, s5, 28
	s_add_i32 s4, s4, s5
	s_ashr_i32 s5, s4, 4
	s_and_b32 s4, s4, -16
	s_sub_i32 s4, s31, s4
	s_cmp_ge_i32 s2, s5
	s_cselect_b32 s4, s4, 16
	s_lshl_b32 s2, s2, 4
	v_cmp_gt_i32_e64 s[4:5], s4, v2
	s_ashr_i32 s10, s2, 31
	s_and_b64 s[4:5], vcc, s[4:5]
	s_and_saveexec_b64 s[6:7], s[4:5]
	s_cbranch_execz .LBB133_5
; %bb.4:
	s_mul_i32 s8, s19, s3
	s_mul_hi_u32 s9, s18, s3
	s_add_i32 s9, s9, s8
	s_mul_i32 s8, s18, s3
	s_lshl_b64 s[8:9], s[8:9], 4
	s_add_u32 s11, s14, s8
	s_addc_u32 s12, s15, s9
	s_mul_i32 s8, s16, s10
	s_mul_hi_u32 s9, s16, s2
	s_add_i32 s8, s9, s8
	s_mul_i32 s9, s17, s2
	s_add_i32 s9, s8, s9
	s_mul_i32 s8, s16, s2
	s_lshl_b64 s[8:9], s[8:9], 4
	s_add_u32 s8, s11, s8
	s_addc_u32 s9, s12, s9
	v_mad_u64_u32 v[6:7], s[12:13], s16, v2, 0
	v_mov_b32_e32 v8, v7
	v_mad_u64_u32 v[8:9], s[12:13], s17, v2, v[8:9]
	v_mov_b32_e32 v7, v8
	v_lshl_add_u64 v[6:7], v[6:7], 4, s[8:9]
	v_mov_b32_e32 v1, 0
	v_lshl_add_u64 v[6:7], v[6:7], 0, v[0:1]
	global_load_dwordx4 v[6:9], v[6:7], off
	v_add_u32_e32 v1, 0x1000, v4
	s_waitcnt vmcnt(0)
	ds_write2_b64 v1, v[6:7], v[8:9] offset1:1
.LBB133_5:
	s_or_b64 exec, exec, s[6:7]
	s_cmpk_eq_i32 s29, 0x84
	s_cselect_b64 s[6:7], -1, 0
	v_cmp_eq_u32_e32 vcc, v2, v5
	s_and_b64 s[8:9], vcc, s[6:7]
	s_and_saveexec_b64 s[6:7], s[8:9]
; %bb.6:
	v_mov_b32_e32 v6, 0
	v_mov_b32_e32 v7, 0x3ff00000
	v_mov_b32_e32 v8, v6
	v_mov_b32_e32 v9, v6
	ds_write_b128 v4, v[6:9]
; %bb.7:
	s_or_b64 exec, exec, s[6:7]
	s_cmpk_lg_i32 s28, 0x79
	s_cbranch_scc0 .LBB133_9
; %bb.8:
	v_cmp_lt_u32_e32 vcc, v5, v2
	s_and_b64 s[6:7], vcc, exec
	s_cbranch_execz .LBB133_10
	s_branch .LBB133_11
.LBB133_9:
	s_mov_b64 s[6:7], 0
.LBB133_10:
	v_cmp_gt_u32_e32 vcc, v5, v2
	s_andn2_b64 s[6:7], s[6:7], exec
	s_and_b64 s[8:9], vcc, exec
	s_or_b64 s[6:7], s[6:7], s[8:9]
.LBB133_11:
	s_and_saveexec_b64 s[8:9], s[6:7]
; %bb.12:
	v_mov_b32_e32 v6, 0
	v_mov_b32_e32 v7, v6
	;; [unrolled: 1-line block ×4, first 2 shown]
	ds_write_b128 v4, v[6:9]
; %bb.13:
	s_or_b64 exec, exec, s[8:9]
	s_waitcnt lgkmcnt(0)
	s_barrier
	s_and_saveexec_b64 s[6:7], s[4:5]
	s_cbranch_execz .LBB133_15
; %bb.14:
	v_lshlrev_b32_e32 v1, 4, v3
	ds_read_b128 v[4:7], v0
	ds_read_b128 v[8:11], v1 offset:4096
	ds_read_b128 v[12:15], v1 offset:4112
	;; [unrolled: 1-line block ×5, first 2 shown]
	s_waitcnt lgkmcnt(4)
	v_mul_f64 v[28:29], v[8:9], v[6:7]
	v_fmac_f64_e32 v[28:29], v[10:11], v[4:5]
	v_add_f64 v[36:37], v[28:29], 0
	ds_read_b128 v[28:31], v0 offset:512
	ds_read_b128 v[32:35], v0 offset:768
	s_waitcnt lgkmcnt(2)
	v_mul_f64 v[38:39], v[12:13], v[26:27]
	v_fmac_f64_e32 v[38:39], v[14:15], v[24:25]
	v_add_f64 v[36:37], v[36:37], v[38:39]
	s_waitcnt lgkmcnt(1)
	v_mul_f64 v[38:39], v[16:17], v[30:31]
	v_fmac_f64_e32 v[38:39], v[18:19], v[28:29]
	v_add_f64 v[52:53], v[36:37], v[38:39]
	ds_read_b128 v[36:39], v1 offset:4160
	ds_read_b128 v[40:43], v0 offset:1024
	;; [unrolled: 1-line block ×4, first 2 shown]
	s_waitcnt lgkmcnt(4)
	v_mul_f64 v[54:55], v[20:21], v[34:35]
	v_fmac_f64_e32 v[54:55], v[22:23], v[32:33]
	v_add_f64 v[52:53], v[52:53], v[54:55]
	s_waitcnt lgkmcnt(2)
	v_mul_f64 v[54:55], v[36:37], v[42:43]
	v_fmac_f64_e32 v[54:55], v[38:39], v[40:41]
	v_add_f64 v[52:53], v[52:53], v[54:55]
	s_waitcnt lgkmcnt(0)
	v_mul_f64 v[54:55], v[44:45], v[50:51]
	v_fmac_f64_e32 v[54:55], v[46:47], v[48:49]
	v_mul_f64 v[6:7], v[10:11], v[6:7]
	v_add_f64 v[56:57], v[52:53], v[54:55]
	ds_read_b128 v[52:55], v1 offset:4192
	v_fma_f64 v[58:59], v[8:9], v[4:5], -v[6:7]
	ds_read_b128 v[4:7], v0 offset:1536
	v_mul_f64 v[8:9], v[14:15], v[26:27]
	v_fma_f64 v[60:61], v[12:13], v[24:25], -v[8:9]
	ds_read_b128 v[8:11], v1 offset:4208
	ds_read_b128 v[12:15], v0 offset:1792
	v_mul_f64 v[18:19], v[18:19], v[30:31]
	v_mul_f64 v[22:23], v[22:23], v[34:35]
	v_fma_f64 v[62:63], v[16:17], v[28:29], -v[18:19]
	ds_read_b128 v[16:19], v1 offset:4224
	v_fma_f64 v[66:67], v[20:21], v[32:33], -v[22:23]
	ds_read_b128 v[20:23], v0 offset:2048
	s_waitcnt lgkmcnt(4)
	v_mul_f64 v[24:25], v[52:53], v[6:7]
	v_fmac_f64_e32 v[24:25], v[54:55], v[4:5]
	s_waitcnt lgkmcnt(2)
	v_mul_f64 v[64:65], v[8:9], v[14:15]
	v_add_f64 v[56:57], v[56:57], v[24:25]
	v_fmac_f64_e32 v[64:65], v[10:11], v[12:13]
	s_waitcnt lgkmcnt(0)
	v_mul_f64 v[34:35], v[16:17], v[22:23]
	v_mul_f64 v[24:25], v[38:39], v[42:43]
	v_add_f64 v[32:33], v[56:57], v[64:65]
	v_fmac_f64_e32 v[34:35], v[18:19], v[20:21]
	v_fma_f64 v[68:69], v[36:37], v[40:41], -v[24:25]
	ds_read_b128 v[24:27], v1 offset:4240
	ds_read_b128 v[28:31], v0 offset:2304
	v_add_f64 v[40:41], v[32:33], v[34:35]
	v_mul_f64 v[32:33], v[46:47], v[50:51]
	v_fma_f64 v[56:57], v[44:45], v[48:49], -v[32:33]
	ds_read_b128 v[32:35], v0 offset:2560
	v_mul_f64 v[6:7], v[54:55], v[6:7]
	v_fma_f64 v[52:53], v[52:53], v[4:5], -v[6:7]
	ds_read_b128 v[4:7], v1 offset:4256
	ds_read_b128 v[36:39], v1 offset:4272
	s_waitcnt lgkmcnt(3)
	v_mul_f64 v[42:43], v[24:25], v[30:31]
	v_fmac_f64_e32 v[42:43], v[26:27], v[28:29]
	v_mul_f64 v[10:11], v[10:11], v[14:15]
	s_waitcnt lgkmcnt(1)
	v_mul_f64 v[14:15], v[4:5], v[34:35]
	v_fma_f64 v[54:55], v[8:9], v[12:13], -v[10:11]
	v_add_f64 v[12:13], v[40:41], v[42:43]
	v_fmac_f64_e32 v[14:15], v[6:7], v[32:33]
	v_add_f64 v[58:59], v[58:59], 0
	ds_read_b128 v[8:11], v0 offset:2816
	v_add_f64 v[40:41], v[12:13], v[14:15]
	v_mul_f64 v[12:13], v[18:19], v[22:23]
	v_add_f64 v[58:59], v[58:59], v[60:61]
	v_fma_f64 v[64:65], v[16:17], v[20:21], -v[12:13]
	ds_read_b128 v[12:15], v1 offset:4288
	ds_read_b128 v[16:19], v0 offset:3072
	v_add_f64 v[58:59], v[58:59], v[62:63]
	v_add_f64 v[58:59], v[58:59], v[66:67]
	;; [unrolled: 1-line block ×4, first 2 shown]
	s_waitcnt lgkmcnt(2)
	v_mul_f64 v[42:43], v[36:37], v[10:11]
	v_mul_f64 v[20:21], v[26:27], v[30:31]
	v_add_f64 v[52:53], v[56:57], v[52:53]
	v_fmac_f64_e32 v[42:43], v[38:39], v[8:9]
	v_fma_f64 v[70:71], v[24:25], v[28:29], -v[20:21]
	ds_read_b128 v[20:23], v1 offset:4304
	ds_read_b128 v[24:27], v0 offset:3328
	s_waitcnt lgkmcnt(2)
	v_mul_f64 v[30:31], v[12:13], v[18:19]
	s_load_dwordx2 s[0:1], s[0:1], 0x68
	v_add_f64 v[52:53], v[52:53], v[54:55]
	v_add_f64 v[28:29], v[40:41], v[42:43]
	v_fmac_f64_e32 v[30:31], v[14:15], v[16:17]
	v_add_f64 v[52:53], v[52:53], v[64:65]
	v_mul_f64 v[6:7], v[6:7], v[34:35]
	v_add_f64 v[72:73], v[28:29], v[30:31]
	ds_read_b128 v[28:31], v1 offset:4320
	ds_read_b128 v[40:43], v0 offset:3584
	v_add_f64 v[52:53], v[52:53], v[70:71]
	v_fma_f64 v[4:5], v[4:5], v[32:33], -v[6:7]
	v_mul_f64 v[6:7], v[38:39], v[10:11]
	v_add_f64 v[4:5], v[52:53], v[4:5]
	v_fma_f64 v[6:7], v[36:37], v[8:9], -v[6:7]
	ds_read_b128 v[44:47], v1 offset:4336
	ds_read_b128 v[48:51], v0 offset:3840
	v_add_f64 v[4:5], v[4:5], v[6:7]
	v_mul_f64 v[6:7], v[14:15], v[18:19]
	s_waitcnt lgkmcnt(0)
	v_mul_f64 v[74:75], v[20:21], v[26:27]
	s_mul_i32 s1, s1, s3
	s_mul_hi_u32 s4, s0, s3
	v_fma_f64 v[6:7], v[12:13], v[16:17], -v[6:7]
	v_fmac_f64_e32 v[74:75], v[22:23], v[24:25]
	s_add_i32 s1, s4, s1
	s_mul_i32 s0, s0, s3
	v_add_f64 v[4:5], v[4:5], v[6:7]
	v_mul_f64 v[6:7], v[22:23], v[26:27]
	v_add_f64 v[72:73], v[72:73], v[74:75]
	v_mul_f64 v[74:75], v[28:29], v[42:43]
	s_lshl_b64 s[0:1], s[0:1], 4
	v_fma_f64 v[6:7], v[20:21], v[24:25], -v[6:7]
	v_fmac_f64_e32 v[74:75], v[30:31], v[40:41]
	s_add_u32 s3, s20, s0
	v_add_f64 v[4:5], v[4:5], v[6:7]
	v_mul_f64 v[6:7], v[30:31], v[42:43]
	v_add_f64 v[72:73], v[72:73], v[74:75]
	v_mul_f64 v[74:75], v[44:45], v[50:51]
	s_addc_u32 s4, s21, s1
	s_mul_i32 s0, s22, s10
	s_mul_hi_u32 s1, s22, s2
	v_fma_f64 v[6:7], v[28:29], v[40:41], -v[6:7]
	v_fmac_f64_e32 v[74:75], v[46:47], v[48:49]
	s_add_i32 s0, s1, s0
	s_mul_i32 s1, s23, s2
	v_add_f64 v[4:5], v[4:5], v[6:7]
	v_mul_f64 v[6:7], v[46:47], v[50:51]
	v_add_f64 v[72:73], v[72:73], v[74:75]
	s_add_i32 s1, s0, s1
	s_mul_i32 s0, s22, s2
	v_fma_f64 v[6:7], v[44:45], v[48:49], -v[6:7]
	s_lshl_b64 s[0:1], s[0:1], 4
	v_add_f64 v[4:5], v[4:5], v[6:7]
	v_mul_f64 v[6:7], s[24:25], v[72:73]
	v_mul_f64 v[8:9], s[26:27], v[72:73]
	s_add_u32 s0, s3, s0
	v_fmac_f64_e32 v[6:7], s[26:27], v[4:5]
	v_fma_f64 v[4:5], s[24:25], v[4:5], -v[8:9]
	v_mad_u64_u32 v[8:9], s[2:3], s22, v2, 0
	v_mov_b32_e32 v10, v9
	v_mad_u64_u32 v[2:3], s[2:3], s23, v2, v[10:11]
	s_addc_u32 s1, s4, s1
	v_mov_b32_e32 v9, v2
	v_lshl_add_u64 v[2:3], v[8:9], 4, s[0:1]
	v_mov_b32_e32 v1, 0
	v_lshl_add_u64 v[0:1], v[2:3], 0, v[0:1]
	global_store_dwordx4 v[0:1], v[4:7], off
.LBB133_15:
	s_endpgm
	.section	.rodata,"a",@progbits
	.p2align	6, 0x0
	.amdhsa_kernel _ZL23rocblas_trmm_lNx_kernelILi16E19rocblas_complex_numIdES1_KS1_S1_Ev13rocblas_fill_17rocblas_diagonal_iiT1_lPT2_llS7_llPT3_lli
		.amdhsa_group_segment_fixed_size 8192
		.amdhsa_private_segment_fixed_size 0
		.amdhsa_kernarg_size 116
		.amdhsa_user_sgpr_count 2
		.amdhsa_user_sgpr_dispatch_ptr 0
		.amdhsa_user_sgpr_queue_ptr 0
		.amdhsa_user_sgpr_kernarg_segment_ptr 1
		.amdhsa_user_sgpr_dispatch_id 0
		.amdhsa_user_sgpr_kernarg_preload_length 0
		.amdhsa_user_sgpr_kernarg_preload_offset 0
		.amdhsa_user_sgpr_private_segment_size 0
		.amdhsa_uses_dynamic_stack 0
		.amdhsa_enable_private_segment 0
		.amdhsa_system_sgpr_workgroup_id_x 1
		.amdhsa_system_sgpr_workgroup_id_y 0
		.amdhsa_system_sgpr_workgroup_id_z 1
		.amdhsa_system_sgpr_workgroup_info 0
		.amdhsa_system_vgpr_workitem_id 1
		.amdhsa_next_free_vgpr 76
		.amdhsa_next_free_sgpr 32
		.amdhsa_accum_offset 76
		.amdhsa_reserve_vcc 1
		.amdhsa_float_round_mode_32 0
		.amdhsa_float_round_mode_16_64 0
		.amdhsa_float_denorm_mode_32 3
		.amdhsa_float_denorm_mode_16_64 3
		.amdhsa_dx10_clamp 1
		.amdhsa_ieee_mode 1
		.amdhsa_fp16_overflow 0
		.amdhsa_tg_split 0
		.amdhsa_exception_fp_ieee_invalid_op 0
		.amdhsa_exception_fp_denorm_src 0
		.amdhsa_exception_fp_ieee_div_zero 0
		.amdhsa_exception_fp_ieee_overflow 0
		.amdhsa_exception_fp_ieee_underflow 0
		.amdhsa_exception_fp_ieee_inexact 0
		.amdhsa_exception_int_div_zero 0
	.end_amdhsa_kernel
	.section	.text._ZL23rocblas_trmm_lNx_kernelILi16E19rocblas_complex_numIdES1_KS1_S1_Ev13rocblas_fill_17rocblas_diagonal_iiT1_lPT2_llS7_llPT3_lli,"axG",@progbits,_ZL23rocblas_trmm_lNx_kernelILi16E19rocblas_complex_numIdES1_KS1_S1_Ev13rocblas_fill_17rocblas_diagonal_iiT1_lPT2_llS7_llPT3_lli,comdat
.Lfunc_end133:
	.size	_ZL23rocblas_trmm_lNx_kernelILi16E19rocblas_complex_numIdES1_KS1_S1_Ev13rocblas_fill_17rocblas_diagonal_iiT1_lPT2_llS7_llPT3_lli, .Lfunc_end133-_ZL23rocblas_trmm_lNx_kernelILi16E19rocblas_complex_numIdES1_KS1_S1_Ev13rocblas_fill_17rocblas_diagonal_iiT1_lPT2_llS7_llPT3_lli
                                        ; -- End function
	.set _ZL23rocblas_trmm_lNx_kernelILi16E19rocblas_complex_numIdES1_KS1_S1_Ev13rocblas_fill_17rocblas_diagonal_iiT1_lPT2_llS7_llPT3_lli.num_vgpr, 76
	.set _ZL23rocblas_trmm_lNx_kernelILi16E19rocblas_complex_numIdES1_KS1_S1_Ev13rocblas_fill_17rocblas_diagonal_iiT1_lPT2_llS7_llPT3_lli.num_agpr, 0
	.set _ZL23rocblas_trmm_lNx_kernelILi16E19rocblas_complex_numIdES1_KS1_S1_Ev13rocblas_fill_17rocblas_diagonal_iiT1_lPT2_llS7_llPT3_lli.numbered_sgpr, 32
	.set _ZL23rocblas_trmm_lNx_kernelILi16E19rocblas_complex_numIdES1_KS1_S1_Ev13rocblas_fill_17rocblas_diagonal_iiT1_lPT2_llS7_llPT3_lli.num_named_barrier, 0
	.set _ZL23rocblas_trmm_lNx_kernelILi16E19rocblas_complex_numIdES1_KS1_S1_Ev13rocblas_fill_17rocblas_diagonal_iiT1_lPT2_llS7_llPT3_lli.private_seg_size, 0
	.set _ZL23rocblas_trmm_lNx_kernelILi16E19rocblas_complex_numIdES1_KS1_S1_Ev13rocblas_fill_17rocblas_diagonal_iiT1_lPT2_llS7_llPT3_lli.uses_vcc, 1
	.set _ZL23rocblas_trmm_lNx_kernelILi16E19rocblas_complex_numIdES1_KS1_S1_Ev13rocblas_fill_17rocblas_diagonal_iiT1_lPT2_llS7_llPT3_lli.uses_flat_scratch, 0
	.set _ZL23rocblas_trmm_lNx_kernelILi16E19rocblas_complex_numIdES1_KS1_S1_Ev13rocblas_fill_17rocblas_diagonal_iiT1_lPT2_llS7_llPT3_lli.has_dyn_sized_stack, 0
	.set _ZL23rocblas_trmm_lNx_kernelILi16E19rocblas_complex_numIdES1_KS1_S1_Ev13rocblas_fill_17rocblas_diagonal_iiT1_lPT2_llS7_llPT3_lli.has_recursion, 0
	.set _ZL23rocblas_trmm_lNx_kernelILi16E19rocblas_complex_numIdES1_KS1_S1_Ev13rocblas_fill_17rocblas_diagonal_iiT1_lPT2_llS7_llPT3_lli.has_indirect_call, 0
	.section	.AMDGPU.csdata,"",@progbits
; Kernel info:
; codeLenInByte = 1776
; TotalNumSgprs: 38
; NumVgprs: 76
; NumAgprs: 0
; TotalNumVgprs: 76
; ScratchSize: 0
; MemoryBound: 0
; FloatMode: 240
; IeeeMode: 1
; LDSByteSize: 8192 bytes/workgroup (compile time only)
; SGPRBlocks: 4
; VGPRBlocks: 9
; NumSGPRsForWavesPerEU: 38
; NumVGPRsForWavesPerEU: 76
; AccumOffset: 76
; Occupancy: 6
; WaveLimiterHint : 0
; COMPUTE_PGM_RSRC2:SCRATCH_EN: 0
; COMPUTE_PGM_RSRC2:USER_SGPR: 2
; COMPUTE_PGM_RSRC2:TRAP_HANDLER: 0
; COMPUTE_PGM_RSRC2:TGID_X_EN: 1
; COMPUTE_PGM_RSRC2:TGID_Y_EN: 0
; COMPUTE_PGM_RSRC2:TGID_Z_EN: 1
; COMPUTE_PGM_RSRC2:TIDIG_COMP_CNT: 1
; COMPUTE_PGM_RSRC3_GFX90A:ACCUM_OFFSET: 18
; COMPUTE_PGM_RSRC3_GFX90A:TG_SPLIT: 0
	.section	.text._ZL23rocblas_trmm_lTx_kernelILi16ELb0E19rocblas_complex_numIdEPKS1_S2_S1_Ev13rocblas_fill_17rocblas_diagonal_iiT2_lPT3_llS8_llPT4_lli,"axG",@progbits,_ZL23rocblas_trmm_lTx_kernelILi16ELb0E19rocblas_complex_numIdEPKS1_S2_S1_Ev13rocblas_fill_17rocblas_diagonal_iiT2_lPT3_llS8_llPT4_lli,comdat
	.globl	_ZL23rocblas_trmm_lTx_kernelILi16ELb0E19rocblas_complex_numIdEPKS1_S2_S1_Ev13rocblas_fill_17rocblas_diagonal_iiT2_lPT3_llS8_llPT4_lli ; -- Begin function _ZL23rocblas_trmm_lTx_kernelILi16ELb0E19rocblas_complex_numIdEPKS1_S2_S1_Ev13rocblas_fill_17rocblas_diagonal_iiT2_lPT3_llS8_llPT4_lli
	.p2align	8
	.type	_ZL23rocblas_trmm_lTx_kernelILi16ELb0E19rocblas_complex_numIdEPKS1_S2_S1_Ev13rocblas_fill_17rocblas_diagonal_iiT2_lPT3_llS8_llPT4_lli,@function
_ZL23rocblas_trmm_lTx_kernelILi16ELb0E19rocblas_complex_numIdEPKS1_S2_S1_Ev13rocblas_fill_17rocblas_diagonal_iiT2_lPT3_llS8_llPT4_lli: ; @_ZL23rocblas_trmm_lTx_kernelILi16ELb0E19rocblas_complex_numIdEPKS1_S2_S1_Ev13rocblas_fill_17rocblas_diagonal_iiT2_lPT3_llS8_llPT4_lli
; %bb.0:
	s_load_dwordx16 s[4:19], s[0:1], 0x10
	s_waitcnt lgkmcnt(0)
	s_mul_i32 s7, s7, s3
	s_mul_hi_u32 s20, s6, s3
	s_add_i32 s7, s20, s7
	s_mul_i32 s6, s6, s3
	s_lshl_b64 s[6:7], s[6:7], 4
	s_add_u32 s4, s4, s6
	s_addc_u32 s5, s5, s7
	s_load_dwordx4 s[20:23], s[4:5], 0x0
	s_waitcnt lgkmcnt(0)
	v_cmp_neq_f64_e64 s[4:5], s[20:21], 0
	v_cmp_neq_f64_e64 s[6:7], s[22:23], 0
	s_or_b64 s[4:5], s[4:5], s[6:7]
	s_andn2_b64 vcc, exec, s[4:5]
	s_cbranch_vccnz .LBB134_15
; %bb.1:
	s_load_dwordx4 s[24:27], s[0:1], 0x0
	s_mov_b32 s4, 0
	s_mov_b32 s6, s4
	;; [unrolled: 1-line block ×3, first 2 shown]
	v_and_b32_e32 v5, 0x3ff, v0
	v_bfe_u32 v2, v0, 10, 10
	s_mov_b32 s5, s4
	v_mov_b64_e32 v[8:9], s[6:7]
	v_lshlrev_b32_e32 v3, 4, v2
	v_mov_b64_e32 v[6:7], s[4:5]
	s_waitcnt lgkmcnt(0)
	v_cmp_gt_i32_e64 s[4:5], s26, v2
	v_cmp_gt_i32_e32 vcc, s26, v5
	v_add_lshl_u32 v4, v3, v5, 4
	s_and_b64 s[6:7], s[4:5], vcc
	v_lshlrev_b32_e32 v0, 4, v5
	ds_write_b128 v4, v[6:9]
	ds_write_b128 v4, v[6:9] offset:4096
	s_waitcnt lgkmcnt(0)
	s_barrier
	s_and_saveexec_b64 s[4:5], s[6:7]
	s_cbranch_execz .LBB134_3
; %bb.2:
	s_mul_i32 s6, s13, s3
	s_mul_hi_u32 s7, s12, s3
	s_add_i32 s7, s7, s6
	s_mul_i32 s6, s12, s3
	s_lshl_b64 s[6:7], s[6:7], 4
	s_add_u32 s6, s8, s6
	s_addc_u32 s7, s9, s7
	v_mad_u64_u32 v[6:7], s[8:9], s10, v2, 0
	v_mov_b32_e32 v8, v7
	v_mad_u64_u32 v[8:9], s[8:9], s11, v2, v[8:9]
	v_mov_b32_e32 v7, v8
	v_lshl_add_u64 v[6:7], v[6:7], 4, s[6:7]
	v_mov_b32_e32 v1, 0
	v_lshl_add_u64 v[6:7], v[6:7], 0, v[0:1]
	global_load_dwordx4 v[6:9], v[6:7], off
	v_lshl_add_u32 v1, v5, 8, v3
	s_waitcnt vmcnt(0)
	ds_write2_b64 v1, v[6:7], v[8:9] offset1:1
.LBB134_3:
	s_or_b64 exec, exec, s[4:5]
	s_add_i32 s4, s27, -1
	s_ashr_i32 s5, s4, 31
	s_lshr_b32 s5, s5, 28
	s_add_i32 s4, s4, s5
	s_ashr_i32 s5, s4, 4
	s_and_b32 s4, s4, -16
	s_sub_i32 s4, s27, s4
	s_cmp_ge_i32 s2, s5
	s_cselect_b32 s4, s4, 16
	s_lshl_b32 s2, s2, 4
	v_cmp_gt_i32_e64 s[4:5], s4, v2
	s_ashr_i32 s10, s2, 31
	s_and_b64 s[4:5], vcc, s[4:5]
	s_and_saveexec_b64 s[6:7], s[4:5]
	s_cbranch_execz .LBB134_5
; %bb.4:
	s_mul_i32 s8, s19, s3
	s_mul_hi_u32 s9, s18, s3
	s_add_i32 s9, s9, s8
	s_mul_i32 s8, s18, s3
	s_lshl_b64 s[8:9], s[8:9], 4
	s_add_u32 s11, s14, s8
	s_addc_u32 s12, s15, s9
	s_mul_i32 s8, s16, s10
	s_mul_hi_u32 s9, s16, s2
	s_add_i32 s8, s9, s8
	s_mul_i32 s9, s17, s2
	s_add_i32 s9, s8, s9
	s_mul_i32 s8, s16, s2
	s_lshl_b64 s[8:9], s[8:9], 4
	s_add_u32 s8, s11, s8
	s_addc_u32 s9, s12, s9
	v_mad_u64_u32 v[6:7], s[12:13], s16, v2, 0
	v_mov_b32_e32 v8, v7
	v_mad_u64_u32 v[8:9], s[12:13], s17, v2, v[8:9]
	v_mov_b32_e32 v7, v8
	v_lshl_add_u64 v[6:7], v[6:7], 4, s[8:9]
	v_mov_b32_e32 v1, 0
	v_lshl_add_u64 v[6:7], v[6:7], 0, v[0:1]
	global_load_dwordx4 v[6:9], v[6:7], off
	v_add_u32_e32 v1, 0x1000, v4
	s_waitcnt vmcnt(0)
	ds_write2_b64 v1, v[6:7], v[8:9] offset1:1
.LBB134_5:
	s_or_b64 exec, exec, s[6:7]
	s_cmpk_eq_i32 s25, 0x84
	s_cselect_b64 s[6:7], -1, 0
	v_cmp_eq_u32_e32 vcc, v2, v5
	s_and_b64 s[8:9], vcc, s[6:7]
	s_and_saveexec_b64 s[6:7], s[8:9]
; %bb.6:
	v_mov_b32_e32 v6, 0
	v_mov_b32_e32 v7, 0x3ff00000
	;; [unrolled: 1-line block ×4, first 2 shown]
	ds_write_b128 v4, v[6:9]
; %bb.7:
	s_or_b64 exec, exec, s[6:7]
	s_cmpk_lg_i32 s24, 0x7a
	s_waitcnt lgkmcnt(0)
	s_barrier
	s_cbranch_scc0 .LBB134_9
; %bb.8:
	v_cmp_lt_u32_e32 vcc, v5, v2
	s_and_b64 s[6:7], vcc, exec
	s_cbranch_execz .LBB134_10
	s_branch .LBB134_11
.LBB134_9:
	s_mov_b64 s[6:7], 0
.LBB134_10:
	v_cmp_gt_u32_e32 vcc, v5, v2
	s_andn2_b64 s[6:7], s[6:7], exec
	s_and_b64 s[8:9], vcc, exec
	s_or_b64 s[6:7], s[6:7], s[8:9]
.LBB134_11:
	s_and_saveexec_b64 s[8:9], s[6:7]
; %bb.12:
	v_mov_b32_e32 v6, 0
	v_mov_b32_e32 v7, v6
	;; [unrolled: 1-line block ×4, first 2 shown]
	ds_write_b128 v4, v[6:9]
; %bb.13:
	s_or_b64 exec, exec, s[8:9]
	s_waitcnt lgkmcnt(0)
	s_barrier
	s_and_saveexec_b64 s[6:7], s[4:5]
	s_cbranch_execz .LBB134_15
; %bb.14:
	v_lshlrev_b32_e32 v1, 4, v3
	ds_read_b128 v[4:7], v0
	ds_read_b128 v[8:11], v1 offset:4096
	ds_read_b128 v[12:15], v1 offset:4112
	ds_read_b128 v[16:19], v1 offset:4128
	ds_read_b128 v[20:23], v1 offset:4144
	ds_read_b128 v[24:27], v0 offset:256
	s_waitcnt lgkmcnt(4)
	v_mul_f64 v[28:29], v[8:9], v[6:7]
	v_fmac_f64_e32 v[28:29], v[10:11], v[4:5]
	v_add_f64 v[36:37], v[28:29], 0
	ds_read_b128 v[28:31], v0 offset:512
	ds_read_b128 v[32:35], v0 offset:768
	s_waitcnt lgkmcnt(2)
	v_mul_f64 v[38:39], v[12:13], v[26:27]
	v_fmac_f64_e32 v[38:39], v[14:15], v[24:25]
	v_add_f64 v[36:37], v[36:37], v[38:39]
	s_waitcnt lgkmcnt(1)
	v_mul_f64 v[38:39], v[16:17], v[30:31]
	v_fmac_f64_e32 v[38:39], v[18:19], v[28:29]
	v_add_f64 v[52:53], v[36:37], v[38:39]
	ds_read_b128 v[36:39], v1 offset:4160
	ds_read_b128 v[40:43], v0 offset:1024
	;; [unrolled: 1-line block ×4, first 2 shown]
	s_waitcnt lgkmcnt(4)
	v_mul_f64 v[54:55], v[20:21], v[34:35]
	v_fmac_f64_e32 v[54:55], v[22:23], v[32:33]
	v_add_f64 v[52:53], v[52:53], v[54:55]
	s_waitcnt lgkmcnt(2)
	v_mul_f64 v[54:55], v[36:37], v[42:43]
	v_fmac_f64_e32 v[54:55], v[38:39], v[40:41]
	v_add_f64 v[52:53], v[52:53], v[54:55]
	s_waitcnt lgkmcnt(0)
	v_mul_f64 v[54:55], v[44:45], v[50:51]
	v_fmac_f64_e32 v[54:55], v[46:47], v[48:49]
	v_mul_f64 v[6:7], v[10:11], v[6:7]
	v_add_f64 v[56:57], v[52:53], v[54:55]
	ds_read_b128 v[52:55], v1 offset:4192
	v_fma_f64 v[58:59], v[8:9], v[4:5], -v[6:7]
	ds_read_b128 v[4:7], v0 offset:1536
	v_mul_f64 v[8:9], v[14:15], v[26:27]
	v_fma_f64 v[60:61], v[12:13], v[24:25], -v[8:9]
	ds_read_b128 v[8:11], v1 offset:4208
	ds_read_b128 v[12:15], v0 offset:1792
	v_mul_f64 v[18:19], v[18:19], v[30:31]
	v_mul_f64 v[22:23], v[22:23], v[34:35]
	v_fma_f64 v[62:63], v[16:17], v[28:29], -v[18:19]
	ds_read_b128 v[16:19], v1 offset:4224
	v_fma_f64 v[66:67], v[20:21], v[32:33], -v[22:23]
	ds_read_b128 v[20:23], v0 offset:2048
	s_waitcnt lgkmcnt(4)
	v_mul_f64 v[24:25], v[52:53], v[6:7]
	v_fmac_f64_e32 v[24:25], v[54:55], v[4:5]
	s_waitcnt lgkmcnt(2)
	v_mul_f64 v[64:65], v[8:9], v[14:15]
	v_add_f64 v[56:57], v[56:57], v[24:25]
	v_fmac_f64_e32 v[64:65], v[10:11], v[12:13]
	s_waitcnt lgkmcnt(0)
	v_mul_f64 v[34:35], v[16:17], v[22:23]
	v_mul_f64 v[24:25], v[38:39], v[42:43]
	v_add_f64 v[32:33], v[56:57], v[64:65]
	v_fmac_f64_e32 v[34:35], v[18:19], v[20:21]
	v_fma_f64 v[68:69], v[36:37], v[40:41], -v[24:25]
	ds_read_b128 v[24:27], v1 offset:4240
	ds_read_b128 v[28:31], v0 offset:2304
	v_add_f64 v[40:41], v[32:33], v[34:35]
	v_mul_f64 v[32:33], v[46:47], v[50:51]
	v_fma_f64 v[56:57], v[44:45], v[48:49], -v[32:33]
	ds_read_b128 v[32:35], v0 offset:2560
	v_mul_f64 v[6:7], v[54:55], v[6:7]
	v_fma_f64 v[52:53], v[52:53], v[4:5], -v[6:7]
	ds_read_b128 v[4:7], v1 offset:4256
	ds_read_b128 v[36:39], v1 offset:4272
	s_waitcnt lgkmcnt(3)
	v_mul_f64 v[42:43], v[24:25], v[30:31]
	v_fmac_f64_e32 v[42:43], v[26:27], v[28:29]
	v_mul_f64 v[10:11], v[10:11], v[14:15]
	s_waitcnt lgkmcnt(1)
	v_mul_f64 v[14:15], v[4:5], v[34:35]
	v_fma_f64 v[54:55], v[8:9], v[12:13], -v[10:11]
	v_add_f64 v[12:13], v[40:41], v[42:43]
	v_fmac_f64_e32 v[14:15], v[6:7], v[32:33]
	v_add_f64 v[58:59], v[58:59], 0
	ds_read_b128 v[8:11], v0 offset:2816
	v_add_f64 v[40:41], v[12:13], v[14:15]
	v_mul_f64 v[12:13], v[18:19], v[22:23]
	v_add_f64 v[58:59], v[58:59], v[60:61]
	v_fma_f64 v[64:65], v[16:17], v[20:21], -v[12:13]
	ds_read_b128 v[12:15], v1 offset:4288
	ds_read_b128 v[16:19], v0 offset:3072
	v_add_f64 v[58:59], v[58:59], v[62:63]
	v_add_f64 v[58:59], v[58:59], v[66:67]
	;; [unrolled: 1-line block ×4, first 2 shown]
	s_waitcnt lgkmcnt(2)
	v_mul_f64 v[42:43], v[36:37], v[10:11]
	v_mul_f64 v[20:21], v[26:27], v[30:31]
	v_add_f64 v[52:53], v[56:57], v[52:53]
	v_fmac_f64_e32 v[42:43], v[38:39], v[8:9]
	v_fma_f64 v[70:71], v[24:25], v[28:29], -v[20:21]
	ds_read_b128 v[20:23], v1 offset:4304
	ds_read_b128 v[24:27], v0 offset:3328
	s_waitcnt lgkmcnt(2)
	v_mul_f64 v[30:31], v[12:13], v[18:19]
	s_load_dwordx2 s[8:9], s[0:1], 0x60
	s_load_dwordx4 s[4:7], s[0:1], 0x50
	v_add_f64 v[52:53], v[52:53], v[54:55]
	v_add_f64 v[28:29], v[40:41], v[42:43]
	v_fmac_f64_e32 v[30:31], v[14:15], v[16:17]
	v_add_f64 v[52:53], v[52:53], v[64:65]
	v_mul_f64 v[6:7], v[6:7], v[34:35]
	v_add_f64 v[72:73], v[28:29], v[30:31]
	ds_read_b128 v[28:31], v1 offset:4320
	ds_read_b128 v[40:43], v0 offset:3584
	v_add_f64 v[52:53], v[52:53], v[70:71]
	v_fma_f64 v[4:5], v[4:5], v[32:33], -v[6:7]
	v_mul_f64 v[6:7], v[38:39], v[10:11]
	v_add_f64 v[4:5], v[52:53], v[4:5]
	v_fma_f64 v[6:7], v[36:37], v[8:9], -v[6:7]
	ds_read_b128 v[44:47], v1 offset:4336
	ds_read_b128 v[48:51], v0 offset:3840
	v_add_f64 v[4:5], v[4:5], v[6:7]
	v_mul_f64 v[6:7], v[14:15], v[18:19]
	s_waitcnt lgkmcnt(0)
	v_mul_f64 v[74:75], v[20:21], v[26:27]
	s_mul_i32 s0, s9, s3
	s_mul_hi_u32 s1, s8, s3
	v_fma_f64 v[6:7], v[12:13], v[16:17], -v[6:7]
	v_fmac_f64_e32 v[74:75], v[22:23], v[24:25]
	s_add_i32 s1, s1, s0
	s_mul_i32 s0, s8, s3
	v_add_f64 v[4:5], v[4:5], v[6:7]
	v_mul_f64 v[6:7], v[22:23], v[26:27]
	v_add_f64 v[72:73], v[72:73], v[74:75]
	v_mul_f64 v[74:75], v[28:29], v[42:43]
	s_lshl_b64 s[0:1], s[0:1], 4
	v_fma_f64 v[6:7], v[20:21], v[24:25], -v[6:7]
	v_fmac_f64_e32 v[74:75], v[30:31], v[40:41]
	s_add_u32 s3, s4, s0
	v_add_f64 v[4:5], v[4:5], v[6:7]
	v_mul_f64 v[6:7], v[30:31], v[42:43]
	v_add_f64 v[72:73], v[72:73], v[74:75]
	v_mul_f64 v[74:75], v[44:45], v[50:51]
	s_addc_u32 s4, s5, s1
	s_mul_i32 s0, s6, s10
	s_mul_hi_u32 s1, s6, s2
	v_fma_f64 v[6:7], v[28:29], v[40:41], -v[6:7]
	v_fmac_f64_e32 v[74:75], v[46:47], v[48:49]
	s_add_i32 s0, s1, s0
	s_mul_i32 s1, s7, s2
	v_add_f64 v[4:5], v[4:5], v[6:7]
	v_mul_f64 v[6:7], v[46:47], v[50:51]
	v_add_f64 v[72:73], v[72:73], v[74:75]
	s_add_i32 s1, s0, s1
	s_mul_i32 s0, s6, s2
	v_fma_f64 v[6:7], v[44:45], v[48:49], -v[6:7]
	s_lshl_b64 s[0:1], s[0:1], 4
	v_add_f64 v[4:5], v[4:5], v[6:7]
	v_mul_f64 v[6:7], s[20:21], v[72:73]
	v_mul_f64 v[8:9], s[22:23], v[72:73]
	s_add_u32 s0, s3, s0
	v_fmac_f64_e32 v[6:7], s[22:23], v[4:5]
	v_fma_f64 v[4:5], s[20:21], v[4:5], -v[8:9]
	v_mad_u64_u32 v[8:9], s[2:3], s6, v2, 0
	v_mov_b32_e32 v10, v9
	v_mad_u64_u32 v[2:3], s[2:3], s7, v2, v[10:11]
	s_addc_u32 s1, s4, s1
	v_mov_b32_e32 v9, v2
	v_lshl_add_u64 v[2:3], v[8:9], 4, s[0:1]
	v_mov_b32_e32 v1, 0
	v_lshl_add_u64 v[0:1], v[2:3], 0, v[0:1]
	global_store_dwordx4 v[0:1], v[4:7], off
.LBB134_15:
	s_endpgm
	.section	.rodata,"a",@progbits
	.p2align	6, 0x0
	.amdhsa_kernel _ZL23rocblas_trmm_lTx_kernelILi16ELb0E19rocblas_complex_numIdEPKS1_S2_S1_Ev13rocblas_fill_17rocblas_diagonal_iiT2_lPT3_llS8_llPT4_lli
		.amdhsa_group_segment_fixed_size 8192
		.amdhsa_private_segment_fixed_size 0
		.amdhsa_kernarg_size 108
		.amdhsa_user_sgpr_count 2
		.amdhsa_user_sgpr_dispatch_ptr 0
		.amdhsa_user_sgpr_queue_ptr 0
		.amdhsa_user_sgpr_kernarg_segment_ptr 1
		.amdhsa_user_sgpr_dispatch_id 0
		.amdhsa_user_sgpr_kernarg_preload_length 0
		.amdhsa_user_sgpr_kernarg_preload_offset 0
		.amdhsa_user_sgpr_private_segment_size 0
		.amdhsa_uses_dynamic_stack 0
		.amdhsa_enable_private_segment 0
		.amdhsa_system_sgpr_workgroup_id_x 1
		.amdhsa_system_sgpr_workgroup_id_y 0
		.amdhsa_system_sgpr_workgroup_id_z 1
		.amdhsa_system_sgpr_workgroup_info 0
		.amdhsa_system_vgpr_workitem_id 1
		.amdhsa_next_free_vgpr 76
		.amdhsa_next_free_sgpr 28
		.amdhsa_accum_offset 76
		.amdhsa_reserve_vcc 1
		.amdhsa_float_round_mode_32 0
		.amdhsa_float_round_mode_16_64 0
		.amdhsa_float_denorm_mode_32 3
		.amdhsa_float_denorm_mode_16_64 3
		.amdhsa_dx10_clamp 1
		.amdhsa_ieee_mode 1
		.amdhsa_fp16_overflow 0
		.amdhsa_tg_split 0
		.amdhsa_exception_fp_ieee_invalid_op 0
		.amdhsa_exception_fp_denorm_src 0
		.amdhsa_exception_fp_ieee_div_zero 0
		.amdhsa_exception_fp_ieee_overflow 0
		.amdhsa_exception_fp_ieee_underflow 0
		.amdhsa_exception_fp_ieee_inexact 0
		.amdhsa_exception_int_div_zero 0
	.end_amdhsa_kernel
	.section	.text._ZL23rocblas_trmm_lTx_kernelILi16ELb0E19rocblas_complex_numIdEPKS1_S2_S1_Ev13rocblas_fill_17rocblas_diagonal_iiT2_lPT3_llS8_llPT4_lli,"axG",@progbits,_ZL23rocblas_trmm_lTx_kernelILi16ELb0E19rocblas_complex_numIdEPKS1_S2_S1_Ev13rocblas_fill_17rocblas_diagonal_iiT2_lPT3_llS8_llPT4_lli,comdat
.Lfunc_end134:
	.size	_ZL23rocblas_trmm_lTx_kernelILi16ELb0E19rocblas_complex_numIdEPKS1_S2_S1_Ev13rocblas_fill_17rocblas_diagonal_iiT2_lPT3_llS8_llPT4_lli, .Lfunc_end134-_ZL23rocblas_trmm_lTx_kernelILi16ELb0E19rocblas_complex_numIdEPKS1_S2_S1_Ev13rocblas_fill_17rocblas_diagonal_iiT2_lPT3_llS8_llPT4_lli
                                        ; -- End function
	.set _ZL23rocblas_trmm_lTx_kernelILi16ELb0E19rocblas_complex_numIdEPKS1_S2_S1_Ev13rocblas_fill_17rocblas_diagonal_iiT2_lPT3_llS8_llPT4_lli.num_vgpr, 76
	.set _ZL23rocblas_trmm_lTx_kernelILi16ELb0E19rocblas_complex_numIdEPKS1_S2_S1_Ev13rocblas_fill_17rocblas_diagonal_iiT2_lPT3_llS8_llPT4_lli.num_agpr, 0
	.set _ZL23rocblas_trmm_lTx_kernelILi16ELb0E19rocblas_complex_numIdEPKS1_S2_S1_Ev13rocblas_fill_17rocblas_diagonal_iiT2_lPT3_llS8_llPT4_lli.numbered_sgpr, 28
	.set _ZL23rocblas_trmm_lTx_kernelILi16ELb0E19rocblas_complex_numIdEPKS1_S2_S1_Ev13rocblas_fill_17rocblas_diagonal_iiT2_lPT3_llS8_llPT4_lli.num_named_barrier, 0
	.set _ZL23rocblas_trmm_lTx_kernelILi16ELb0E19rocblas_complex_numIdEPKS1_S2_S1_Ev13rocblas_fill_17rocblas_diagonal_iiT2_lPT3_llS8_llPT4_lli.private_seg_size, 0
	.set _ZL23rocblas_trmm_lTx_kernelILi16ELb0E19rocblas_complex_numIdEPKS1_S2_S1_Ev13rocblas_fill_17rocblas_diagonal_iiT2_lPT3_llS8_llPT4_lli.uses_vcc, 1
	.set _ZL23rocblas_trmm_lTx_kernelILi16ELb0E19rocblas_complex_numIdEPKS1_S2_S1_Ev13rocblas_fill_17rocblas_diagonal_iiT2_lPT3_llS8_llPT4_lli.uses_flat_scratch, 0
	.set _ZL23rocblas_trmm_lTx_kernelILi16ELb0E19rocblas_complex_numIdEPKS1_S2_S1_Ev13rocblas_fill_17rocblas_diagonal_iiT2_lPT3_llS8_llPT4_lli.has_dyn_sized_stack, 0
	.set _ZL23rocblas_trmm_lTx_kernelILi16ELb0E19rocblas_complex_numIdEPKS1_S2_S1_Ev13rocblas_fill_17rocblas_diagonal_iiT2_lPT3_llS8_llPT4_lli.has_recursion, 0
	.set _ZL23rocblas_trmm_lTx_kernelILi16ELb0E19rocblas_complex_numIdEPKS1_S2_S1_Ev13rocblas_fill_17rocblas_diagonal_iiT2_lPT3_llS8_llPT4_lli.has_indirect_call, 0
	.section	.AMDGPU.csdata,"",@progbits
; Kernel info:
; codeLenInByte = 1840
; TotalNumSgprs: 34
; NumVgprs: 76
; NumAgprs: 0
; TotalNumVgprs: 76
; ScratchSize: 0
; MemoryBound: 0
; FloatMode: 240
; IeeeMode: 1
; LDSByteSize: 8192 bytes/workgroup (compile time only)
; SGPRBlocks: 4
; VGPRBlocks: 9
; NumSGPRsForWavesPerEU: 34
; NumVGPRsForWavesPerEU: 76
; AccumOffset: 76
; Occupancy: 6
; WaveLimiterHint : 0
; COMPUTE_PGM_RSRC2:SCRATCH_EN: 0
; COMPUTE_PGM_RSRC2:USER_SGPR: 2
; COMPUTE_PGM_RSRC2:TRAP_HANDLER: 0
; COMPUTE_PGM_RSRC2:TGID_X_EN: 1
; COMPUTE_PGM_RSRC2:TGID_Y_EN: 0
; COMPUTE_PGM_RSRC2:TGID_Z_EN: 1
; COMPUTE_PGM_RSRC2:TIDIG_COMP_CNT: 1
; COMPUTE_PGM_RSRC3_GFX90A:ACCUM_OFFSET: 18
; COMPUTE_PGM_RSRC3_GFX90A:TG_SPLIT: 0
	.section	.text._ZL23rocblas_trmm_lTx_kernelILi16ELb0E19rocblas_complex_numIdES1_KS1_S1_Ev13rocblas_fill_17rocblas_diagonal_iiT2_lPT3_llS7_llPT4_lli,"axG",@progbits,_ZL23rocblas_trmm_lTx_kernelILi16ELb0E19rocblas_complex_numIdES1_KS1_S1_Ev13rocblas_fill_17rocblas_diagonal_iiT2_lPT3_llS7_llPT4_lli,comdat
	.globl	_ZL23rocblas_trmm_lTx_kernelILi16ELb0E19rocblas_complex_numIdES1_KS1_S1_Ev13rocblas_fill_17rocblas_diagonal_iiT2_lPT3_llS7_llPT4_lli ; -- Begin function _ZL23rocblas_trmm_lTx_kernelILi16ELb0E19rocblas_complex_numIdES1_KS1_S1_Ev13rocblas_fill_17rocblas_diagonal_iiT2_lPT3_llS7_llPT4_lli
	.p2align	8
	.type	_ZL23rocblas_trmm_lTx_kernelILi16ELb0E19rocblas_complex_numIdES1_KS1_S1_Ev13rocblas_fill_17rocblas_diagonal_iiT2_lPT3_llS7_llPT4_lli,@function
_ZL23rocblas_trmm_lTx_kernelILi16ELb0E19rocblas_complex_numIdES1_KS1_S1_Ev13rocblas_fill_17rocblas_diagonal_iiT2_lPT3_llS7_llPT4_lli: ; @_ZL23rocblas_trmm_lTx_kernelILi16ELb0E19rocblas_complex_numIdES1_KS1_S1_Ev13rocblas_fill_17rocblas_diagonal_iiT2_lPT3_llS7_llPT4_lli
; %bb.0:
	s_load_dwordx4 s[24:27], s[0:1], 0x10
	s_waitcnt lgkmcnt(0)
	v_cmp_neq_f64_e64 s[4:5], s[24:25], 0
	v_cmp_neq_f64_e64 s[6:7], s[26:27], 0
	s_or_b64 s[4:5], s[4:5], s[6:7]
	s_andn2_b64 vcc, exec, s[4:5]
	s_cbranch_vccnz .LBB135_15
; %bb.1:
	s_load_dwordx4 s[28:31], s[0:1], 0x0
	s_load_dwordx16 s[8:23], s[0:1], 0x28
	s_mov_b32 s4, 0
	s_mov_b32 s6, s4
	;; [unrolled: 1-line block ×3, first 2 shown]
	v_and_b32_e32 v5, 0x3ff, v0
	v_bfe_u32 v2, v0, 10, 10
	s_mov_b32 s5, s4
	v_mov_b64_e32 v[8:9], s[6:7]
	v_lshlrev_b32_e32 v3, 4, v2
	v_mov_b64_e32 v[6:7], s[4:5]
	s_waitcnt lgkmcnt(0)
	v_cmp_gt_i32_e64 s[4:5], s30, v2
	v_cmp_gt_i32_e32 vcc, s30, v5
	v_add_lshl_u32 v4, v3, v5, 4
	s_and_b64 s[6:7], s[4:5], vcc
	v_lshlrev_b32_e32 v0, 4, v5
	ds_write_b128 v4, v[6:9]
	ds_write_b128 v4, v[6:9] offset:4096
	s_waitcnt lgkmcnt(0)
	s_barrier
	s_and_saveexec_b64 s[4:5], s[6:7]
	s_cbranch_execz .LBB135_3
; %bb.2:
	s_mul_i32 s6, s13, s3
	s_mul_hi_u32 s7, s12, s3
	s_add_i32 s7, s7, s6
	s_mul_i32 s6, s12, s3
	s_lshl_b64 s[6:7], s[6:7], 4
	s_add_u32 s6, s8, s6
	s_addc_u32 s7, s9, s7
	v_mad_u64_u32 v[6:7], s[8:9], s10, v2, 0
	v_mov_b32_e32 v8, v7
	v_mad_u64_u32 v[8:9], s[8:9], s11, v2, v[8:9]
	v_mov_b32_e32 v7, v8
	v_lshl_add_u64 v[6:7], v[6:7], 4, s[6:7]
	v_mov_b32_e32 v1, 0
	v_lshl_add_u64 v[6:7], v[6:7], 0, v[0:1]
	global_load_dwordx4 v[6:9], v[6:7], off
	v_lshl_add_u32 v1, v5, 8, v3
	s_waitcnt vmcnt(0)
	ds_write2_b64 v1, v[6:7], v[8:9] offset1:1
.LBB135_3:
	s_or_b64 exec, exec, s[4:5]
	s_add_i32 s4, s31, -1
	s_ashr_i32 s5, s4, 31
	s_lshr_b32 s5, s5, 28
	s_add_i32 s4, s4, s5
	s_ashr_i32 s5, s4, 4
	s_and_b32 s4, s4, -16
	s_sub_i32 s4, s31, s4
	s_cmp_ge_i32 s2, s5
	s_cselect_b32 s4, s4, 16
	s_lshl_b32 s2, s2, 4
	v_cmp_gt_i32_e64 s[4:5], s4, v2
	s_ashr_i32 s10, s2, 31
	s_and_b64 s[4:5], vcc, s[4:5]
	s_and_saveexec_b64 s[6:7], s[4:5]
	s_cbranch_execz .LBB135_5
; %bb.4:
	s_mul_i32 s8, s19, s3
	s_mul_hi_u32 s9, s18, s3
	s_add_i32 s9, s9, s8
	s_mul_i32 s8, s18, s3
	s_lshl_b64 s[8:9], s[8:9], 4
	s_add_u32 s11, s14, s8
	s_addc_u32 s12, s15, s9
	s_mul_i32 s8, s16, s10
	s_mul_hi_u32 s9, s16, s2
	s_add_i32 s8, s9, s8
	s_mul_i32 s9, s17, s2
	s_add_i32 s9, s8, s9
	s_mul_i32 s8, s16, s2
	s_lshl_b64 s[8:9], s[8:9], 4
	s_add_u32 s8, s11, s8
	s_addc_u32 s9, s12, s9
	v_mad_u64_u32 v[6:7], s[12:13], s16, v2, 0
	v_mov_b32_e32 v8, v7
	v_mad_u64_u32 v[8:9], s[12:13], s17, v2, v[8:9]
	v_mov_b32_e32 v7, v8
	v_lshl_add_u64 v[6:7], v[6:7], 4, s[8:9]
	v_mov_b32_e32 v1, 0
	v_lshl_add_u64 v[6:7], v[6:7], 0, v[0:1]
	global_load_dwordx4 v[6:9], v[6:7], off
	v_add_u32_e32 v1, 0x1000, v4
	s_waitcnt vmcnt(0)
	ds_write2_b64 v1, v[6:7], v[8:9] offset1:1
.LBB135_5:
	s_or_b64 exec, exec, s[6:7]
	s_cmpk_eq_i32 s29, 0x84
	s_cselect_b64 s[6:7], -1, 0
	v_cmp_eq_u32_e32 vcc, v2, v5
	s_and_b64 s[8:9], vcc, s[6:7]
	s_and_saveexec_b64 s[6:7], s[8:9]
; %bb.6:
	v_mov_b32_e32 v6, 0
	v_mov_b32_e32 v7, 0x3ff00000
	;; [unrolled: 1-line block ×4, first 2 shown]
	ds_write_b128 v4, v[6:9]
; %bb.7:
	s_or_b64 exec, exec, s[6:7]
	s_cmpk_lg_i32 s28, 0x7a
	s_waitcnt lgkmcnt(0)
	s_barrier
	s_cbranch_scc0 .LBB135_9
; %bb.8:
	v_cmp_lt_u32_e32 vcc, v5, v2
	s_and_b64 s[6:7], vcc, exec
	s_cbranch_execz .LBB135_10
	s_branch .LBB135_11
.LBB135_9:
	s_mov_b64 s[6:7], 0
.LBB135_10:
	v_cmp_gt_u32_e32 vcc, v5, v2
	s_andn2_b64 s[6:7], s[6:7], exec
	s_and_b64 s[8:9], vcc, exec
	s_or_b64 s[6:7], s[6:7], s[8:9]
.LBB135_11:
	s_and_saveexec_b64 s[8:9], s[6:7]
; %bb.12:
	v_mov_b32_e32 v6, 0
	v_mov_b32_e32 v7, v6
	;; [unrolled: 1-line block ×4, first 2 shown]
	ds_write_b128 v4, v[6:9]
; %bb.13:
	s_or_b64 exec, exec, s[8:9]
	s_waitcnt lgkmcnt(0)
	s_barrier
	s_and_saveexec_b64 s[6:7], s[4:5]
	s_cbranch_execz .LBB135_15
; %bb.14:
	v_lshlrev_b32_e32 v1, 4, v3
	ds_read_b128 v[4:7], v0
	ds_read_b128 v[8:11], v1 offset:4096
	ds_read_b128 v[12:15], v1 offset:4112
	;; [unrolled: 1-line block ×5, first 2 shown]
	s_waitcnt lgkmcnt(4)
	v_mul_f64 v[28:29], v[8:9], v[6:7]
	v_fmac_f64_e32 v[28:29], v[10:11], v[4:5]
	v_add_f64 v[36:37], v[28:29], 0
	ds_read_b128 v[28:31], v0 offset:512
	ds_read_b128 v[32:35], v0 offset:768
	s_waitcnt lgkmcnt(2)
	v_mul_f64 v[38:39], v[12:13], v[26:27]
	v_fmac_f64_e32 v[38:39], v[14:15], v[24:25]
	v_add_f64 v[36:37], v[36:37], v[38:39]
	s_waitcnt lgkmcnt(1)
	v_mul_f64 v[38:39], v[16:17], v[30:31]
	v_fmac_f64_e32 v[38:39], v[18:19], v[28:29]
	v_add_f64 v[52:53], v[36:37], v[38:39]
	ds_read_b128 v[36:39], v1 offset:4160
	ds_read_b128 v[40:43], v0 offset:1024
	ds_read_b128 v[44:47], v1 offset:4176
	ds_read_b128 v[48:51], v0 offset:1280
	s_waitcnt lgkmcnt(4)
	v_mul_f64 v[54:55], v[20:21], v[34:35]
	v_fmac_f64_e32 v[54:55], v[22:23], v[32:33]
	v_add_f64 v[52:53], v[52:53], v[54:55]
	s_waitcnt lgkmcnt(2)
	v_mul_f64 v[54:55], v[36:37], v[42:43]
	v_fmac_f64_e32 v[54:55], v[38:39], v[40:41]
	v_add_f64 v[52:53], v[52:53], v[54:55]
	s_waitcnt lgkmcnt(0)
	v_mul_f64 v[54:55], v[44:45], v[50:51]
	v_fmac_f64_e32 v[54:55], v[46:47], v[48:49]
	v_mul_f64 v[6:7], v[10:11], v[6:7]
	v_add_f64 v[56:57], v[52:53], v[54:55]
	ds_read_b128 v[52:55], v1 offset:4192
	v_fma_f64 v[58:59], v[8:9], v[4:5], -v[6:7]
	ds_read_b128 v[4:7], v0 offset:1536
	v_mul_f64 v[8:9], v[14:15], v[26:27]
	v_fma_f64 v[60:61], v[12:13], v[24:25], -v[8:9]
	ds_read_b128 v[8:11], v1 offset:4208
	ds_read_b128 v[12:15], v0 offset:1792
	v_mul_f64 v[18:19], v[18:19], v[30:31]
	v_mul_f64 v[22:23], v[22:23], v[34:35]
	v_fma_f64 v[62:63], v[16:17], v[28:29], -v[18:19]
	ds_read_b128 v[16:19], v1 offset:4224
	v_fma_f64 v[66:67], v[20:21], v[32:33], -v[22:23]
	ds_read_b128 v[20:23], v0 offset:2048
	s_waitcnt lgkmcnt(4)
	v_mul_f64 v[24:25], v[52:53], v[6:7]
	v_fmac_f64_e32 v[24:25], v[54:55], v[4:5]
	s_waitcnt lgkmcnt(2)
	v_mul_f64 v[64:65], v[8:9], v[14:15]
	v_add_f64 v[56:57], v[56:57], v[24:25]
	v_fmac_f64_e32 v[64:65], v[10:11], v[12:13]
	s_waitcnt lgkmcnt(0)
	v_mul_f64 v[34:35], v[16:17], v[22:23]
	v_mul_f64 v[24:25], v[38:39], v[42:43]
	v_add_f64 v[32:33], v[56:57], v[64:65]
	v_fmac_f64_e32 v[34:35], v[18:19], v[20:21]
	v_fma_f64 v[68:69], v[36:37], v[40:41], -v[24:25]
	ds_read_b128 v[24:27], v1 offset:4240
	ds_read_b128 v[28:31], v0 offset:2304
	v_add_f64 v[40:41], v[32:33], v[34:35]
	v_mul_f64 v[32:33], v[46:47], v[50:51]
	v_fma_f64 v[56:57], v[44:45], v[48:49], -v[32:33]
	ds_read_b128 v[32:35], v0 offset:2560
	v_mul_f64 v[6:7], v[54:55], v[6:7]
	v_fma_f64 v[52:53], v[52:53], v[4:5], -v[6:7]
	ds_read_b128 v[4:7], v1 offset:4256
	ds_read_b128 v[36:39], v1 offset:4272
	s_waitcnt lgkmcnt(3)
	v_mul_f64 v[42:43], v[24:25], v[30:31]
	v_fmac_f64_e32 v[42:43], v[26:27], v[28:29]
	v_mul_f64 v[10:11], v[10:11], v[14:15]
	s_waitcnt lgkmcnt(1)
	v_mul_f64 v[14:15], v[4:5], v[34:35]
	v_fma_f64 v[54:55], v[8:9], v[12:13], -v[10:11]
	v_add_f64 v[12:13], v[40:41], v[42:43]
	v_fmac_f64_e32 v[14:15], v[6:7], v[32:33]
	v_add_f64 v[58:59], v[58:59], 0
	ds_read_b128 v[8:11], v0 offset:2816
	v_add_f64 v[40:41], v[12:13], v[14:15]
	v_mul_f64 v[12:13], v[18:19], v[22:23]
	v_add_f64 v[58:59], v[58:59], v[60:61]
	v_fma_f64 v[64:65], v[16:17], v[20:21], -v[12:13]
	ds_read_b128 v[12:15], v1 offset:4288
	ds_read_b128 v[16:19], v0 offset:3072
	v_add_f64 v[58:59], v[58:59], v[62:63]
	v_add_f64 v[58:59], v[58:59], v[66:67]
	;; [unrolled: 1-line block ×4, first 2 shown]
	s_waitcnt lgkmcnt(2)
	v_mul_f64 v[42:43], v[36:37], v[10:11]
	v_mul_f64 v[20:21], v[26:27], v[30:31]
	v_add_f64 v[52:53], v[56:57], v[52:53]
	v_fmac_f64_e32 v[42:43], v[38:39], v[8:9]
	v_fma_f64 v[70:71], v[24:25], v[28:29], -v[20:21]
	ds_read_b128 v[20:23], v1 offset:4304
	ds_read_b128 v[24:27], v0 offset:3328
	s_waitcnt lgkmcnt(2)
	v_mul_f64 v[30:31], v[12:13], v[18:19]
	s_load_dwordx2 s[0:1], s[0:1], 0x68
	v_add_f64 v[52:53], v[52:53], v[54:55]
	v_add_f64 v[28:29], v[40:41], v[42:43]
	v_fmac_f64_e32 v[30:31], v[14:15], v[16:17]
	v_add_f64 v[52:53], v[52:53], v[64:65]
	v_mul_f64 v[6:7], v[6:7], v[34:35]
	v_add_f64 v[72:73], v[28:29], v[30:31]
	ds_read_b128 v[28:31], v1 offset:4320
	ds_read_b128 v[40:43], v0 offset:3584
	v_add_f64 v[52:53], v[52:53], v[70:71]
	v_fma_f64 v[4:5], v[4:5], v[32:33], -v[6:7]
	v_mul_f64 v[6:7], v[38:39], v[10:11]
	v_add_f64 v[4:5], v[52:53], v[4:5]
	v_fma_f64 v[6:7], v[36:37], v[8:9], -v[6:7]
	ds_read_b128 v[44:47], v1 offset:4336
	ds_read_b128 v[48:51], v0 offset:3840
	v_add_f64 v[4:5], v[4:5], v[6:7]
	v_mul_f64 v[6:7], v[14:15], v[18:19]
	s_waitcnt lgkmcnt(0)
	v_mul_f64 v[74:75], v[20:21], v[26:27]
	s_mul_i32 s1, s1, s3
	s_mul_hi_u32 s4, s0, s3
	v_fma_f64 v[6:7], v[12:13], v[16:17], -v[6:7]
	v_fmac_f64_e32 v[74:75], v[22:23], v[24:25]
	s_add_i32 s1, s4, s1
	s_mul_i32 s0, s0, s3
	v_add_f64 v[4:5], v[4:5], v[6:7]
	v_mul_f64 v[6:7], v[22:23], v[26:27]
	v_add_f64 v[72:73], v[72:73], v[74:75]
	v_mul_f64 v[74:75], v[28:29], v[42:43]
	s_lshl_b64 s[0:1], s[0:1], 4
	v_fma_f64 v[6:7], v[20:21], v[24:25], -v[6:7]
	v_fmac_f64_e32 v[74:75], v[30:31], v[40:41]
	s_add_u32 s3, s20, s0
	v_add_f64 v[4:5], v[4:5], v[6:7]
	v_mul_f64 v[6:7], v[30:31], v[42:43]
	v_add_f64 v[72:73], v[72:73], v[74:75]
	v_mul_f64 v[74:75], v[44:45], v[50:51]
	s_addc_u32 s4, s21, s1
	s_mul_i32 s0, s22, s10
	s_mul_hi_u32 s1, s22, s2
	v_fma_f64 v[6:7], v[28:29], v[40:41], -v[6:7]
	v_fmac_f64_e32 v[74:75], v[46:47], v[48:49]
	s_add_i32 s0, s1, s0
	s_mul_i32 s1, s23, s2
	v_add_f64 v[4:5], v[4:5], v[6:7]
	v_mul_f64 v[6:7], v[46:47], v[50:51]
	v_add_f64 v[72:73], v[72:73], v[74:75]
	s_add_i32 s1, s0, s1
	s_mul_i32 s0, s22, s2
	v_fma_f64 v[6:7], v[44:45], v[48:49], -v[6:7]
	s_lshl_b64 s[0:1], s[0:1], 4
	v_add_f64 v[4:5], v[4:5], v[6:7]
	v_mul_f64 v[6:7], s[24:25], v[72:73]
	v_mul_f64 v[8:9], s[26:27], v[72:73]
	s_add_u32 s0, s3, s0
	v_fmac_f64_e32 v[6:7], s[26:27], v[4:5]
	v_fma_f64 v[4:5], s[24:25], v[4:5], -v[8:9]
	v_mad_u64_u32 v[8:9], s[2:3], s22, v2, 0
	v_mov_b32_e32 v10, v9
	v_mad_u64_u32 v[2:3], s[2:3], s23, v2, v[10:11]
	s_addc_u32 s1, s4, s1
	v_mov_b32_e32 v9, v2
	v_lshl_add_u64 v[2:3], v[8:9], 4, s[0:1]
	v_mov_b32_e32 v1, 0
	v_lshl_add_u64 v[0:1], v[2:3], 0, v[0:1]
	global_store_dwordx4 v[0:1], v[4:7], off
.LBB135_15:
	s_endpgm
	.section	.rodata,"a",@progbits
	.p2align	6, 0x0
	.amdhsa_kernel _ZL23rocblas_trmm_lTx_kernelILi16ELb0E19rocblas_complex_numIdES1_KS1_S1_Ev13rocblas_fill_17rocblas_diagonal_iiT2_lPT3_llS7_llPT4_lli
		.amdhsa_group_segment_fixed_size 8192
		.amdhsa_private_segment_fixed_size 0
		.amdhsa_kernarg_size 116
		.amdhsa_user_sgpr_count 2
		.amdhsa_user_sgpr_dispatch_ptr 0
		.amdhsa_user_sgpr_queue_ptr 0
		.amdhsa_user_sgpr_kernarg_segment_ptr 1
		.amdhsa_user_sgpr_dispatch_id 0
		.amdhsa_user_sgpr_kernarg_preload_length 0
		.amdhsa_user_sgpr_kernarg_preload_offset 0
		.amdhsa_user_sgpr_private_segment_size 0
		.amdhsa_uses_dynamic_stack 0
		.amdhsa_enable_private_segment 0
		.amdhsa_system_sgpr_workgroup_id_x 1
		.amdhsa_system_sgpr_workgroup_id_y 0
		.amdhsa_system_sgpr_workgroup_id_z 1
		.amdhsa_system_sgpr_workgroup_info 0
		.amdhsa_system_vgpr_workitem_id 1
		.amdhsa_next_free_vgpr 76
		.amdhsa_next_free_sgpr 32
		.amdhsa_accum_offset 76
		.amdhsa_reserve_vcc 1
		.amdhsa_float_round_mode_32 0
		.amdhsa_float_round_mode_16_64 0
		.amdhsa_float_denorm_mode_32 3
		.amdhsa_float_denorm_mode_16_64 3
		.amdhsa_dx10_clamp 1
		.amdhsa_ieee_mode 1
		.amdhsa_fp16_overflow 0
		.amdhsa_tg_split 0
		.amdhsa_exception_fp_ieee_invalid_op 0
		.amdhsa_exception_fp_denorm_src 0
		.amdhsa_exception_fp_ieee_div_zero 0
		.amdhsa_exception_fp_ieee_overflow 0
		.amdhsa_exception_fp_ieee_underflow 0
		.amdhsa_exception_fp_ieee_inexact 0
		.amdhsa_exception_int_div_zero 0
	.end_amdhsa_kernel
	.section	.text._ZL23rocblas_trmm_lTx_kernelILi16ELb0E19rocblas_complex_numIdES1_KS1_S1_Ev13rocblas_fill_17rocblas_diagonal_iiT2_lPT3_llS7_llPT4_lli,"axG",@progbits,_ZL23rocblas_trmm_lTx_kernelILi16ELb0E19rocblas_complex_numIdES1_KS1_S1_Ev13rocblas_fill_17rocblas_diagonal_iiT2_lPT3_llS7_llPT4_lli,comdat
.Lfunc_end135:
	.size	_ZL23rocblas_trmm_lTx_kernelILi16ELb0E19rocblas_complex_numIdES1_KS1_S1_Ev13rocblas_fill_17rocblas_diagonal_iiT2_lPT3_llS7_llPT4_lli, .Lfunc_end135-_ZL23rocblas_trmm_lTx_kernelILi16ELb0E19rocblas_complex_numIdES1_KS1_S1_Ev13rocblas_fill_17rocblas_diagonal_iiT2_lPT3_llS7_llPT4_lli
                                        ; -- End function
	.set _ZL23rocblas_trmm_lTx_kernelILi16ELb0E19rocblas_complex_numIdES1_KS1_S1_Ev13rocblas_fill_17rocblas_diagonal_iiT2_lPT3_llS7_llPT4_lli.num_vgpr, 76
	.set _ZL23rocblas_trmm_lTx_kernelILi16ELb0E19rocblas_complex_numIdES1_KS1_S1_Ev13rocblas_fill_17rocblas_diagonal_iiT2_lPT3_llS7_llPT4_lli.num_agpr, 0
	.set _ZL23rocblas_trmm_lTx_kernelILi16ELb0E19rocblas_complex_numIdES1_KS1_S1_Ev13rocblas_fill_17rocblas_diagonal_iiT2_lPT3_llS7_llPT4_lli.numbered_sgpr, 32
	.set _ZL23rocblas_trmm_lTx_kernelILi16ELb0E19rocblas_complex_numIdES1_KS1_S1_Ev13rocblas_fill_17rocblas_diagonal_iiT2_lPT3_llS7_llPT4_lli.num_named_barrier, 0
	.set _ZL23rocblas_trmm_lTx_kernelILi16ELb0E19rocblas_complex_numIdES1_KS1_S1_Ev13rocblas_fill_17rocblas_diagonal_iiT2_lPT3_llS7_llPT4_lli.private_seg_size, 0
	.set _ZL23rocblas_trmm_lTx_kernelILi16ELb0E19rocblas_complex_numIdES1_KS1_S1_Ev13rocblas_fill_17rocblas_diagonal_iiT2_lPT3_llS7_llPT4_lli.uses_vcc, 1
	.set _ZL23rocblas_trmm_lTx_kernelILi16ELb0E19rocblas_complex_numIdES1_KS1_S1_Ev13rocblas_fill_17rocblas_diagonal_iiT2_lPT3_llS7_llPT4_lli.uses_flat_scratch, 0
	.set _ZL23rocblas_trmm_lTx_kernelILi16ELb0E19rocblas_complex_numIdES1_KS1_S1_Ev13rocblas_fill_17rocblas_diagonal_iiT2_lPT3_llS7_llPT4_lli.has_dyn_sized_stack, 0
	.set _ZL23rocblas_trmm_lTx_kernelILi16ELb0E19rocblas_complex_numIdES1_KS1_S1_Ev13rocblas_fill_17rocblas_diagonal_iiT2_lPT3_llS7_llPT4_lli.has_recursion, 0
	.set _ZL23rocblas_trmm_lTx_kernelILi16ELb0E19rocblas_complex_numIdES1_KS1_S1_Ev13rocblas_fill_17rocblas_diagonal_iiT2_lPT3_llS7_llPT4_lli.has_indirect_call, 0
	.section	.AMDGPU.csdata,"",@progbits
; Kernel info:
; codeLenInByte = 1800
; TotalNumSgprs: 38
; NumVgprs: 76
; NumAgprs: 0
; TotalNumVgprs: 76
; ScratchSize: 0
; MemoryBound: 0
; FloatMode: 240
; IeeeMode: 1
; LDSByteSize: 8192 bytes/workgroup (compile time only)
; SGPRBlocks: 4
; VGPRBlocks: 9
; NumSGPRsForWavesPerEU: 38
; NumVGPRsForWavesPerEU: 76
; AccumOffset: 76
; Occupancy: 6
; WaveLimiterHint : 0
; COMPUTE_PGM_RSRC2:SCRATCH_EN: 0
; COMPUTE_PGM_RSRC2:USER_SGPR: 2
; COMPUTE_PGM_RSRC2:TRAP_HANDLER: 0
; COMPUTE_PGM_RSRC2:TGID_X_EN: 1
; COMPUTE_PGM_RSRC2:TGID_Y_EN: 0
; COMPUTE_PGM_RSRC2:TGID_Z_EN: 1
; COMPUTE_PGM_RSRC2:TIDIG_COMP_CNT: 1
; COMPUTE_PGM_RSRC3_GFX90A:ACCUM_OFFSET: 18
; COMPUTE_PGM_RSRC3_GFX90A:TG_SPLIT: 0
	.section	.text._ZL23rocblas_trmm_lTx_kernelILi16ELb1E19rocblas_complex_numIdEPKS1_S2_S1_Ev13rocblas_fill_17rocblas_diagonal_iiT2_lPT3_llS8_llPT4_lli,"axG",@progbits,_ZL23rocblas_trmm_lTx_kernelILi16ELb1E19rocblas_complex_numIdEPKS1_S2_S1_Ev13rocblas_fill_17rocblas_diagonal_iiT2_lPT3_llS8_llPT4_lli,comdat
	.globl	_ZL23rocblas_trmm_lTx_kernelILi16ELb1E19rocblas_complex_numIdEPKS1_S2_S1_Ev13rocblas_fill_17rocblas_diagonal_iiT2_lPT3_llS8_llPT4_lli ; -- Begin function _ZL23rocblas_trmm_lTx_kernelILi16ELb1E19rocblas_complex_numIdEPKS1_S2_S1_Ev13rocblas_fill_17rocblas_diagonal_iiT2_lPT3_llS8_llPT4_lli
	.p2align	8
	.type	_ZL23rocblas_trmm_lTx_kernelILi16ELb1E19rocblas_complex_numIdEPKS1_S2_S1_Ev13rocblas_fill_17rocblas_diagonal_iiT2_lPT3_llS8_llPT4_lli,@function
_ZL23rocblas_trmm_lTx_kernelILi16ELb1E19rocblas_complex_numIdEPKS1_S2_S1_Ev13rocblas_fill_17rocblas_diagonal_iiT2_lPT3_llS8_llPT4_lli: ; @_ZL23rocblas_trmm_lTx_kernelILi16ELb1E19rocblas_complex_numIdEPKS1_S2_S1_Ev13rocblas_fill_17rocblas_diagonal_iiT2_lPT3_llS8_llPT4_lli
; %bb.0:
	s_load_dwordx16 s[4:19], s[0:1], 0x10
	s_waitcnt lgkmcnt(0)
	s_mul_i32 s7, s7, s3
	s_mul_hi_u32 s20, s6, s3
	s_add_i32 s7, s20, s7
	s_mul_i32 s6, s6, s3
	s_lshl_b64 s[6:7], s[6:7], 4
	s_add_u32 s4, s4, s6
	s_addc_u32 s5, s5, s7
	s_load_dwordx4 s[20:23], s[4:5], 0x0
	s_waitcnt lgkmcnt(0)
	v_cmp_neq_f64_e64 s[4:5], s[20:21], 0
	v_cmp_neq_f64_e64 s[6:7], s[22:23], 0
	s_or_b64 s[4:5], s[4:5], s[6:7]
	s_andn2_b64 vcc, exec, s[4:5]
	s_cbranch_vccnz .LBB136_15
; %bb.1:
	s_load_dwordx4 s[24:27], s[0:1], 0x0
	s_mov_b32 s4, 0
	s_mov_b32 s6, s4
	s_mov_b32 s7, s4
	v_and_b32_e32 v5, 0x3ff, v0
	v_bfe_u32 v2, v0, 10, 10
	s_mov_b32 s5, s4
	v_mov_b64_e32 v[8:9], s[6:7]
	v_lshlrev_b32_e32 v3, 4, v2
	v_mov_b64_e32 v[6:7], s[4:5]
	s_waitcnt lgkmcnt(0)
	v_cmp_gt_i32_e64 s[4:5], s26, v2
	v_cmp_gt_i32_e32 vcc, s26, v5
	v_add_lshl_u32 v4, v3, v5, 4
	s_and_b64 s[6:7], s[4:5], vcc
	v_lshlrev_b32_e32 v0, 4, v5
	ds_write_b128 v4, v[6:9]
	ds_write_b128 v4, v[6:9] offset:4096
	s_waitcnt lgkmcnt(0)
	s_barrier
	s_and_saveexec_b64 s[4:5], s[6:7]
	s_cbranch_execz .LBB136_3
; %bb.2:
	s_mul_i32 s6, s13, s3
	s_mul_hi_u32 s7, s12, s3
	s_add_i32 s7, s7, s6
	s_mul_i32 s6, s12, s3
	s_lshl_b64 s[6:7], s[6:7], 4
	s_add_u32 s6, s8, s6
	s_addc_u32 s7, s9, s7
	v_mad_u64_u32 v[6:7], s[8:9], s10, v2, 0
	v_mov_b32_e32 v8, v7
	v_mad_u64_u32 v[8:9], s[8:9], s11, v2, v[8:9]
	v_mov_b32_e32 v7, v8
	v_lshl_add_u64 v[6:7], v[6:7], 4, s[6:7]
	v_mov_b32_e32 v1, 0
	v_lshl_add_u64 v[6:7], v[6:7], 0, v[0:1]
	global_load_dwordx4 v[6:9], v[6:7], off
	v_lshl_add_u32 v1, v5, 8, v3
	s_waitcnt vmcnt(0)
	v_xor_b32_e32 v9, 0x80000000, v9
	ds_write_b128 v1, v[6:9]
.LBB136_3:
	s_or_b64 exec, exec, s[4:5]
	s_add_i32 s4, s27, -1
	s_ashr_i32 s5, s4, 31
	s_lshr_b32 s5, s5, 28
	s_add_i32 s4, s4, s5
	s_ashr_i32 s5, s4, 4
	s_and_b32 s4, s4, -16
	s_sub_i32 s4, s27, s4
	s_cmp_ge_i32 s2, s5
	s_cselect_b32 s4, s4, 16
	s_lshl_b32 s2, s2, 4
	v_cmp_gt_i32_e64 s[4:5], s4, v2
	s_ashr_i32 s10, s2, 31
	s_and_b64 s[4:5], vcc, s[4:5]
	s_and_saveexec_b64 s[6:7], s[4:5]
	s_cbranch_execz .LBB136_5
; %bb.4:
	s_mul_i32 s8, s19, s3
	s_mul_hi_u32 s9, s18, s3
	s_add_i32 s9, s9, s8
	s_mul_i32 s8, s18, s3
	s_lshl_b64 s[8:9], s[8:9], 4
	s_add_u32 s11, s14, s8
	s_addc_u32 s12, s15, s9
	s_mul_i32 s8, s16, s10
	s_mul_hi_u32 s9, s16, s2
	s_add_i32 s8, s9, s8
	s_mul_i32 s9, s17, s2
	s_add_i32 s9, s8, s9
	s_mul_i32 s8, s16, s2
	s_lshl_b64 s[8:9], s[8:9], 4
	s_add_u32 s8, s11, s8
	s_addc_u32 s9, s12, s9
	v_mad_u64_u32 v[6:7], s[12:13], s16, v2, 0
	v_mov_b32_e32 v8, v7
	v_mad_u64_u32 v[8:9], s[12:13], s17, v2, v[8:9]
	v_mov_b32_e32 v7, v8
	v_lshl_add_u64 v[6:7], v[6:7], 4, s[8:9]
	v_mov_b32_e32 v1, 0
	v_lshl_add_u64 v[6:7], v[6:7], 0, v[0:1]
	global_load_dwordx4 v[6:9], v[6:7], off
	v_add_u32_e32 v1, 0x1000, v4
	s_waitcnt vmcnt(0)
	ds_write2_b64 v1, v[6:7], v[8:9] offset1:1
.LBB136_5:
	s_or_b64 exec, exec, s[6:7]
	s_cmpk_eq_i32 s25, 0x84
	s_cselect_b64 s[6:7], -1, 0
	v_cmp_eq_u32_e32 vcc, v2, v5
	s_and_b64 s[8:9], vcc, s[6:7]
	s_and_saveexec_b64 s[6:7], s[8:9]
; %bb.6:
	v_mov_b32_e32 v6, 0
	v_mov_b32_e32 v7, 0x3ff00000
	v_mov_b32_e32 v8, v6
	v_mov_b32_e32 v9, v6
	ds_write_b128 v4, v[6:9]
; %bb.7:
	s_or_b64 exec, exec, s[6:7]
	s_cmpk_lg_i32 s24, 0x7a
	s_waitcnt lgkmcnt(0)
	s_barrier
	s_cbranch_scc0 .LBB136_9
; %bb.8:
	v_cmp_lt_u32_e32 vcc, v5, v2
	s_and_b64 s[6:7], vcc, exec
	s_cbranch_execz .LBB136_10
	s_branch .LBB136_11
.LBB136_9:
	s_mov_b64 s[6:7], 0
.LBB136_10:
	v_cmp_gt_u32_e32 vcc, v5, v2
	s_andn2_b64 s[6:7], s[6:7], exec
	s_and_b64 s[8:9], vcc, exec
	s_or_b64 s[6:7], s[6:7], s[8:9]
.LBB136_11:
	s_and_saveexec_b64 s[8:9], s[6:7]
; %bb.12:
	v_mov_b32_e32 v6, 0
	v_mov_b32_e32 v7, v6
	;; [unrolled: 1-line block ×4, first 2 shown]
	ds_write_b128 v4, v[6:9]
; %bb.13:
	s_or_b64 exec, exec, s[8:9]
	s_waitcnt lgkmcnt(0)
	s_barrier
	s_and_saveexec_b64 s[6:7], s[4:5]
	s_cbranch_execz .LBB136_15
; %bb.14:
	v_lshlrev_b32_e32 v1, 4, v3
	ds_read_b128 v[4:7], v0
	ds_read_b128 v[8:11], v1 offset:4096
	ds_read_b128 v[12:15], v1 offset:4112
	;; [unrolled: 1-line block ×5, first 2 shown]
	s_waitcnt lgkmcnt(4)
	v_mul_f64 v[28:29], v[8:9], v[6:7]
	v_fmac_f64_e32 v[28:29], v[10:11], v[4:5]
	v_add_f64 v[36:37], v[28:29], 0
	ds_read_b128 v[28:31], v0 offset:512
	ds_read_b128 v[32:35], v0 offset:768
	s_waitcnt lgkmcnt(2)
	v_mul_f64 v[38:39], v[12:13], v[26:27]
	v_fmac_f64_e32 v[38:39], v[14:15], v[24:25]
	v_add_f64 v[36:37], v[36:37], v[38:39]
	s_waitcnt lgkmcnt(1)
	v_mul_f64 v[38:39], v[16:17], v[30:31]
	v_fmac_f64_e32 v[38:39], v[18:19], v[28:29]
	v_add_f64 v[52:53], v[36:37], v[38:39]
	ds_read_b128 v[36:39], v1 offset:4160
	ds_read_b128 v[40:43], v0 offset:1024
	;; [unrolled: 1-line block ×4, first 2 shown]
	s_waitcnt lgkmcnt(4)
	v_mul_f64 v[54:55], v[20:21], v[34:35]
	v_fmac_f64_e32 v[54:55], v[22:23], v[32:33]
	v_add_f64 v[52:53], v[52:53], v[54:55]
	s_waitcnt lgkmcnt(2)
	v_mul_f64 v[54:55], v[36:37], v[42:43]
	v_fmac_f64_e32 v[54:55], v[38:39], v[40:41]
	v_add_f64 v[52:53], v[52:53], v[54:55]
	s_waitcnt lgkmcnt(0)
	v_mul_f64 v[54:55], v[44:45], v[50:51]
	v_fmac_f64_e32 v[54:55], v[46:47], v[48:49]
	v_mul_f64 v[6:7], v[10:11], v[6:7]
	v_add_f64 v[56:57], v[52:53], v[54:55]
	ds_read_b128 v[52:55], v1 offset:4192
	v_fma_f64 v[58:59], v[8:9], v[4:5], -v[6:7]
	ds_read_b128 v[4:7], v0 offset:1536
	v_mul_f64 v[8:9], v[14:15], v[26:27]
	v_fma_f64 v[60:61], v[12:13], v[24:25], -v[8:9]
	ds_read_b128 v[8:11], v1 offset:4208
	ds_read_b128 v[12:15], v0 offset:1792
	v_mul_f64 v[18:19], v[18:19], v[30:31]
	v_mul_f64 v[22:23], v[22:23], v[34:35]
	v_fma_f64 v[62:63], v[16:17], v[28:29], -v[18:19]
	ds_read_b128 v[16:19], v1 offset:4224
	v_fma_f64 v[66:67], v[20:21], v[32:33], -v[22:23]
	ds_read_b128 v[20:23], v0 offset:2048
	s_waitcnt lgkmcnt(4)
	v_mul_f64 v[24:25], v[52:53], v[6:7]
	v_fmac_f64_e32 v[24:25], v[54:55], v[4:5]
	s_waitcnt lgkmcnt(2)
	v_mul_f64 v[64:65], v[8:9], v[14:15]
	v_add_f64 v[56:57], v[56:57], v[24:25]
	v_fmac_f64_e32 v[64:65], v[10:11], v[12:13]
	s_waitcnt lgkmcnt(0)
	v_mul_f64 v[34:35], v[16:17], v[22:23]
	v_mul_f64 v[24:25], v[38:39], v[42:43]
	v_add_f64 v[32:33], v[56:57], v[64:65]
	v_fmac_f64_e32 v[34:35], v[18:19], v[20:21]
	v_fma_f64 v[68:69], v[36:37], v[40:41], -v[24:25]
	ds_read_b128 v[24:27], v1 offset:4240
	ds_read_b128 v[28:31], v0 offset:2304
	v_add_f64 v[40:41], v[32:33], v[34:35]
	v_mul_f64 v[32:33], v[46:47], v[50:51]
	v_fma_f64 v[56:57], v[44:45], v[48:49], -v[32:33]
	ds_read_b128 v[32:35], v0 offset:2560
	v_mul_f64 v[6:7], v[54:55], v[6:7]
	v_fma_f64 v[52:53], v[52:53], v[4:5], -v[6:7]
	ds_read_b128 v[4:7], v1 offset:4256
	ds_read_b128 v[36:39], v1 offset:4272
	s_waitcnt lgkmcnt(3)
	v_mul_f64 v[42:43], v[24:25], v[30:31]
	v_fmac_f64_e32 v[42:43], v[26:27], v[28:29]
	v_mul_f64 v[10:11], v[10:11], v[14:15]
	s_waitcnt lgkmcnt(1)
	v_mul_f64 v[14:15], v[4:5], v[34:35]
	v_fma_f64 v[54:55], v[8:9], v[12:13], -v[10:11]
	v_add_f64 v[12:13], v[40:41], v[42:43]
	v_fmac_f64_e32 v[14:15], v[6:7], v[32:33]
	v_add_f64 v[58:59], v[58:59], 0
	ds_read_b128 v[8:11], v0 offset:2816
	v_add_f64 v[40:41], v[12:13], v[14:15]
	v_mul_f64 v[12:13], v[18:19], v[22:23]
	v_add_f64 v[58:59], v[58:59], v[60:61]
	v_fma_f64 v[64:65], v[16:17], v[20:21], -v[12:13]
	ds_read_b128 v[12:15], v1 offset:4288
	ds_read_b128 v[16:19], v0 offset:3072
	v_add_f64 v[58:59], v[58:59], v[62:63]
	v_add_f64 v[58:59], v[58:59], v[66:67]
	;; [unrolled: 1-line block ×4, first 2 shown]
	s_waitcnt lgkmcnt(2)
	v_mul_f64 v[42:43], v[36:37], v[10:11]
	v_mul_f64 v[20:21], v[26:27], v[30:31]
	v_add_f64 v[52:53], v[56:57], v[52:53]
	v_fmac_f64_e32 v[42:43], v[38:39], v[8:9]
	v_fma_f64 v[70:71], v[24:25], v[28:29], -v[20:21]
	ds_read_b128 v[20:23], v1 offset:4304
	ds_read_b128 v[24:27], v0 offset:3328
	s_waitcnt lgkmcnt(2)
	v_mul_f64 v[30:31], v[12:13], v[18:19]
	s_load_dwordx2 s[8:9], s[0:1], 0x60
	s_load_dwordx4 s[4:7], s[0:1], 0x50
	v_add_f64 v[52:53], v[52:53], v[54:55]
	v_add_f64 v[28:29], v[40:41], v[42:43]
	v_fmac_f64_e32 v[30:31], v[14:15], v[16:17]
	v_add_f64 v[52:53], v[52:53], v[64:65]
	v_mul_f64 v[6:7], v[6:7], v[34:35]
	v_add_f64 v[72:73], v[28:29], v[30:31]
	ds_read_b128 v[28:31], v1 offset:4320
	ds_read_b128 v[40:43], v0 offset:3584
	v_add_f64 v[52:53], v[52:53], v[70:71]
	v_fma_f64 v[4:5], v[4:5], v[32:33], -v[6:7]
	v_mul_f64 v[6:7], v[38:39], v[10:11]
	v_add_f64 v[4:5], v[52:53], v[4:5]
	v_fma_f64 v[6:7], v[36:37], v[8:9], -v[6:7]
	ds_read_b128 v[44:47], v1 offset:4336
	ds_read_b128 v[48:51], v0 offset:3840
	v_add_f64 v[4:5], v[4:5], v[6:7]
	v_mul_f64 v[6:7], v[14:15], v[18:19]
	s_waitcnt lgkmcnt(0)
	v_mul_f64 v[74:75], v[20:21], v[26:27]
	s_mul_i32 s0, s9, s3
	s_mul_hi_u32 s1, s8, s3
	v_fma_f64 v[6:7], v[12:13], v[16:17], -v[6:7]
	v_fmac_f64_e32 v[74:75], v[22:23], v[24:25]
	s_add_i32 s1, s1, s0
	s_mul_i32 s0, s8, s3
	v_add_f64 v[4:5], v[4:5], v[6:7]
	v_mul_f64 v[6:7], v[22:23], v[26:27]
	v_add_f64 v[72:73], v[72:73], v[74:75]
	v_mul_f64 v[74:75], v[28:29], v[42:43]
	s_lshl_b64 s[0:1], s[0:1], 4
	v_fma_f64 v[6:7], v[20:21], v[24:25], -v[6:7]
	v_fmac_f64_e32 v[74:75], v[30:31], v[40:41]
	s_add_u32 s3, s4, s0
	v_add_f64 v[4:5], v[4:5], v[6:7]
	v_mul_f64 v[6:7], v[30:31], v[42:43]
	v_add_f64 v[72:73], v[72:73], v[74:75]
	v_mul_f64 v[74:75], v[44:45], v[50:51]
	s_addc_u32 s4, s5, s1
	s_mul_i32 s0, s6, s10
	s_mul_hi_u32 s1, s6, s2
	v_fma_f64 v[6:7], v[28:29], v[40:41], -v[6:7]
	v_fmac_f64_e32 v[74:75], v[46:47], v[48:49]
	s_add_i32 s0, s1, s0
	s_mul_i32 s1, s7, s2
	v_add_f64 v[4:5], v[4:5], v[6:7]
	v_mul_f64 v[6:7], v[46:47], v[50:51]
	v_add_f64 v[72:73], v[72:73], v[74:75]
	s_add_i32 s1, s0, s1
	s_mul_i32 s0, s6, s2
	v_fma_f64 v[6:7], v[44:45], v[48:49], -v[6:7]
	s_lshl_b64 s[0:1], s[0:1], 4
	v_add_f64 v[4:5], v[4:5], v[6:7]
	v_mul_f64 v[6:7], s[20:21], v[72:73]
	v_mul_f64 v[8:9], s[22:23], v[72:73]
	s_add_u32 s0, s3, s0
	v_fmac_f64_e32 v[6:7], s[22:23], v[4:5]
	v_fma_f64 v[4:5], s[20:21], v[4:5], -v[8:9]
	v_mad_u64_u32 v[8:9], s[2:3], s6, v2, 0
	v_mov_b32_e32 v10, v9
	v_mad_u64_u32 v[2:3], s[2:3], s7, v2, v[10:11]
	s_addc_u32 s1, s4, s1
	v_mov_b32_e32 v9, v2
	v_lshl_add_u64 v[2:3], v[8:9], 4, s[0:1]
	v_mov_b32_e32 v1, 0
	v_lshl_add_u64 v[0:1], v[2:3], 0, v[0:1]
	global_store_dwordx4 v[0:1], v[4:7], off
.LBB136_15:
	s_endpgm
	.section	.rodata,"a",@progbits
	.p2align	6, 0x0
	.amdhsa_kernel _ZL23rocblas_trmm_lTx_kernelILi16ELb1E19rocblas_complex_numIdEPKS1_S2_S1_Ev13rocblas_fill_17rocblas_diagonal_iiT2_lPT3_llS8_llPT4_lli
		.amdhsa_group_segment_fixed_size 8192
		.amdhsa_private_segment_fixed_size 0
		.amdhsa_kernarg_size 108
		.amdhsa_user_sgpr_count 2
		.amdhsa_user_sgpr_dispatch_ptr 0
		.amdhsa_user_sgpr_queue_ptr 0
		.amdhsa_user_sgpr_kernarg_segment_ptr 1
		.amdhsa_user_sgpr_dispatch_id 0
		.amdhsa_user_sgpr_kernarg_preload_length 0
		.amdhsa_user_sgpr_kernarg_preload_offset 0
		.amdhsa_user_sgpr_private_segment_size 0
		.amdhsa_uses_dynamic_stack 0
		.amdhsa_enable_private_segment 0
		.amdhsa_system_sgpr_workgroup_id_x 1
		.amdhsa_system_sgpr_workgroup_id_y 0
		.amdhsa_system_sgpr_workgroup_id_z 1
		.amdhsa_system_sgpr_workgroup_info 0
		.amdhsa_system_vgpr_workitem_id 1
		.amdhsa_next_free_vgpr 76
		.amdhsa_next_free_sgpr 28
		.amdhsa_accum_offset 76
		.amdhsa_reserve_vcc 1
		.amdhsa_float_round_mode_32 0
		.amdhsa_float_round_mode_16_64 0
		.amdhsa_float_denorm_mode_32 3
		.amdhsa_float_denorm_mode_16_64 3
		.amdhsa_dx10_clamp 1
		.amdhsa_ieee_mode 1
		.amdhsa_fp16_overflow 0
		.amdhsa_tg_split 0
		.amdhsa_exception_fp_ieee_invalid_op 0
		.amdhsa_exception_fp_denorm_src 0
		.amdhsa_exception_fp_ieee_div_zero 0
		.amdhsa_exception_fp_ieee_overflow 0
		.amdhsa_exception_fp_ieee_underflow 0
		.amdhsa_exception_fp_ieee_inexact 0
		.amdhsa_exception_int_div_zero 0
	.end_amdhsa_kernel
	.section	.text._ZL23rocblas_trmm_lTx_kernelILi16ELb1E19rocblas_complex_numIdEPKS1_S2_S1_Ev13rocblas_fill_17rocblas_diagonal_iiT2_lPT3_llS8_llPT4_lli,"axG",@progbits,_ZL23rocblas_trmm_lTx_kernelILi16ELb1E19rocblas_complex_numIdEPKS1_S2_S1_Ev13rocblas_fill_17rocblas_diagonal_iiT2_lPT3_llS8_llPT4_lli,comdat
.Lfunc_end136:
	.size	_ZL23rocblas_trmm_lTx_kernelILi16ELb1E19rocblas_complex_numIdEPKS1_S2_S1_Ev13rocblas_fill_17rocblas_diagonal_iiT2_lPT3_llS8_llPT4_lli, .Lfunc_end136-_ZL23rocblas_trmm_lTx_kernelILi16ELb1E19rocblas_complex_numIdEPKS1_S2_S1_Ev13rocblas_fill_17rocblas_diagonal_iiT2_lPT3_llS8_llPT4_lli
                                        ; -- End function
	.set _ZL23rocblas_trmm_lTx_kernelILi16ELb1E19rocblas_complex_numIdEPKS1_S2_S1_Ev13rocblas_fill_17rocblas_diagonal_iiT2_lPT3_llS8_llPT4_lli.num_vgpr, 76
	.set _ZL23rocblas_trmm_lTx_kernelILi16ELb1E19rocblas_complex_numIdEPKS1_S2_S1_Ev13rocblas_fill_17rocblas_diagonal_iiT2_lPT3_llS8_llPT4_lli.num_agpr, 0
	.set _ZL23rocblas_trmm_lTx_kernelILi16ELb1E19rocblas_complex_numIdEPKS1_S2_S1_Ev13rocblas_fill_17rocblas_diagonal_iiT2_lPT3_llS8_llPT4_lli.numbered_sgpr, 28
	.set _ZL23rocblas_trmm_lTx_kernelILi16ELb1E19rocblas_complex_numIdEPKS1_S2_S1_Ev13rocblas_fill_17rocblas_diagonal_iiT2_lPT3_llS8_llPT4_lli.num_named_barrier, 0
	.set _ZL23rocblas_trmm_lTx_kernelILi16ELb1E19rocblas_complex_numIdEPKS1_S2_S1_Ev13rocblas_fill_17rocblas_diagonal_iiT2_lPT3_llS8_llPT4_lli.private_seg_size, 0
	.set _ZL23rocblas_trmm_lTx_kernelILi16ELb1E19rocblas_complex_numIdEPKS1_S2_S1_Ev13rocblas_fill_17rocblas_diagonal_iiT2_lPT3_llS8_llPT4_lli.uses_vcc, 1
	.set _ZL23rocblas_trmm_lTx_kernelILi16ELb1E19rocblas_complex_numIdEPKS1_S2_S1_Ev13rocblas_fill_17rocblas_diagonal_iiT2_lPT3_llS8_llPT4_lli.uses_flat_scratch, 0
	.set _ZL23rocblas_trmm_lTx_kernelILi16ELb1E19rocblas_complex_numIdEPKS1_S2_S1_Ev13rocblas_fill_17rocblas_diagonal_iiT2_lPT3_llS8_llPT4_lli.has_dyn_sized_stack, 0
	.set _ZL23rocblas_trmm_lTx_kernelILi16ELb1E19rocblas_complex_numIdEPKS1_S2_S1_Ev13rocblas_fill_17rocblas_diagonal_iiT2_lPT3_llS8_llPT4_lli.has_recursion, 0
	.set _ZL23rocblas_trmm_lTx_kernelILi16ELb1E19rocblas_complex_numIdEPKS1_S2_S1_Ev13rocblas_fill_17rocblas_diagonal_iiT2_lPT3_llS8_llPT4_lli.has_indirect_call, 0
	.section	.AMDGPU.csdata,"",@progbits
; Kernel info:
; codeLenInByte = 1848
; TotalNumSgprs: 34
; NumVgprs: 76
; NumAgprs: 0
; TotalNumVgprs: 76
; ScratchSize: 0
; MemoryBound: 0
; FloatMode: 240
; IeeeMode: 1
; LDSByteSize: 8192 bytes/workgroup (compile time only)
; SGPRBlocks: 4
; VGPRBlocks: 9
; NumSGPRsForWavesPerEU: 34
; NumVGPRsForWavesPerEU: 76
; AccumOffset: 76
; Occupancy: 6
; WaveLimiterHint : 0
; COMPUTE_PGM_RSRC2:SCRATCH_EN: 0
; COMPUTE_PGM_RSRC2:USER_SGPR: 2
; COMPUTE_PGM_RSRC2:TRAP_HANDLER: 0
; COMPUTE_PGM_RSRC2:TGID_X_EN: 1
; COMPUTE_PGM_RSRC2:TGID_Y_EN: 0
; COMPUTE_PGM_RSRC2:TGID_Z_EN: 1
; COMPUTE_PGM_RSRC2:TIDIG_COMP_CNT: 1
; COMPUTE_PGM_RSRC3_GFX90A:ACCUM_OFFSET: 18
; COMPUTE_PGM_RSRC3_GFX90A:TG_SPLIT: 0
	.section	.text._ZL23rocblas_trmm_lTx_kernelILi16ELb1E19rocblas_complex_numIdES1_KS1_S1_Ev13rocblas_fill_17rocblas_diagonal_iiT2_lPT3_llS7_llPT4_lli,"axG",@progbits,_ZL23rocblas_trmm_lTx_kernelILi16ELb1E19rocblas_complex_numIdES1_KS1_S1_Ev13rocblas_fill_17rocblas_diagonal_iiT2_lPT3_llS7_llPT4_lli,comdat
	.globl	_ZL23rocblas_trmm_lTx_kernelILi16ELb1E19rocblas_complex_numIdES1_KS1_S1_Ev13rocblas_fill_17rocblas_diagonal_iiT2_lPT3_llS7_llPT4_lli ; -- Begin function _ZL23rocblas_trmm_lTx_kernelILi16ELb1E19rocblas_complex_numIdES1_KS1_S1_Ev13rocblas_fill_17rocblas_diagonal_iiT2_lPT3_llS7_llPT4_lli
	.p2align	8
	.type	_ZL23rocblas_trmm_lTx_kernelILi16ELb1E19rocblas_complex_numIdES1_KS1_S1_Ev13rocblas_fill_17rocblas_diagonal_iiT2_lPT3_llS7_llPT4_lli,@function
_ZL23rocblas_trmm_lTx_kernelILi16ELb1E19rocblas_complex_numIdES1_KS1_S1_Ev13rocblas_fill_17rocblas_diagonal_iiT2_lPT3_llS7_llPT4_lli: ; @_ZL23rocblas_trmm_lTx_kernelILi16ELb1E19rocblas_complex_numIdES1_KS1_S1_Ev13rocblas_fill_17rocblas_diagonal_iiT2_lPT3_llS7_llPT4_lli
; %bb.0:
	s_load_dwordx4 s[24:27], s[0:1], 0x10
	s_waitcnt lgkmcnt(0)
	v_cmp_neq_f64_e64 s[4:5], s[24:25], 0
	v_cmp_neq_f64_e64 s[6:7], s[26:27], 0
	s_or_b64 s[4:5], s[4:5], s[6:7]
	s_andn2_b64 vcc, exec, s[4:5]
	s_cbranch_vccnz .LBB137_15
; %bb.1:
	s_load_dwordx4 s[28:31], s[0:1], 0x0
	s_load_dwordx16 s[8:23], s[0:1], 0x28
	s_mov_b32 s4, 0
	s_mov_b32 s6, s4
	;; [unrolled: 1-line block ×3, first 2 shown]
	v_and_b32_e32 v5, 0x3ff, v0
	v_bfe_u32 v2, v0, 10, 10
	s_mov_b32 s5, s4
	v_mov_b64_e32 v[8:9], s[6:7]
	v_lshlrev_b32_e32 v3, 4, v2
	v_mov_b64_e32 v[6:7], s[4:5]
	s_waitcnt lgkmcnt(0)
	v_cmp_gt_i32_e64 s[4:5], s30, v2
	v_cmp_gt_i32_e32 vcc, s30, v5
	v_add_lshl_u32 v4, v3, v5, 4
	s_and_b64 s[6:7], s[4:5], vcc
	v_lshlrev_b32_e32 v0, 4, v5
	ds_write_b128 v4, v[6:9]
	ds_write_b128 v4, v[6:9] offset:4096
	s_waitcnt lgkmcnt(0)
	s_barrier
	s_and_saveexec_b64 s[4:5], s[6:7]
	s_cbranch_execz .LBB137_3
; %bb.2:
	s_mul_i32 s6, s13, s3
	s_mul_hi_u32 s7, s12, s3
	s_add_i32 s7, s7, s6
	s_mul_i32 s6, s12, s3
	s_lshl_b64 s[6:7], s[6:7], 4
	s_add_u32 s6, s8, s6
	s_addc_u32 s7, s9, s7
	v_mad_u64_u32 v[6:7], s[8:9], s10, v2, 0
	v_mov_b32_e32 v8, v7
	v_mad_u64_u32 v[8:9], s[8:9], s11, v2, v[8:9]
	v_mov_b32_e32 v7, v8
	v_lshl_add_u64 v[6:7], v[6:7], 4, s[6:7]
	v_mov_b32_e32 v1, 0
	v_lshl_add_u64 v[6:7], v[6:7], 0, v[0:1]
	global_load_dwordx4 v[6:9], v[6:7], off
	v_lshl_add_u32 v1, v5, 8, v3
	s_waitcnt vmcnt(0)
	v_xor_b32_e32 v9, 0x80000000, v9
	ds_write_b128 v1, v[6:9]
.LBB137_3:
	s_or_b64 exec, exec, s[4:5]
	s_add_i32 s4, s31, -1
	s_ashr_i32 s5, s4, 31
	s_lshr_b32 s5, s5, 28
	s_add_i32 s4, s4, s5
	s_ashr_i32 s5, s4, 4
	s_and_b32 s4, s4, -16
	s_sub_i32 s4, s31, s4
	s_cmp_ge_i32 s2, s5
	s_cselect_b32 s4, s4, 16
	s_lshl_b32 s2, s2, 4
	v_cmp_gt_i32_e64 s[4:5], s4, v2
	s_ashr_i32 s10, s2, 31
	s_and_b64 s[4:5], vcc, s[4:5]
	s_and_saveexec_b64 s[6:7], s[4:5]
	s_cbranch_execz .LBB137_5
; %bb.4:
	s_mul_i32 s8, s19, s3
	s_mul_hi_u32 s9, s18, s3
	s_add_i32 s9, s9, s8
	s_mul_i32 s8, s18, s3
	s_lshl_b64 s[8:9], s[8:9], 4
	s_add_u32 s11, s14, s8
	s_addc_u32 s12, s15, s9
	s_mul_i32 s8, s16, s10
	s_mul_hi_u32 s9, s16, s2
	s_add_i32 s8, s9, s8
	s_mul_i32 s9, s17, s2
	s_add_i32 s9, s8, s9
	s_mul_i32 s8, s16, s2
	s_lshl_b64 s[8:9], s[8:9], 4
	s_add_u32 s8, s11, s8
	s_addc_u32 s9, s12, s9
	v_mad_u64_u32 v[6:7], s[12:13], s16, v2, 0
	v_mov_b32_e32 v8, v7
	v_mad_u64_u32 v[8:9], s[12:13], s17, v2, v[8:9]
	v_mov_b32_e32 v7, v8
	v_lshl_add_u64 v[6:7], v[6:7], 4, s[8:9]
	v_mov_b32_e32 v1, 0
	v_lshl_add_u64 v[6:7], v[6:7], 0, v[0:1]
	global_load_dwordx4 v[6:9], v[6:7], off
	v_add_u32_e32 v1, 0x1000, v4
	s_waitcnt vmcnt(0)
	ds_write2_b64 v1, v[6:7], v[8:9] offset1:1
.LBB137_5:
	s_or_b64 exec, exec, s[6:7]
	s_cmpk_eq_i32 s29, 0x84
	s_cselect_b64 s[6:7], -1, 0
	v_cmp_eq_u32_e32 vcc, v2, v5
	s_and_b64 s[8:9], vcc, s[6:7]
	s_and_saveexec_b64 s[6:7], s[8:9]
; %bb.6:
	v_mov_b32_e32 v6, 0
	v_mov_b32_e32 v7, 0x3ff00000
	;; [unrolled: 1-line block ×4, first 2 shown]
	ds_write_b128 v4, v[6:9]
; %bb.7:
	s_or_b64 exec, exec, s[6:7]
	s_cmpk_lg_i32 s28, 0x7a
	s_waitcnt lgkmcnt(0)
	s_barrier
	s_cbranch_scc0 .LBB137_9
; %bb.8:
	v_cmp_lt_u32_e32 vcc, v5, v2
	s_and_b64 s[6:7], vcc, exec
	s_cbranch_execz .LBB137_10
	s_branch .LBB137_11
.LBB137_9:
	s_mov_b64 s[6:7], 0
.LBB137_10:
	v_cmp_gt_u32_e32 vcc, v5, v2
	s_andn2_b64 s[6:7], s[6:7], exec
	s_and_b64 s[8:9], vcc, exec
	s_or_b64 s[6:7], s[6:7], s[8:9]
.LBB137_11:
	s_and_saveexec_b64 s[8:9], s[6:7]
; %bb.12:
	v_mov_b32_e32 v6, 0
	v_mov_b32_e32 v7, v6
	;; [unrolled: 1-line block ×4, first 2 shown]
	ds_write_b128 v4, v[6:9]
; %bb.13:
	s_or_b64 exec, exec, s[8:9]
	s_waitcnt lgkmcnt(0)
	s_barrier
	s_and_saveexec_b64 s[6:7], s[4:5]
	s_cbranch_execz .LBB137_15
; %bb.14:
	v_lshlrev_b32_e32 v1, 4, v3
	ds_read_b128 v[4:7], v0
	ds_read_b128 v[8:11], v1 offset:4096
	ds_read_b128 v[12:15], v1 offset:4112
	;; [unrolled: 1-line block ×5, first 2 shown]
	s_waitcnt lgkmcnt(4)
	v_mul_f64 v[28:29], v[8:9], v[6:7]
	v_fmac_f64_e32 v[28:29], v[10:11], v[4:5]
	v_add_f64 v[36:37], v[28:29], 0
	ds_read_b128 v[28:31], v0 offset:512
	ds_read_b128 v[32:35], v0 offset:768
	s_waitcnt lgkmcnt(2)
	v_mul_f64 v[38:39], v[12:13], v[26:27]
	v_fmac_f64_e32 v[38:39], v[14:15], v[24:25]
	v_add_f64 v[36:37], v[36:37], v[38:39]
	s_waitcnt lgkmcnt(1)
	v_mul_f64 v[38:39], v[16:17], v[30:31]
	v_fmac_f64_e32 v[38:39], v[18:19], v[28:29]
	v_add_f64 v[52:53], v[36:37], v[38:39]
	ds_read_b128 v[36:39], v1 offset:4160
	ds_read_b128 v[40:43], v0 offset:1024
	;; [unrolled: 1-line block ×4, first 2 shown]
	s_waitcnt lgkmcnt(4)
	v_mul_f64 v[54:55], v[20:21], v[34:35]
	v_fmac_f64_e32 v[54:55], v[22:23], v[32:33]
	v_add_f64 v[52:53], v[52:53], v[54:55]
	s_waitcnt lgkmcnt(2)
	v_mul_f64 v[54:55], v[36:37], v[42:43]
	v_fmac_f64_e32 v[54:55], v[38:39], v[40:41]
	v_add_f64 v[52:53], v[52:53], v[54:55]
	s_waitcnt lgkmcnt(0)
	v_mul_f64 v[54:55], v[44:45], v[50:51]
	v_fmac_f64_e32 v[54:55], v[46:47], v[48:49]
	v_mul_f64 v[6:7], v[10:11], v[6:7]
	v_add_f64 v[56:57], v[52:53], v[54:55]
	ds_read_b128 v[52:55], v1 offset:4192
	v_fma_f64 v[58:59], v[8:9], v[4:5], -v[6:7]
	ds_read_b128 v[4:7], v0 offset:1536
	v_mul_f64 v[8:9], v[14:15], v[26:27]
	v_fma_f64 v[60:61], v[12:13], v[24:25], -v[8:9]
	ds_read_b128 v[8:11], v1 offset:4208
	ds_read_b128 v[12:15], v0 offset:1792
	v_mul_f64 v[18:19], v[18:19], v[30:31]
	v_mul_f64 v[22:23], v[22:23], v[34:35]
	v_fma_f64 v[62:63], v[16:17], v[28:29], -v[18:19]
	ds_read_b128 v[16:19], v1 offset:4224
	v_fma_f64 v[66:67], v[20:21], v[32:33], -v[22:23]
	ds_read_b128 v[20:23], v0 offset:2048
	s_waitcnt lgkmcnt(4)
	v_mul_f64 v[24:25], v[52:53], v[6:7]
	v_fmac_f64_e32 v[24:25], v[54:55], v[4:5]
	s_waitcnt lgkmcnt(2)
	v_mul_f64 v[64:65], v[8:9], v[14:15]
	v_add_f64 v[56:57], v[56:57], v[24:25]
	v_fmac_f64_e32 v[64:65], v[10:11], v[12:13]
	s_waitcnt lgkmcnt(0)
	v_mul_f64 v[34:35], v[16:17], v[22:23]
	v_mul_f64 v[24:25], v[38:39], v[42:43]
	v_add_f64 v[32:33], v[56:57], v[64:65]
	v_fmac_f64_e32 v[34:35], v[18:19], v[20:21]
	v_fma_f64 v[68:69], v[36:37], v[40:41], -v[24:25]
	ds_read_b128 v[24:27], v1 offset:4240
	ds_read_b128 v[28:31], v0 offset:2304
	v_add_f64 v[40:41], v[32:33], v[34:35]
	v_mul_f64 v[32:33], v[46:47], v[50:51]
	v_fma_f64 v[56:57], v[44:45], v[48:49], -v[32:33]
	ds_read_b128 v[32:35], v0 offset:2560
	v_mul_f64 v[6:7], v[54:55], v[6:7]
	v_fma_f64 v[52:53], v[52:53], v[4:5], -v[6:7]
	ds_read_b128 v[4:7], v1 offset:4256
	ds_read_b128 v[36:39], v1 offset:4272
	s_waitcnt lgkmcnt(3)
	v_mul_f64 v[42:43], v[24:25], v[30:31]
	v_fmac_f64_e32 v[42:43], v[26:27], v[28:29]
	v_mul_f64 v[10:11], v[10:11], v[14:15]
	s_waitcnt lgkmcnt(1)
	v_mul_f64 v[14:15], v[4:5], v[34:35]
	v_fma_f64 v[54:55], v[8:9], v[12:13], -v[10:11]
	v_add_f64 v[12:13], v[40:41], v[42:43]
	v_fmac_f64_e32 v[14:15], v[6:7], v[32:33]
	v_add_f64 v[58:59], v[58:59], 0
	ds_read_b128 v[8:11], v0 offset:2816
	v_add_f64 v[40:41], v[12:13], v[14:15]
	v_mul_f64 v[12:13], v[18:19], v[22:23]
	v_add_f64 v[58:59], v[58:59], v[60:61]
	v_fma_f64 v[64:65], v[16:17], v[20:21], -v[12:13]
	ds_read_b128 v[12:15], v1 offset:4288
	ds_read_b128 v[16:19], v0 offset:3072
	v_add_f64 v[58:59], v[58:59], v[62:63]
	v_add_f64 v[58:59], v[58:59], v[66:67]
	;; [unrolled: 1-line block ×4, first 2 shown]
	s_waitcnt lgkmcnt(2)
	v_mul_f64 v[42:43], v[36:37], v[10:11]
	v_mul_f64 v[20:21], v[26:27], v[30:31]
	v_add_f64 v[52:53], v[56:57], v[52:53]
	v_fmac_f64_e32 v[42:43], v[38:39], v[8:9]
	v_fma_f64 v[70:71], v[24:25], v[28:29], -v[20:21]
	ds_read_b128 v[20:23], v1 offset:4304
	ds_read_b128 v[24:27], v0 offset:3328
	s_waitcnt lgkmcnt(2)
	v_mul_f64 v[30:31], v[12:13], v[18:19]
	s_load_dwordx2 s[0:1], s[0:1], 0x68
	v_add_f64 v[52:53], v[52:53], v[54:55]
	v_add_f64 v[28:29], v[40:41], v[42:43]
	v_fmac_f64_e32 v[30:31], v[14:15], v[16:17]
	v_add_f64 v[52:53], v[52:53], v[64:65]
	v_mul_f64 v[6:7], v[6:7], v[34:35]
	v_add_f64 v[72:73], v[28:29], v[30:31]
	ds_read_b128 v[28:31], v1 offset:4320
	ds_read_b128 v[40:43], v0 offset:3584
	v_add_f64 v[52:53], v[52:53], v[70:71]
	v_fma_f64 v[4:5], v[4:5], v[32:33], -v[6:7]
	v_mul_f64 v[6:7], v[38:39], v[10:11]
	v_add_f64 v[4:5], v[52:53], v[4:5]
	v_fma_f64 v[6:7], v[36:37], v[8:9], -v[6:7]
	ds_read_b128 v[44:47], v1 offset:4336
	ds_read_b128 v[48:51], v0 offset:3840
	v_add_f64 v[4:5], v[4:5], v[6:7]
	v_mul_f64 v[6:7], v[14:15], v[18:19]
	s_waitcnt lgkmcnt(0)
	v_mul_f64 v[74:75], v[20:21], v[26:27]
	s_mul_i32 s1, s1, s3
	s_mul_hi_u32 s4, s0, s3
	v_fma_f64 v[6:7], v[12:13], v[16:17], -v[6:7]
	v_fmac_f64_e32 v[74:75], v[22:23], v[24:25]
	s_add_i32 s1, s4, s1
	s_mul_i32 s0, s0, s3
	v_add_f64 v[4:5], v[4:5], v[6:7]
	v_mul_f64 v[6:7], v[22:23], v[26:27]
	v_add_f64 v[72:73], v[72:73], v[74:75]
	v_mul_f64 v[74:75], v[28:29], v[42:43]
	s_lshl_b64 s[0:1], s[0:1], 4
	v_fma_f64 v[6:7], v[20:21], v[24:25], -v[6:7]
	v_fmac_f64_e32 v[74:75], v[30:31], v[40:41]
	s_add_u32 s3, s20, s0
	v_add_f64 v[4:5], v[4:5], v[6:7]
	v_mul_f64 v[6:7], v[30:31], v[42:43]
	v_add_f64 v[72:73], v[72:73], v[74:75]
	v_mul_f64 v[74:75], v[44:45], v[50:51]
	s_addc_u32 s4, s21, s1
	s_mul_i32 s0, s22, s10
	s_mul_hi_u32 s1, s22, s2
	v_fma_f64 v[6:7], v[28:29], v[40:41], -v[6:7]
	v_fmac_f64_e32 v[74:75], v[46:47], v[48:49]
	s_add_i32 s0, s1, s0
	s_mul_i32 s1, s23, s2
	v_add_f64 v[4:5], v[4:5], v[6:7]
	v_mul_f64 v[6:7], v[46:47], v[50:51]
	v_add_f64 v[72:73], v[72:73], v[74:75]
	s_add_i32 s1, s0, s1
	s_mul_i32 s0, s22, s2
	v_fma_f64 v[6:7], v[44:45], v[48:49], -v[6:7]
	s_lshl_b64 s[0:1], s[0:1], 4
	v_add_f64 v[4:5], v[4:5], v[6:7]
	v_mul_f64 v[6:7], s[24:25], v[72:73]
	v_mul_f64 v[8:9], s[26:27], v[72:73]
	s_add_u32 s0, s3, s0
	v_fmac_f64_e32 v[6:7], s[26:27], v[4:5]
	v_fma_f64 v[4:5], s[24:25], v[4:5], -v[8:9]
	v_mad_u64_u32 v[8:9], s[2:3], s22, v2, 0
	v_mov_b32_e32 v10, v9
	v_mad_u64_u32 v[2:3], s[2:3], s23, v2, v[10:11]
	s_addc_u32 s1, s4, s1
	v_mov_b32_e32 v9, v2
	v_lshl_add_u64 v[2:3], v[8:9], 4, s[0:1]
	v_mov_b32_e32 v1, 0
	v_lshl_add_u64 v[0:1], v[2:3], 0, v[0:1]
	global_store_dwordx4 v[0:1], v[4:7], off
.LBB137_15:
	s_endpgm
	.section	.rodata,"a",@progbits
	.p2align	6, 0x0
	.amdhsa_kernel _ZL23rocblas_trmm_lTx_kernelILi16ELb1E19rocblas_complex_numIdES1_KS1_S1_Ev13rocblas_fill_17rocblas_diagonal_iiT2_lPT3_llS7_llPT4_lli
		.amdhsa_group_segment_fixed_size 8192
		.amdhsa_private_segment_fixed_size 0
		.amdhsa_kernarg_size 116
		.amdhsa_user_sgpr_count 2
		.amdhsa_user_sgpr_dispatch_ptr 0
		.amdhsa_user_sgpr_queue_ptr 0
		.amdhsa_user_sgpr_kernarg_segment_ptr 1
		.amdhsa_user_sgpr_dispatch_id 0
		.amdhsa_user_sgpr_kernarg_preload_length 0
		.amdhsa_user_sgpr_kernarg_preload_offset 0
		.amdhsa_user_sgpr_private_segment_size 0
		.amdhsa_uses_dynamic_stack 0
		.amdhsa_enable_private_segment 0
		.amdhsa_system_sgpr_workgroup_id_x 1
		.amdhsa_system_sgpr_workgroup_id_y 0
		.amdhsa_system_sgpr_workgroup_id_z 1
		.amdhsa_system_sgpr_workgroup_info 0
		.amdhsa_system_vgpr_workitem_id 1
		.amdhsa_next_free_vgpr 76
		.amdhsa_next_free_sgpr 32
		.amdhsa_accum_offset 76
		.amdhsa_reserve_vcc 1
		.amdhsa_float_round_mode_32 0
		.amdhsa_float_round_mode_16_64 0
		.amdhsa_float_denorm_mode_32 3
		.amdhsa_float_denorm_mode_16_64 3
		.amdhsa_dx10_clamp 1
		.amdhsa_ieee_mode 1
		.amdhsa_fp16_overflow 0
		.amdhsa_tg_split 0
		.amdhsa_exception_fp_ieee_invalid_op 0
		.amdhsa_exception_fp_denorm_src 0
		.amdhsa_exception_fp_ieee_div_zero 0
		.amdhsa_exception_fp_ieee_overflow 0
		.amdhsa_exception_fp_ieee_underflow 0
		.amdhsa_exception_fp_ieee_inexact 0
		.amdhsa_exception_int_div_zero 0
	.end_amdhsa_kernel
	.section	.text._ZL23rocblas_trmm_lTx_kernelILi16ELb1E19rocblas_complex_numIdES1_KS1_S1_Ev13rocblas_fill_17rocblas_diagonal_iiT2_lPT3_llS7_llPT4_lli,"axG",@progbits,_ZL23rocblas_trmm_lTx_kernelILi16ELb1E19rocblas_complex_numIdES1_KS1_S1_Ev13rocblas_fill_17rocblas_diagonal_iiT2_lPT3_llS7_llPT4_lli,comdat
.Lfunc_end137:
	.size	_ZL23rocblas_trmm_lTx_kernelILi16ELb1E19rocblas_complex_numIdES1_KS1_S1_Ev13rocblas_fill_17rocblas_diagonal_iiT2_lPT3_llS7_llPT4_lli, .Lfunc_end137-_ZL23rocblas_trmm_lTx_kernelILi16ELb1E19rocblas_complex_numIdES1_KS1_S1_Ev13rocblas_fill_17rocblas_diagonal_iiT2_lPT3_llS7_llPT4_lli
                                        ; -- End function
	.set _ZL23rocblas_trmm_lTx_kernelILi16ELb1E19rocblas_complex_numIdES1_KS1_S1_Ev13rocblas_fill_17rocblas_diagonal_iiT2_lPT3_llS7_llPT4_lli.num_vgpr, 76
	.set _ZL23rocblas_trmm_lTx_kernelILi16ELb1E19rocblas_complex_numIdES1_KS1_S1_Ev13rocblas_fill_17rocblas_diagonal_iiT2_lPT3_llS7_llPT4_lli.num_agpr, 0
	.set _ZL23rocblas_trmm_lTx_kernelILi16ELb1E19rocblas_complex_numIdES1_KS1_S1_Ev13rocblas_fill_17rocblas_diagonal_iiT2_lPT3_llS7_llPT4_lli.numbered_sgpr, 32
	.set _ZL23rocblas_trmm_lTx_kernelILi16ELb1E19rocblas_complex_numIdES1_KS1_S1_Ev13rocblas_fill_17rocblas_diagonal_iiT2_lPT3_llS7_llPT4_lli.num_named_barrier, 0
	.set _ZL23rocblas_trmm_lTx_kernelILi16ELb1E19rocblas_complex_numIdES1_KS1_S1_Ev13rocblas_fill_17rocblas_diagonal_iiT2_lPT3_llS7_llPT4_lli.private_seg_size, 0
	.set _ZL23rocblas_trmm_lTx_kernelILi16ELb1E19rocblas_complex_numIdES1_KS1_S1_Ev13rocblas_fill_17rocblas_diagonal_iiT2_lPT3_llS7_llPT4_lli.uses_vcc, 1
	.set _ZL23rocblas_trmm_lTx_kernelILi16ELb1E19rocblas_complex_numIdES1_KS1_S1_Ev13rocblas_fill_17rocblas_diagonal_iiT2_lPT3_llS7_llPT4_lli.uses_flat_scratch, 0
	.set _ZL23rocblas_trmm_lTx_kernelILi16ELb1E19rocblas_complex_numIdES1_KS1_S1_Ev13rocblas_fill_17rocblas_diagonal_iiT2_lPT3_llS7_llPT4_lli.has_dyn_sized_stack, 0
	.set _ZL23rocblas_trmm_lTx_kernelILi16ELb1E19rocblas_complex_numIdES1_KS1_S1_Ev13rocblas_fill_17rocblas_diagonal_iiT2_lPT3_llS7_llPT4_lli.has_recursion, 0
	.set _ZL23rocblas_trmm_lTx_kernelILi16ELb1E19rocblas_complex_numIdES1_KS1_S1_Ev13rocblas_fill_17rocblas_diagonal_iiT2_lPT3_llS7_llPT4_lli.has_indirect_call, 0
	.section	.AMDGPU.csdata,"",@progbits
; Kernel info:
; codeLenInByte = 1808
; TotalNumSgprs: 38
; NumVgprs: 76
; NumAgprs: 0
; TotalNumVgprs: 76
; ScratchSize: 0
; MemoryBound: 0
; FloatMode: 240
; IeeeMode: 1
; LDSByteSize: 8192 bytes/workgroup (compile time only)
; SGPRBlocks: 4
; VGPRBlocks: 9
; NumSGPRsForWavesPerEU: 38
; NumVGPRsForWavesPerEU: 76
; AccumOffset: 76
; Occupancy: 6
; WaveLimiterHint : 0
; COMPUTE_PGM_RSRC2:SCRATCH_EN: 0
; COMPUTE_PGM_RSRC2:USER_SGPR: 2
; COMPUTE_PGM_RSRC2:TRAP_HANDLER: 0
; COMPUTE_PGM_RSRC2:TGID_X_EN: 1
; COMPUTE_PGM_RSRC2:TGID_Y_EN: 0
; COMPUTE_PGM_RSRC2:TGID_Z_EN: 1
; COMPUTE_PGM_RSRC2:TIDIG_COMP_CNT: 1
; COMPUTE_PGM_RSRC3_GFX90A:ACCUM_OFFSET: 18
; COMPUTE_PGM_RSRC3_GFX90A:TG_SPLIT: 0
	.section	.text._ZL23rocblas_trmm_rNx_kernelILi16E19rocblas_complex_numIdEPKS1_S2_S1_Ev13rocblas_fill_17rocblas_diagonal_iiT1_lPT2_llS8_llPT3_lli,"axG",@progbits,_ZL23rocblas_trmm_rNx_kernelILi16E19rocblas_complex_numIdEPKS1_S2_S1_Ev13rocblas_fill_17rocblas_diagonal_iiT1_lPT2_llS8_llPT3_lli,comdat
	.globl	_ZL23rocblas_trmm_rNx_kernelILi16E19rocblas_complex_numIdEPKS1_S2_S1_Ev13rocblas_fill_17rocblas_diagonal_iiT1_lPT2_llS8_llPT3_lli ; -- Begin function _ZL23rocblas_trmm_rNx_kernelILi16E19rocblas_complex_numIdEPKS1_S2_S1_Ev13rocblas_fill_17rocblas_diagonal_iiT1_lPT2_llS8_llPT3_lli
	.p2align	8
	.type	_ZL23rocblas_trmm_rNx_kernelILi16E19rocblas_complex_numIdEPKS1_S2_S1_Ev13rocblas_fill_17rocblas_diagonal_iiT1_lPT2_llS8_llPT3_lli,@function
_ZL23rocblas_trmm_rNx_kernelILi16E19rocblas_complex_numIdEPKS1_S2_S1_Ev13rocblas_fill_17rocblas_diagonal_iiT1_lPT2_llS8_llPT3_lli: ; @_ZL23rocblas_trmm_rNx_kernelILi16E19rocblas_complex_numIdEPKS1_S2_S1_Ev13rocblas_fill_17rocblas_diagonal_iiT1_lPT2_llS8_llPT3_lli
; %bb.0:
	s_load_dwordx16 s[4:19], s[0:1], 0x10
	s_waitcnt lgkmcnt(0)
	s_mul_i32 s7, s7, s3
	s_mul_hi_u32 s20, s6, s3
	s_add_i32 s7, s20, s7
	s_mul_i32 s6, s6, s3
	s_lshl_b64 s[6:7], s[6:7], 4
	s_add_u32 s4, s4, s6
	s_addc_u32 s5, s5, s7
	s_load_dwordx4 s[20:23], s[4:5], 0x0
	s_waitcnt lgkmcnt(0)
	v_cmp_neq_f64_e64 s[4:5], s[20:21], 0
	v_cmp_neq_f64_e64 s[6:7], s[22:23], 0
	s_or_b64 s[4:5], s[4:5], s[6:7]
	s_andn2_b64 vcc, exec, s[4:5]
	s_cbranch_vccnz .LBB138_15
; %bb.1:
	s_load_dwordx4 s[24:27], s[0:1], 0x0
	s_mov_b32 s4, 0
	s_mov_b32 s6, s4
	;; [unrolled: 1-line block ×3, first 2 shown]
	v_and_b32_e32 v5, 0x3ff, v0
	v_bfe_u32 v2, v0, 10, 10
	s_mov_b32 s5, s4
	v_mov_b64_e32 v[8:9], s[6:7]
	v_lshlrev_b32_e32 v3, 4, v2
	v_mov_b64_e32 v[6:7], s[4:5]
	s_waitcnt lgkmcnt(0)
	v_cmp_gt_i32_e32 vcc, s27, v2
	v_cmp_gt_i32_e64 s[4:5], s27, v5
	v_add_lshl_u32 v4, v3, v5, 4
	s_and_b64 s[6:7], vcc, s[4:5]
	v_lshlrev_b32_e32 v0, 4, v5
	ds_write_b128 v4, v[6:9]
	ds_write_b128 v4, v[6:9] offset:4096
	s_and_saveexec_b64 s[4:5], s[6:7]
	s_cbranch_execz .LBB138_3
; %bb.2:
	s_mul_i32 s6, s13, s3
	s_mul_hi_u32 s7, s12, s3
	s_add_i32 s7, s7, s6
	s_mul_i32 s6, s12, s3
	s_lshl_b64 s[6:7], s[6:7], 4
	s_add_u32 s6, s8, s6
	s_addc_u32 s7, s9, s7
	v_mad_u64_u32 v[6:7], s[8:9], s10, v2, 0
	v_mov_b32_e32 v8, v7
	v_mad_u64_u32 v[8:9], s[8:9], s11, v2, v[8:9]
	v_mov_b32_e32 v7, v8
	v_lshl_add_u64 v[6:7], v[6:7], 4, s[6:7]
	v_mov_b32_e32 v1, 0
	v_lshl_add_u64 v[6:7], v[6:7], 0, v[0:1]
	global_load_dwordx4 v[6:9], v[6:7], off
	s_waitcnt vmcnt(0)
	ds_write2_b64 v4, v[6:7], v[8:9] offset1:1
.LBB138_3:
	s_or_b64 exec, exec, s[4:5]
	s_add_i32 s4, s26, -1
	s_ashr_i32 s5, s4, 31
	s_lshr_b32 s5, s5, 28
	s_add_i32 s4, s4, s5
	s_ashr_i32 s5, s4, 4
	s_and_b32 s4, s4, -16
	s_sub_i32 s4, s26, s4
	s_cmp_ge_i32 s2, s5
	s_cselect_b32 s4, s4, 16
	s_lshl_b32 s6, s2, 4
	v_cmp_gt_i32_e64 s[4:5], s4, v5
	s_ashr_i32 s7, s6, 31
	s_and_b64 s[4:5], vcc, s[4:5]
	s_and_saveexec_b64 s[8:9], s[4:5]
	s_cbranch_execz .LBB138_5
; %bb.4:
	s_mul_i32 s2, s19, s3
	s_mul_hi_u32 s10, s18, s3
	s_add_i32 s11, s10, s2
	s_mul_i32 s10, s18, s3
	s_lshl_b64 s[10:11], s[10:11], 4
	s_add_u32 s2, s14, s10
	s_addc_u32 s12, s15, s11
	s_lshl_b64 s[10:11], s[6:7], 4
	s_add_u32 s10, s2, s10
	s_addc_u32 s11, s12, s11
	v_mad_u64_u32 v[6:7], s[12:13], s16, v2, 0
	v_mov_b32_e32 v8, v7
	v_mad_u64_u32 v[8:9], s[12:13], s17, v2, v[8:9]
	v_mov_b32_e32 v7, v8
	v_lshl_add_u64 v[6:7], v[6:7], 4, s[10:11]
	v_mov_b32_e32 v1, 0
	v_lshl_add_u64 v[6:7], v[6:7], 0, v[0:1]
	global_load_dwordx4 v[6:9], v[6:7], off
	v_add_u32_e32 v1, 0x1000, v4
	s_waitcnt vmcnt(0)
	ds_write2_b64 v1, v[6:7], v[8:9] offset1:1
.LBB138_5:
	s_or_b64 exec, exec, s[8:9]
	s_cmpk_eq_i32 s25, 0x84
	s_cselect_b64 s[8:9], -1, 0
	v_cmp_eq_u32_e32 vcc, v2, v5
	s_and_b64 s[10:11], vcc, s[8:9]
	s_and_saveexec_b64 s[8:9], s[10:11]
; %bb.6:
	v_mov_b32_e32 v6, 0
	v_mov_b32_e32 v7, 0x3ff00000
	;; [unrolled: 1-line block ×4, first 2 shown]
	ds_write_b128 v4, v[6:9]
; %bb.7:
	s_or_b64 exec, exec, s[8:9]
	s_cmpk_lg_i32 s24, 0x79
	s_cbranch_scc0 .LBB138_9
; %bb.8:
	v_cmp_lt_u32_e32 vcc, v5, v2
	s_and_b64 s[8:9], vcc, exec
	s_cbranch_execz .LBB138_10
	s_branch .LBB138_11
.LBB138_9:
	s_mov_b64 s[8:9], 0
.LBB138_10:
	v_cmp_gt_u32_e32 vcc, v5, v2
	s_andn2_b64 s[8:9], s[8:9], exec
	s_and_b64 s[10:11], vcc, exec
	s_or_b64 s[8:9], s[8:9], s[10:11]
.LBB138_11:
	s_and_saveexec_b64 s[10:11], s[8:9]
; %bb.12:
	v_mov_b32_e32 v6, 0
	v_mov_b32_e32 v7, v6
	;; [unrolled: 1-line block ×4, first 2 shown]
	ds_write_b128 v4, v[6:9]
; %bb.13:
	s_or_b64 exec, exec, s[10:11]
	s_waitcnt lgkmcnt(0)
	s_barrier
	s_and_saveexec_b64 s[8:9], s[4:5]
	s_cbranch_execz .LBB138_15
; %bb.14:
	v_lshlrev_b32_e32 v1, 4, v3
	ds_read_b128 v[4:7], v0 offset:4096
	ds_read_b128 v[8:11], v1
	ds_read_b128 v[12:15], v1 offset:16
	ds_read_b128 v[16:19], v1 offset:32
	ds_read_b128 v[20:23], v1 offset:48
	ds_read_b128 v[24:27], v0 offset:4352
	s_waitcnt lgkmcnt(4)
	v_mul_f64 v[28:29], v[8:9], v[6:7]
	v_fmac_f64_e32 v[28:29], v[10:11], v[4:5]
	v_add_f64 v[36:37], v[28:29], 0
	ds_read_b128 v[28:31], v0 offset:4608
	ds_read_b128 v[32:35], v0 offset:4864
	s_waitcnt lgkmcnt(2)
	v_mul_f64 v[38:39], v[12:13], v[26:27]
	v_fmac_f64_e32 v[38:39], v[14:15], v[24:25]
	v_add_f64 v[36:37], v[36:37], v[38:39]
	s_waitcnt lgkmcnt(1)
	v_mul_f64 v[38:39], v[16:17], v[30:31]
	v_fmac_f64_e32 v[38:39], v[18:19], v[28:29]
	v_add_f64 v[52:53], v[36:37], v[38:39]
	ds_read_b128 v[36:39], v1 offset:64
	ds_read_b128 v[40:43], v0 offset:5120
	;; [unrolled: 1-line block ×4, first 2 shown]
	s_waitcnt lgkmcnt(4)
	v_mul_f64 v[54:55], v[20:21], v[34:35]
	v_fmac_f64_e32 v[54:55], v[22:23], v[32:33]
	v_add_f64 v[52:53], v[52:53], v[54:55]
	s_waitcnt lgkmcnt(2)
	v_mul_f64 v[54:55], v[36:37], v[42:43]
	v_fmac_f64_e32 v[54:55], v[38:39], v[40:41]
	v_add_f64 v[52:53], v[52:53], v[54:55]
	s_waitcnt lgkmcnt(0)
	v_mul_f64 v[54:55], v[44:45], v[50:51]
	v_fmac_f64_e32 v[54:55], v[46:47], v[48:49]
	v_mul_f64 v[6:7], v[10:11], v[6:7]
	v_add_f64 v[56:57], v[52:53], v[54:55]
	ds_read_b128 v[52:55], v1 offset:96
	v_fma_f64 v[58:59], v[8:9], v[4:5], -v[6:7]
	ds_read_b128 v[4:7], v0 offset:5632
	v_mul_f64 v[8:9], v[14:15], v[26:27]
	v_fma_f64 v[60:61], v[12:13], v[24:25], -v[8:9]
	ds_read_b128 v[8:11], v1 offset:112
	ds_read_b128 v[12:15], v0 offset:5888
	v_mul_f64 v[18:19], v[18:19], v[30:31]
	v_mul_f64 v[22:23], v[22:23], v[34:35]
	v_fma_f64 v[62:63], v[16:17], v[28:29], -v[18:19]
	ds_read_b128 v[16:19], v1 offset:128
	v_fma_f64 v[66:67], v[20:21], v[32:33], -v[22:23]
	ds_read_b128 v[20:23], v0 offset:6144
	s_waitcnt lgkmcnt(4)
	v_mul_f64 v[24:25], v[52:53], v[6:7]
	v_fmac_f64_e32 v[24:25], v[54:55], v[4:5]
	s_waitcnt lgkmcnt(2)
	v_mul_f64 v[64:65], v[8:9], v[14:15]
	v_add_f64 v[56:57], v[56:57], v[24:25]
	v_fmac_f64_e32 v[64:65], v[10:11], v[12:13]
	s_waitcnt lgkmcnt(0)
	v_mul_f64 v[34:35], v[16:17], v[22:23]
	v_mul_f64 v[24:25], v[38:39], v[42:43]
	v_add_f64 v[32:33], v[56:57], v[64:65]
	v_fmac_f64_e32 v[34:35], v[18:19], v[20:21]
	v_fma_f64 v[68:69], v[36:37], v[40:41], -v[24:25]
	ds_read_b128 v[24:27], v1 offset:144
	ds_read_b128 v[28:31], v0 offset:6400
	v_add_f64 v[40:41], v[32:33], v[34:35]
	v_mul_f64 v[32:33], v[46:47], v[50:51]
	v_fma_f64 v[56:57], v[44:45], v[48:49], -v[32:33]
	ds_read_b128 v[32:35], v0 offset:6656
	v_mul_f64 v[6:7], v[54:55], v[6:7]
	v_fma_f64 v[52:53], v[52:53], v[4:5], -v[6:7]
	ds_read_b128 v[4:7], v1 offset:160
	ds_read_b128 v[36:39], v1 offset:176
	s_waitcnt lgkmcnt(3)
	v_mul_f64 v[42:43], v[24:25], v[30:31]
	v_fmac_f64_e32 v[42:43], v[26:27], v[28:29]
	v_mul_f64 v[10:11], v[10:11], v[14:15]
	s_waitcnt lgkmcnt(1)
	v_mul_f64 v[14:15], v[4:5], v[34:35]
	v_fma_f64 v[54:55], v[8:9], v[12:13], -v[10:11]
	v_add_f64 v[12:13], v[40:41], v[42:43]
	v_fmac_f64_e32 v[14:15], v[6:7], v[32:33]
	v_add_f64 v[58:59], v[58:59], 0
	ds_read_b128 v[8:11], v0 offset:6912
	v_add_f64 v[40:41], v[12:13], v[14:15]
	v_mul_f64 v[12:13], v[18:19], v[22:23]
	v_add_f64 v[58:59], v[58:59], v[60:61]
	v_fma_f64 v[64:65], v[16:17], v[20:21], -v[12:13]
	ds_read_b128 v[12:15], v1 offset:192
	ds_read_b128 v[16:19], v0 offset:7168
	v_add_f64 v[58:59], v[58:59], v[62:63]
	v_add_f64 v[58:59], v[58:59], v[66:67]
	;; [unrolled: 1-line block ×4, first 2 shown]
	s_waitcnt lgkmcnt(2)
	v_mul_f64 v[42:43], v[36:37], v[10:11]
	v_mul_f64 v[20:21], v[26:27], v[30:31]
	v_add_f64 v[52:53], v[56:57], v[52:53]
	v_fmac_f64_e32 v[42:43], v[38:39], v[8:9]
	v_fma_f64 v[70:71], v[24:25], v[28:29], -v[20:21]
	ds_read_b128 v[20:23], v1 offset:208
	ds_read_b128 v[24:27], v0 offset:7424
	s_waitcnt lgkmcnt(2)
	v_mul_f64 v[30:31], v[12:13], v[18:19]
	v_add_f64 v[52:53], v[52:53], v[54:55]
	v_add_f64 v[28:29], v[40:41], v[42:43]
	v_fmac_f64_e32 v[30:31], v[14:15], v[16:17]
	v_add_f64 v[52:53], v[52:53], v[64:65]
	v_mul_f64 v[6:7], v[6:7], v[34:35]
	v_add_f64 v[72:73], v[28:29], v[30:31]
	ds_read_b128 v[28:31], v1 offset:224
	ds_read_b128 v[40:43], v0 offset:7680
	s_load_dwordx2 s[4:5], s[0:1], 0x60
	s_load_dwordx4 s[8:11], s[0:1], 0x50
	v_add_f64 v[52:53], v[52:53], v[70:71]
	v_fma_f64 v[4:5], v[4:5], v[32:33], -v[6:7]
	v_mul_f64 v[6:7], v[38:39], v[10:11]
	v_add_f64 v[4:5], v[52:53], v[4:5]
	v_fma_f64 v[6:7], v[36:37], v[8:9], -v[6:7]
	ds_read_b128 v[44:47], v1 offset:240
	ds_read_b128 v[48:51], v0 offset:7936
	v_add_f64 v[4:5], v[4:5], v[6:7]
	v_mul_f64 v[6:7], v[14:15], v[18:19]
	s_waitcnt lgkmcnt(0)
	v_mul_f64 v[74:75], v[20:21], v[26:27]
	v_fma_f64 v[6:7], v[12:13], v[16:17], -v[6:7]
	v_fmac_f64_e32 v[74:75], v[22:23], v[24:25]
	v_add_f64 v[4:5], v[4:5], v[6:7]
	v_mul_f64 v[6:7], v[22:23], v[26:27]
	v_add_f64 v[72:73], v[72:73], v[74:75]
	v_mul_f64 v[74:75], v[28:29], v[42:43]
	s_mul_i32 s0, s5, s3
	s_mul_hi_u32 s1, s4, s3
	v_fma_f64 v[6:7], v[20:21], v[24:25], -v[6:7]
	v_fmac_f64_e32 v[74:75], v[30:31], v[40:41]
	s_add_i32 s1, s1, s0
	s_mul_i32 s0, s4, s3
	v_add_f64 v[4:5], v[4:5], v[6:7]
	v_mul_f64 v[6:7], v[30:31], v[42:43]
	v_add_f64 v[72:73], v[72:73], v[74:75]
	v_mul_f64 v[74:75], v[44:45], v[50:51]
	s_lshl_b64 s[0:1], s[0:1], 4
	v_fma_f64 v[6:7], v[28:29], v[40:41], -v[6:7]
	v_fmac_f64_e32 v[74:75], v[46:47], v[48:49]
	s_add_u32 s2, s8, s0
	v_add_f64 v[4:5], v[4:5], v[6:7]
	v_mul_f64 v[6:7], v[46:47], v[50:51]
	v_add_f64 v[72:73], v[72:73], v[74:75]
	s_addc_u32 s3, s9, s1
	s_lshl_b64 s[0:1], s[6:7], 4
	v_fma_f64 v[6:7], v[44:45], v[48:49], -v[6:7]
	s_add_u32 s0, s2, s0
	v_add_f64 v[4:5], v[4:5], v[6:7]
	v_mul_f64 v[6:7], s[20:21], v[72:73]
	v_mul_f64 v[8:9], s[22:23], v[72:73]
	s_addc_u32 s1, s3, s1
	v_fmac_f64_e32 v[6:7], s[22:23], v[4:5]
	v_fma_f64 v[4:5], s[20:21], v[4:5], -v[8:9]
	v_mad_u64_u32 v[8:9], s[2:3], s10, v2, 0
	v_mov_b32_e32 v10, v9
	v_mad_u64_u32 v[2:3], s[2:3], s11, v2, v[10:11]
	v_mov_b32_e32 v9, v2
	v_lshl_add_u64 v[2:3], v[8:9], 4, s[0:1]
	v_mov_b32_e32 v1, 0
	v_lshl_add_u64 v[0:1], v[2:3], 0, v[0:1]
	global_store_dwordx4 v[0:1], v[4:7], off
.LBB138_15:
	s_endpgm
	.section	.rodata,"a",@progbits
	.p2align	6, 0x0
	.amdhsa_kernel _ZL23rocblas_trmm_rNx_kernelILi16E19rocblas_complex_numIdEPKS1_S2_S1_Ev13rocblas_fill_17rocblas_diagonal_iiT1_lPT2_llS8_llPT3_lli
		.amdhsa_group_segment_fixed_size 8192
		.amdhsa_private_segment_fixed_size 0
		.amdhsa_kernarg_size 108
		.amdhsa_user_sgpr_count 2
		.amdhsa_user_sgpr_dispatch_ptr 0
		.amdhsa_user_sgpr_queue_ptr 0
		.amdhsa_user_sgpr_kernarg_segment_ptr 1
		.amdhsa_user_sgpr_dispatch_id 0
		.amdhsa_user_sgpr_kernarg_preload_length 0
		.amdhsa_user_sgpr_kernarg_preload_offset 0
		.amdhsa_user_sgpr_private_segment_size 0
		.amdhsa_uses_dynamic_stack 0
		.amdhsa_enable_private_segment 0
		.amdhsa_system_sgpr_workgroup_id_x 1
		.amdhsa_system_sgpr_workgroup_id_y 0
		.amdhsa_system_sgpr_workgroup_id_z 1
		.amdhsa_system_sgpr_workgroup_info 0
		.amdhsa_system_vgpr_workitem_id 1
		.amdhsa_next_free_vgpr 76
		.amdhsa_next_free_sgpr 28
		.amdhsa_accum_offset 76
		.amdhsa_reserve_vcc 1
		.amdhsa_float_round_mode_32 0
		.amdhsa_float_round_mode_16_64 0
		.amdhsa_float_denorm_mode_32 3
		.amdhsa_float_denorm_mode_16_64 3
		.amdhsa_dx10_clamp 1
		.amdhsa_ieee_mode 1
		.amdhsa_fp16_overflow 0
		.amdhsa_tg_split 0
		.amdhsa_exception_fp_ieee_invalid_op 0
		.amdhsa_exception_fp_denorm_src 0
		.amdhsa_exception_fp_ieee_div_zero 0
		.amdhsa_exception_fp_ieee_overflow 0
		.amdhsa_exception_fp_ieee_underflow 0
		.amdhsa_exception_fp_ieee_inexact 0
		.amdhsa_exception_int_div_zero 0
	.end_amdhsa_kernel
	.section	.text._ZL23rocblas_trmm_rNx_kernelILi16E19rocblas_complex_numIdEPKS1_S2_S1_Ev13rocblas_fill_17rocblas_diagonal_iiT1_lPT2_llS8_llPT3_lli,"axG",@progbits,_ZL23rocblas_trmm_rNx_kernelILi16E19rocblas_complex_numIdEPKS1_S2_S1_Ev13rocblas_fill_17rocblas_diagonal_iiT1_lPT2_llS8_llPT3_lli,comdat
.Lfunc_end138:
	.size	_ZL23rocblas_trmm_rNx_kernelILi16E19rocblas_complex_numIdEPKS1_S2_S1_Ev13rocblas_fill_17rocblas_diagonal_iiT1_lPT2_llS8_llPT3_lli, .Lfunc_end138-_ZL23rocblas_trmm_rNx_kernelILi16E19rocblas_complex_numIdEPKS1_S2_S1_Ev13rocblas_fill_17rocblas_diagonal_iiT1_lPT2_llS8_llPT3_lli
                                        ; -- End function
	.set _ZL23rocblas_trmm_rNx_kernelILi16E19rocblas_complex_numIdEPKS1_S2_S1_Ev13rocblas_fill_17rocblas_diagonal_iiT1_lPT2_llS8_llPT3_lli.num_vgpr, 76
	.set _ZL23rocblas_trmm_rNx_kernelILi16E19rocblas_complex_numIdEPKS1_S2_S1_Ev13rocblas_fill_17rocblas_diagonal_iiT1_lPT2_llS8_llPT3_lli.num_agpr, 0
	.set _ZL23rocblas_trmm_rNx_kernelILi16E19rocblas_complex_numIdEPKS1_S2_S1_Ev13rocblas_fill_17rocblas_diagonal_iiT1_lPT2_llS8_llPT3_lli.numbered_sgpr, 28
	.set _ZL23rocblas_trmm_rNx_kernelILi16E19rocblas_complex_numIdEPKS1_S2_S1_Ev13rocblas_fill_17rocblas_diagonal_iiT1_lPT2_llS8_llPT3_lli.num_named_barrier, 0
	.set _ZL23rocblas_trmm_rNx_kernelILi16E19rocblas_complex_numIdEPKS1_S2_S1_Ev13rocblas_fill_17rocblas_diagonal_iiT1_lPT2_llS8_llPT3_lli.private_seg_size, 0
	.set _ZL23rocblas_trmm_rNx_kernelILi16E19rocblas_complex_numIdEPKS1_S2_S1_Ev13rocblas_fill_17rocblas_diagonal_iiT1_lPT2_llS8_llPT3_lli.uses_vcc, 1
	.set _ZL23rocblas_trmm_rNx_kernelILi16E19rocblas_complex_numIdEPKS1_S2_S1_Ev13rocblas_fill_17rocblas_diagonal_iiT1_lPT2_llS8_llPT3_lli.uses_flat_scratch, 0
	.set _ZL23rocblas_trmm_rNx_kernelILi16E19rocblas_complex_numIdEPKS1_S2_S1_Ev13rocblas_fill_17rocblas_diagonal_iiT1_lPT2_llS8_llPT3_lli.has_dyn_sized_stack, 0
	.set _ZL23rocblas_trmm_rNx_kernelILi16E19rocblas_complex_numIdEPKS1_S2_S1_Ev13rocblas_fill_17rocblas_diagonal_iiT1_lPT2_llS8_llPT3_lli.has_recursion, 0
	.set _ZL23rocblas_trmm_rNx_kernelILi16E19rocblas_complex_numIdEPKS1_S2_S1_Ev13rocblas_fill_17rocblas_diagonal_iiT1_lPT2_llS8_llPT3_lli.has_indirect_call, 0
	.section	.AMDGPU.csdata,"",@progbits
; Kernel info:
; codeLenInByte = 1768
; TotalNumSgprs: 34
; NumVgprs: 76
; NumAgprs: 0
; TotalNumVgprs: 76
; ScratchSize: 0
; MemoryBound: 0
; FloatMode: 240
; IeeeMode: 1
; LDSByteSize: 8192 bytes/workgroup (compile time only)
; SGPRBlocks: 4
; VGPRBlocks: 9
; NumSGPRsForWavesPerEU: 34
; NumVGPRsForWavesPerEU: 76
; AccumOffset: 76
; Occupancy: 6
; WaveLimiterHint : 0
; COMPUTE_PGM_RSRC2:SCRATCH_EN: 0
; COMPUTE_PGM_RSRC2:USER_SGPR: 2
; COMPUTE_PGM_RSRC2:TRAP_HANDLER: 0
; COMPUTE_PGM_RSRC2:TGID_X_EN: 1
; COMPUTE_PGM_RSRC2:TGID_Y_EN: 0
; COMPUTE_PGM_RSRC2:TGID_Z_EN: 1
; COMPUTE_PGM_RSRC2:TIDIG_COMP_CNT: 1
; COMPUTE_PGM_RSRC3_GFX90A:ACCUM_OFFSET: 18
; COMPUTE_PGM_RSRC3_GFX90A:TG_SPLIT: 0
	.section	.text._ZL23rocblas_trmm_rNx_kernelILi16E19rocblas_complex_numIdES1_KS1_S1_Ev13rocblas_fill_17rocblas_diagonal_iiT1_lPT2_llS7_llPT3_lli,"axG",@progbits,_ZL23rocblas_trmm_rNx_kernelILi16E19rocblas_complex_numIdES1_KS1_S1_Ev13rocblas_fill_17rocblas_diagonal_iiT1_lPT2_llS7_llPT3_lli,comdat
	.globl	_ZL23rocblas_trmm_rNx_kernelILi16E19rocblas_complex_numIdES1_KS1_S1_Ev13rocblas_fill_17rocblas_diagonal_iiT1_lPT2_llS7_llPT3_lli ; -- Begin function _ZL23rocblas_trmm_rNx_kernelILi16E19rocblas_complex_numIdES1_KS1_S1_Ev13rocblas_fill_17rocblas_diagonal_iiT1_lPT2_llS7_llPT3_lli
	.p2align	8
	.type	_ZL23rocblas_trmm_rNx_kernelILi16E19rocblas_complex_numIdES1_KS1_S1_Ev13rocblas_fill_17rocblas_diagonal_iiT1_lPT2_llS7_llPT3_lli,@function
_ZL23rocblas_trmm_rNx_kernelILi16E19rocblas_complex_numIdES1_KS1_S1_Ev13rocblas_fill_17rocblas_diagonal_iiT1_lPT2_llS7_llPT3_lli: ; @_ZL23rocblas_trmm_rNx_kernelILi16E19rocblas_complex_numIdES1_KS1_S1_Ev13rocblas_fill_17rocblas_diagonal_iiT1_lPT2_llS7_llPT3_lli
; %bb.0:
	s_load_dwordx4 s[24:27], s[0:1], 0x10
	s_waitcnt lgkmcnt(0)
	v_cmp_neq_f64_e64 s[4:5], s[24:25], 0
	v_cmp_neq_f64_e64 s[6:7], s[26:27], 0
	s_or_b64 s[4:5], s[4:5], s[6:7]
	s_andn2_b64 vcc, exec, s[4:5]
	s_cbranch_vccnz .LBB139_15
; %bb.1:
	s_load_dwordx4 s[28:31], s[0:1], 0x0
	s_load_dwordx16 s[8:23], s[0:1], 0x28
	s_mov_b32 s4, 0
	s_mov_b32 s6, s4
	;; [unrolled: 1-line block ×3, first 2 shown]
	v_and_b32_e32 v5, 0x3ff, v0
	v_bfe_u32 v2, v0, 10, 10
	s_mov_b32 s5, s4
	v_mov_b64_e32 v[8:9], s[6:7]
	v_lshlrev_b32_e32 v3, 4, v2
	v_mov_b64_e32 v[6:7], s[4:5]
	s_waitcnt lgkmcnt(0)
	v_cmp_gt_i32_e32 vcc, s31, v2
	v_cmp_gt_i32_e64 s[4:5], s31, v5
	v_add_lshl_u32 v4, v3, v5, 4
	s_and_b64 s[6:7], vcc, s[4:5]
	v_lshlrev_b32_e32 v0, 4, v5
	ds_write_b128 v4, v[6:9]
	ds_write_b128 v4, v[6:9] offset:4096
	s_and_saveexec_b64 s[4:5], s[6:7]
	s_cbranch_execz .LBB139_3
; %bb.2:
	s_mul_i32 s6, s13, s3
	s_mul_hi_u32 s7, s12, s3
	s_add_i32 s7, s7, s6
	s_mul_i32 s6, s12, s3
	s_lshl_b64 s[6:7], s[6:7], 4
	s_add_u32 s6, s8, s6
	s_addc_u32 s7, s9, s7
	v_mad_u64_u32 v[6:7], s[8:9], s10, v2, 0
	v_mov_b32_e32 v8, v7
	v_mad_u64_u32 v[8:9], s[8:9], s11, v2, v[8:9]
	v_mov_b32_e32 v7, v8
	v_lshl_add_u64 v[6:7], v[6:7], 4, s[6:7]
	v_mov_b32_e32 v1, 0
	v_lshl_add_u64 v[6:7], v[6:7], 0, v[0:1]
	global_load_dwordx4 v[6:9], v[6:7], off
	s_waitcnt vmcnt(0)
	ds_write2_b64 v4, v[6:7], v[8:9] offset1:1
.LBB139_3:
	s_or_b64 exec, exec, s[4:5]
	s_add_i32 s4, s30, -1
	s_ashr_i32 s5, s4, 31
	s_lshr_b32 s5, s5, 28
	s_add_i32 s4, s4, s5
	s_ashr_i32 s5, s4, 4
	s_and_b32 s4, s4, -16
	s_sub_i32 s4, s30, s4
	s_cmp_ge_i32 s2, s5
	s_cselect_b32 s4, s4, 16
	s_lshl_b32 s6, s2, 4
	v_cmp_gt_i32_e64 s[4:5], s4, v5
	s_ashr_i32 s7, s6, 31
	s_and_b64 s[4:5], vcc, s[4:5]
	s_and_saveexec_b64 s[8:9], s[4:5]
	s_cbranch_execz .LBB139_5
; %bb.4:
	s_mul_i32 s2, s19, s3
	s_mul_hi_u32 s10, s18, s3
	s_add_i32 s11, s10, s2
	s_mul_i32 s10, s18, s3
	s_lshl_b64 s[10:11], s[10:11], 4
	s_add_u32 s2, s14, s10
	s_addc_u32 s12, s15, s11
	s_lshl_b64 s[10:11], s[6:7], 4
	s_add_u32 s10, s2, s10
	s_addc_u32 s11, s12, s11
	v_mad_u64_u32 v[6:7], s[12:13], s16, v2, 0
	v_mov_b32_e32 v8, v7
	v_mad_u64_u32 v[8:9], s[12:13], s17, v2, v[8:9]
	v_mov_b32_e32 v7, v8
	v_lshl_add_u64 v[6:7], v[6:7], 4, s[10:11]
	v_mov_b32_e32 v1, 0
	v_lshl_add_u64 v[6:7], v[6:7], 0, v[0:1]
	global_load_dwordx4 v[6:9], v[6:7], off
	v_add_u32_e32 v1, 0x1000, v4
	s_waitcnt vmcnt(0)
	ds_write2_b64 v1, v[6:7], v[8:9] offset1:1
.LBB139_5:
	s_or_b64 exec, exec, s[8:9]
	s_cmpk_eq_i32 s29, 0x84
	s_cselect_b64 s[8:9], -1, 0
	v_cmp_eq_u32_e32 vcc, v2, v5
	s_and_b64 s[10:11], vcc, s[8:9]
	s_and_saveexec_b64 s[8:9], s[10:11]
; %bb.6:
	v_mov_b32_e32 v6, 0
	v_mov_b32_e32 v7, 0x3ff00000
	;; [unrolled: 1-line block ×4, first 2 shown]
	ds_write_b128 v4, v[6:9]
; %bb.7:
	s_or_b64 exec, exec, s[8:9]
	s_cmpk_lg_i32 s28, 0x79
	s_cbranch_scc0 .LBB139_9
; %bb.8:
	v_cmp_lt_u32_e32 vcc, v5, v2
	s_and_b64 s[8:9], vcc, exec
	s_cbranch_execz .LBB139_10
	s_branch .LBB139_11
.LBB139_9:
	s_mov_b64 s[8:9], 0
.LBB139_10:
	v_cmp_gt_u32_e32 vcc, v5, v2
	s_andn2_b64 s[8:9], s[8:9], exec
	s_and_b64 s[10:11], vcc, exec
	s_or_b64 s[8:9], s[8:9], s[10:11]
.LBB139_11:
	s_and_saveexec_b64 s[10:11], s[8:9]
; %bb.12:
	v_mov_b32_e32 v6, 0
	v_mov_b32_e32 v7, v6
	;; [unrolled: 1-line block ×4, first 2 shown]
	ds_write_b128 v4, v[6:9]
; %bb.13:
	s_or_b64 exec, exec, s[10:11]
	s_waitcnt lgkmcnt(0)
	s_barrier
	s_and_saveexec_b64 s[8:9], s[4:5]
	s_cbranch_execz .LBB139_15
; %bb.14:
	v_lshlrev_b32_e32 v1, 4, v3
	ds_read_b128 v[4:7], v0 offset:4096
	ds_read_b128 v[8:11], v1
	ds_read_b128 v[12:15], v1 offset:16
	ds_read_b128 v[16:19], v1 offset:32
	ds_read_b128 v[20:23], v1 offset:48
	ds_read_b128 v[24:27], v0 offset:4352
	s_waitcnt lgkmcnt(4)
	v_mul_f64 v[28:29], v[8:9], v[6:7]
	v_fmac_f64_e32 v[28:29], v[10:11], v[4:5]
	v_add_f64 v[36:37], v[28:29], 0
	ds_read_b128 v[28:31], v0 offset:4608
	ds_read_b128 v[32:35], v0 offset:4864
	s_waitcnt lgkmcnt(2)
	v_mul_f64 v[38:39], v[12:13], v[26:27]
	v_fmac_f64_e32 v[38:39], v[14:15], v[24:25]
	v_add_f64 v[36:37], v[36:37], v[38:39]
	s_waitcnt lgkmcnt(1)
	v_mul_f64 v[38:39], v[16:17], v[30:31]
	v_fmac_f64_e32 v[38:39], v[18:19], v[28:29]
	v_add_f64 v[52:53], v[36:37], v[38:39]
	ds_read_b128 v[36:39], v1 offset:64
	ds_read_b128 v[40:43], v0 offset:5120
	;; [unrolled: 1-line block ×4, first 2 shown]
	s_waitcnt lgkmcnt(4)
	v_mul_f64 v[54:55], v[20:21], v[34:35]
	v_fmac_f64_e32 v[54:55], v[22:23], v[32:33]
	v_add_f64 v[52:53], v[52:53], v[54:55]
	s_waitcnt lgkmcnt(2)
	v_mul_f64 v[54:55], v[36:37], v[42:43]
	v_fmac_f64_e32 v[54:55], v[38:39], v[40:41]
	v_add_f64 v[52:53], v[52:53], v[54:55]
	s_waitcnt lgkmcnt(0)
	v_mul_f64 v[54:55], v[44:45], v[50:51]
	v_fmac_f64_e32 v[54:55], v[46:47], v[48:49]
	v_mul_f64 v[6:7], v[10:11], v[6:7]
	v_add_f64 v[56:57], v[52:53], v[54:55]
	ds_read_b128 v[52:55], v1 offset:96
	v_fma_f64 v[58:59], v[8:9], v[4:5], -v[6:7]
	ds_read_b128 v[4:7], v0 offset:5632
	v_mul_f64 v[8:9], v[14:15], v[26:27]
	v_fma_f64 v[60:61], v[12:13], v[24:25], -v[8:9]
	ds_read_b128 v[8:11], v1 offset:112
	ds_read_b128 v[12:15], v0 offset:5888
	v_mul_f64 v[18:19], v[18:19], v[30:31]
	v_mul_f64 v[22:23], v[22:23], v[34:35]
	v_fma_f64 v[62:63], v[16:17], v[28:29], -v[18:19]
	ds_read_b128 v[16:19], v1 offset:128
	v_fma_f64 v[66:67], v[20:21], v[32:33], -v[22:23]
	ds_read_b128 v[20:23], v0 offset:6144
	s_waitcnt lgkmcnt(4)
	v_mul_f64 v[24:25], v[52:53], v[6:7]
	v_fmac_f64_e32 v[24:25], v[54:55], v[4:5]
	s_waitcnt lgkmcnt(2)
	v_mul_f64 v[64:65], v[8:9], v[14:15]
	v_add_f64 v[56:57], v[56:57], v[24:25]
	v_fmac_f64_e32 v[64:65], v[10:11], v[12:13]
	s_waitcnt lgkmcnt(0)
	v_mul_f64 v[34:35], v[16:17], v[22:23]
	v_mul_f64 v[24:25], v[38:39], v[42:43]
	v_add_f64 v[32:33], v[56:57], v[64:65]
	v_fmac_f64_e32 v[34:35], v[18:19], v[20:21]
	v_fma_f64 v[68:69], v[36:37], v[40:41], -v[24:25]
	ds_read_b128 v[24:27], v1 offset:144
	ds_read_b128 v[28:31], v0 offset:6400
	v_add_f64 v[40:41], v[32:33], v[34:35]
	v_mul_f64 v[32:33], v[46:47], v[50:51]
	v_fma_f64 v[56:57], v[44:45], v[48:49], -v[32:33]
	ds_read_b128 v[32:35], v0 offset:6656
	v_mul_f64 v[6:7], v[54:55], v[6:7]
	v_fma_f64 v[52:53], v[52:53], v[4:5], -v[6:7]
	ds_read_b128 v[4:7], v1 offset:160
	ds_read_b128 v[36:39], v1 offset:176
	s_waitcnt lgkmcnt(3)
	v_mul_f64 v[42:43], v[24:25], v[30:31]
	v_fmac_f64_e32 v[42:43], v[26:27], v[28:29]
	v_mul_f64 v[10:11], v[10:11], v[14:15]
	s_waitcnt lgkmcnt(1)
	v_mul_f64 v[14:15], v[4:5], v[34:35]
	v_fma_f64 v[54:55], v[8:9], v[12:13], -v[10:11]
	v_add_f64 v[12:13], v[40:41], v[42:43]
	v_fmac_f64_e32 v[14:15], v[6:7], v[32:33]
	v_add_f64 v[58:59], v[58:59], 0
	ds_read_b128 v[8:11], v0 offset:6912
	v_add_f64 v[40:41], v[12:13], v[14:15]
	v_mul_f64 v[12:13], v[18:19], v[22:23]
	v_add_f64 v[58:59], v[58:59], v[60:61]
	v_fma_f64 v[64:65], v[16:17], v[20:21], -v[12:13]
	ds_read_b128 v[12:15], v1 offset:192
	ds_read_b128 v[16:19], v0 offset:7168
	v_add_f64 v[58:59], v[58:59], v[62:63]
	v_add_f64 v[58:59], v[58:59], v[66:67]
	v_add_f64 v[58:59], v[58:59], v[68:69]
	v_add_f64 v[56:57], v[58:59], v[56:57]
	s_waitcnt lgkmcnt(2)
	v_mul_f64 v[42:43], v[36:37], v[10:11]
	v_mul_f64 v[20:21], v[26:27], v[30:31]
	v_add_f64 v[52:53], v[56:57], v[52:53]
	v_fmac_f64_e32 v[42:43], v[38:39], v[8:9]
	v_fma_f64 v[70:71], v[24:25], v[28:29], -v[20:21]
	ds_read_b128 v[20:23], v1 offset:208
	ds_read_b128 v[24:27], v0 offset:7424
	s_waitcnt lgkmcnt(2)
	v_mul_f64 v[30:31], v[12:13], v[18:19]
	v_add_f64 v[52:53], v[52:53], v[54:55]
	v_add_f64 v[28:29], v[40:41], v[42:43]
	v_fmac_f64_e32 v[30:31], v[14:15], v[16:17]
	v_add_f64 v[52:53], v[52:53], v[64:65]
	v_mul_f64 v[6:7], v[6:7], v[34:35]
	v_add_f64 v[72:73], v[28:29], v[30:31]
	ds_read_b128 v[28:31], v1 offset:224
	ds_read_b128 v[40:43], v0 offset:7680
	s_load_dwordx2 s[0:1], s[0:1], 0x68
	v_add_f64 v[52:53], v[52:53], v[70:71]
	v_fma_f64 v[4:5], v[4:5], v[32:33], -v[6:7]
	v_mul_f64 v[6:7], v[38:39], v[10:11]
	v_add_f64 v[4:5], v[52:53], v[4:5]
	v_fma_f64 v[6:7], v[36:37], v[8:9], -v[6:7]
	ds_read_b128 v[44:47], v1 offset:240
	ds_read_b128 v[48:51], v0 offset:7936
	v_add_f64 v[4:5], v[4:5], v[6:7]
	v_mul_f64 v[6:7], v[14:15], v[18:19]
	s_waitcnt lgkmcnt(0)
	v_mul_f64 v[74:75], v[20:21], v[26:27]
	v_fma_f64 v[6:7], v[12:13], v[16:17], -v[6:7]
	v_fmac_f64_e32 v[74:75], v[22:23], v[24:25]
	v_add_f64 v[4:5], v[4:5], v[6:7]
	v_mul_f64 v[6:7], v[22:23], v[26:27]
	v_add_f64 v[72:73], v[72:73], v[74:75]
	v_mul_f64 v[74:75], v[28:29], v[42:43]
	s_mul_i32 s1, s1, s3
	s_mul_hi_u32 s2, s0, s3
	v_fma_f64 v[6:7], v[20:21], v[24:25], -v[6:7]
	v_fmac_f64_e32 v[74:75], v[30:31], v[40:41]
	s_add_i32 s1, s2, s1
	s_mul_i32 s0, s0, s3
	v_add_f64 v[4:5], v[4:5], v[6:7]
	v_mul_f64 v[6:7], v[30:31], v[42:43]
	v_add_f64 v[72:73], v[72:73], v[74:75]
	v_mul_f64 v[74:75], v[44:45], v[50:51]
	s_lshl_b64 s[0:1], s[0:1], 4
	v_fma_f64 v[6:7], v[28:29], v[40:41], -v[6:7]
	v_fmac_f64_e32 v[74:75], v[46:47], v[48:49]
	s_add_u32 s2, s20, s0
	v_add_f64 v[4:5], v[4:5], v[6:7]
	v_mul_f64 v[6:7], v[46:47], v[50:51]
	v_add_f64 v[72:73], v[72:73], v[74:75]
	s_addc_u32 s3, s21, s1
	s_lshl_b64 s[0:1], s[6:7], 4
	v_fma_f64 v[6:7], v[44:45], v[48:49], -v[6:7]
	s_add_u32 s0, s2, s0
	v_add_f64 v[4:5], v[4:5], v[6:7]
	v_mul_f64 v[6:7], s[24:25], v[72:73]
	v_mul_f64 v[8:9], s[26:27], v[72:73]
	s_addc_u32 s1, s3, s1
	v_fmac_f64_e32 v[6:7], s[26:27], v[4:5]
	v_fma_f64 v[4:5], s[24:25], v[4:5], -v[8:9]
	v_mad_u64_u32 v[8:9], s[2:3], s22, v2, 0
	v_mov_b32_e32 v10, v9
	v_mad_u64_u32 v[2:3], s[2:3], s23, v2, v[10:11]
	v_mov_b32_e32 v9, v2
	v_lshl_add_u64 v[2:3], v[8:9], 4, s[0:1]
	v_mov_b32_e32 v1, 0
	v_lshl_add_u64 v[0:1], v[2:3], 0, v[0:1]
	global_store_dwordx4 v[0:1], v[4:7], off
.LBB139_15:
	s_endpgm
	.section	.rodata,"a",@progbits
	.p2align	6, 0x0
	.amdhsa_kernel _ZL23rocblas_trmm_rNx_kernelILi16E19rocblas_complex_numIdES1_KS1_S1_Ev13rocblas_fill_17rocblas_diagonal_iiT1_lPT2_llS7_llPT3_lli
		.amdhsa_group_segment_fixed_size 8192
		.amdhsa_private_segment_fixed_size 0
		.amdhsa_kernarg_size 116
		.amdhsa_user_sgpr_count 2
		.amdhsa_user_sgpr_dispatch_ptr 0
		.amdhsa_user_sgpr_queue_ptr 0
		.amdhsa_user_sgpr_kernarg_segment_ptr 1
		.amdhsa_user_sgpr_dispatch_id 0
		.amdhsa_user_sgpr_kernarg_preload_length 0
		.amdhsa_user_sgpr_kernarg_preload_offset 0
		.amdhsa_user_sgpr_private_segment_size 0
		.amdhsa_uses_dynamic_stack 0
		.amdhsa_enable_private_segment 0
		.amdhsa_system_sgpr_workgroup_id_x 1
		.amdhsa_system_sgpr_workgroup_id_y 0
		.amdhsa_system_sgpr_workgroup_id_z 1
		.amdhsa_system_sgpr_workgroup_info 0
		.amdhsa_system_vgpr_workitem_id 1
		.amdhsa_next_free_vgpr 76
		.amdhsa_next_free_sgpr 32
		.amdhsa_accum_offset 76
		.amdhsa_reserve_vcc 1
		.amdhsa_float_round_mode_32 0
		.amdhsa_float_round_mode_16_64 0
		.amdhsa_float_denorm_mode_32 3
		.amdhsa_float_denorm_mode_16_64 3
		.amdhsa_dx10_clamp 1
		.amdhsa_ieee_mode 1
		.amdhsa_fp16_overflow 0
		.amdhsa_tg_split 0
		.amdhsa_exception_fp_ieee_invalid_op 0
		.amdhsa_exception_fp_denorm_src 0
		.amdhsa_exception_fp_ieee_div_zero 0
		.amdhsa_exception_fp_ieee_overflow 0
		.amdhsa_exception_fp_ieee_underflow 0
		.amdhsa_exception_fp_ieee_inexact 0
		.amdhsa_exception_int_div_zero 0
	.end_amdhsa_kernel
	.section	.text._ZL23rocblas_trmm_rNx_kernelILi16E19rocblas_complex_numIdES1_KS1_S1_Ev13rocblas_fill_17rocblas_diagonal_iiT1_lPT2_llS7_llPT3_lli,"axG",@progbits,_ZL23rocblas_trmm_rNx_kernelILi16E19rocblas_complex_numIdES1_KS1_S1_Ev13rocblas_fill_17rocblas_diagonal_iiT1_lPT2_llS7_llPT3_lli,comdat
.Lfunc_end139:
	.size	_ZL23rocblas_trmm_rNx_kernelILi16E19rocblas_complex_numIdES1_KS1_S1_Ev13rocblas_fill_17rocblas_diagonal_iiT1_lPT2_llS7_llPT3_lli, .Lfunc_end139-_ZL23rocblas_trmm_rNx_kernelILi16E19rocblas_complex_numIdES1_KS1_S1_Ev13rocblas_fill_17rocblas_diagonal_iiT1_lPT2_llS7_llPT3_lli
                                        ; -- End function
	.set _ZL23rocblas_trmm_rNx_kernelILi16E19rocblas_complex_numIdES1_KS1_S1_Ev13rocblas_fill_17rocblas_diagonal_iiT1_lPT2_llS7_llPT3_lli.num_vgpr, 76
	.set _ZL23rocblas_trmm_rNx_kernelILi16E19rocblas_complex_numIdES1_KS1_S1_Ev13rocblas_fill_17rocblas_diagonal_iiT1_lPT2_llS7_llPT3_lli.num_agpr, 0
	.set _ZL23rocblas_trmm_rNx_kernelILi16E19rocblas_complex_numIdES1_KS1_S1_Ev13rocblas_fill_17rocblas_diagonal_iiT1_lPT2_llS7_llPT3_lli.numbered_sgpr, 32
	.set _ZL23rocblas_trmm_rNx_kernelILi16E19rocblas_complex_numIdES1_KS1_S1_Ev13rocblas_fill_17rocblas_diagonal_iiT1_lPT2_llS7_llPT3_lli.num_named_barrier, 0
	.set _ZL23rocblas_trmm_rNx_kernelILi16E19rocblas_complex_numIdES1_KS1_S1_Ev13rocblas_fill_17rocblas_diagonal_iiT1_lPT2_llS7_llPT3_lli.private_seg_size, 0
	.set _ZL23rocblas_trmm_rNx_kernelILi16E19rocblas_complex_numIdES1_KS1_S1_Ev13rocblas_fill_17rocblas_diagonal_iiT1_lPT2_llS7_llPT3_lli.uses_vcc, 1
	.set _ZL23rocblas_trmm_rNx_kernelILi16E19rocblas_complex_numIdES1_KS1_S1_Ev13rocblas_fill_17rocblas_diagonal_iiT1_lPT2_llS7_llPT3_lli.uses_flat_scratch, 0
	.set _ZL23rocblas_trmm_rNx_kernelILi16E19rocblas_complex_numIdES1_KS1_S1_Ev13rocblas_fill_17rocblas_diagonal_iiT1_lPT2_llS7_llPT3_lli.has_dyn_sized_stack, 0
	.set _ZL23rocblas_trmm_rNx_kernelILi16E19rocblas_complex_numIdES1_KS1_S1_Ev13rocblas_fill_17rocblas_diagonal_iiT1_lPT2_llS7_llPT3_lli.has_recursion, 0
	.set _ZL23rocblas_trmm_rNx_kernelILi16E19rocblas_complex_numIdES1_KS1_S1_Ev13rocblas_fill_17rocblas_diagonal_iiT1_lPT2_llS7_llPT3_lli.has_indirect_call, 0
	.section	.AMDGPU.csdata,"",@progbits
; Kernel info:
; codeLenInByte = 1728
; TotalNumSgprs: 38
; NumVgprs: 76
; NumAgprs: 0
; TotalNumVgprs: 76
; ScratchSize: 0
; MemoryBound: 0
; FloatMode: 240
; IeeeMode: 1
; LDSByteSize: 8192 bytes/workgroup (compile time only)
; SGPRBlocks: 4
; VGPRBlocks: 9
; NumSGPRsForWavesPerEU: 38
; NumVGPRsForWavesPerEU: 76
; AccumOffset: 76
; Occupancy: 6
; WaveLimiterHint : 0
; COMPUTE_PGM_RSRC2:SCRATCH_EN: 0
; COMPUTE_PGM_RSRC2:USER_SGPR: 2
; COMPUTE_PGM_RSRC2:TRAP_HANDLER: 0
; COMPUTE_PGM_RSRC2:TGID_X_EN: 1
; COMPUTE_PGM_RSRC2:TGID_Y_EN: 0
; COMPUTE_PGM_RSRC2:TGID_Z_EN: 1
; COMPUTE_PGM_RSRC2:TIDIG_COMP_CNT: 1
; COMPUTE_PGM_RSRC3_GFX90A:ACCUM_OFFSET: 18
; COMPUTE_PGM_RSRC3_GFX90A:TG_SPLIT: 0
	.section	.text._ZL23rocblas_trmm_rTx_kernelILi16ELb0E19rocblas_complex_numIdEPKS1_S2_S1_Ev13rocblas_fill_17rocblas_diagonal_iiT2_lPT3_llS8_llPT4_lli,"axG",@progbits,_ZL23rocblas_trmm_rTx_kernelILi16ELb0E19rocblas_complex_numIdEPKS1_S2_S1_Ev13rocblas_fill_17rocblas_diagonal_iiT2_lPT3_llS8_llPT4_lli,comdat
	.globl	_ZL23rocblas_trmm_rTx_kernelILi16ELb0E19rocblas_complex_numIdEPKS1_S2_S1_Ev13rocblas_fill_17rocblas_diagonal_iiT2_lPT3_llS8_llPT4_lli ; -- Begin function _ZL23rocblas_trmm_rTx_kernelILi16ELb0E19rocblas_complex_numIdEPKS1_S2_S1_Ev13rocblas_fill_17rocblas_diagonal_iiT2_lPT3_llS8_llPT4_lli
	.p2align	8
	.type	_ZL23rocblas_trmm_rTx_kernelILi16ELb0E19rocblas_complex_numIdEPKS1_S2_S1_Ev13rocblas_fill_17rocblas_diagonal_iiT2_lPT3_llS8_llPT4_lli,@function
_ZL23rocblas_trmm_rTx_kernelILi16ELb0E19rocblas_complex_numIdEPKS1_S2_S1_Ev13rocblas_fill_17rocblas_diagonal_iiT2_lPT3_llS8_llPT4_lli: ; @_ZL23rocblas_trmm_rTx_kernelILi16ELb0E19rocblas_complex_numIdEPKS1_S2_S1_Ev13rocblas_fill_17rocblas_diagonal_iiT2_lPT3_llS8_llPT4_lli
; %bb.0:
	s_load_dwordx16 s[4:19], s[0:1], 0x10
	s_waitcnt lgkmcnt(0)
	s_mul_i32 s7, s7, s3
	s_mul_hi_u32 s20, s6, s3
	s_add_i32 s7, s20, s7
	s_mul_i32 s6, s6, s3
	s_lshl_b64 s[6:7], s[6:7], 4
	s_add_u32 s4, s4, s6
	s_addc_u32 s5, s5, s7
	s_load_dwordx4 s[20:23], s[4:5], 0x0
	s_waitcnt lgkmcnt(0)
	v_cmp_neq_f64_e64 s[4:5], s[20:21], 0
	v_cmp_neq_f64_e64 s[6:7], s[22:23], 0
	s_or_b64 s[4:5], s[4:5], s[6:7]
	s_andn2_b64 vcc, exec, s[4:5]
	s_cbranch_vccnz .LBB140_15
; %bb.1:
	s_load_dwordx4 s[24:27], s[0:1], 0x0
	s_mov_b32 s4, 0
	s_mov_b32 s6, s4
	;; [unrolled: 1-line block ×3, first 2 shown]
	v_and_b32_e32 v5, 0x3ff, v0
	v_bfe_u32 v2, v0, 10, 10
	s_mov_b32 s5, s4
	v_mov_b64_e32 v[8:9], s[6:7]
	v_lshlrev_b32_e32 v3, 4, v2
	v_mov_b64_e32 v[6:7], s[4:5]
	s_waitcnt lgkmcnt(0)
	v_cmp_gt_i32_e32 vcc, s27, v2
	v_cmp_gt_i32_e64 s[4:5], s27, v5
	v_add_lshl_u32 v4, v3, v5, 4
	s_and_b64 s[6:7], vcc, s[4:5]
	v_lshlrev_b32_e32 v0, 4, v5
	ds_write_b128 v4, v[6:9]
	ds_write_b128 v4, v[6:9] offset:4096
	s_and_saveexec_b64 s[4:5], s[6:7]
	s_cbranch_execz .LBB140_3
; %bb.2:
	s_mul_i32 s6, s13, s3
	s_mul_hi_u32 s7, s12, s3
	s_add_i32 s7, s7, s6
	s_mul_i32 s6, s12, s3
	s_lshl_b64 s[6:7], s[6:7], 4
	s_add_u32 s6, s8, s6
	s_addc_u32 s7, s9, s7
	v_mad_u64_u32 v[6:7], s[8:9], s10, v2, 0
	v_mov_b32_e32 v8, v7
	v_mad_u64_u32 v[8:9], s[8:9], s11, v2, v[8:9]
	v_mov_b32_e32 v7, v8
	v_lshl_add_u64 v[6:7], v[6:7], 4, s[6:7]
	v_mov_b32_e32 v1, 0
	v_lshl_add_u64 v[6:7], v[6:7], 0, v[0:1]
	global_load_dwordx4 v[6:9], v[6:7], off
	s_waitcnt vmcnt(0)
	ds_write2_b64 v4, v[6:7], v[8:9] offset1:1
.LBB140_3:
	s_or_b64 exec, exec, s[4:5]
	s_add_i32 s4, s26, -1
	s_ashr_i32 s5, s4, 31
	s_lshr_b32 s5, s5, 28
	s_add_i32 s4, s4, s5
	s_ashr_i32 s5, s4, 4
	s_and_b32 s4, s4, -16
	s_sub_i32 s4, s26, s4
	s_cmp_ge_i32 s2, s5
	s_cselect_b32 s4, s4, 16
	s_lshl_b32 s6, s2, 4
	v_cmp_gt_i32_e64 s[4:5], s4, v5
	s_ashr_i32 s7, s6, 31
	s_and_b64 s[4:5], vcc, s[4:5]
	s_and_saveexec_b64 s[8:9], s[4:5]
	s_cbranch_execz .LBB140_5
; %bb.4:
	s_mul_i32 s2, s19, s3
	s_mul_hi_u32 s10, s18, s3
	s_add_i32 s11, s10, s2
	s_mul_i32 s10, s18, s3
	s_lshl_b64 s[10:11], s[10:11], 4
	s_add_u32 s2, s14, s10
	s_addc_u32 s12, s15, s11
	s_lshl_b64 s[10:11], s[6:7], 4
	s_add_u32 s10, s2, s10
	s_addc_u32 s11, s12, s11
	v_mad_u64_u32 v[6:7], s[12:13], s16, v2, 0
	v_mov_b32_e32 v8, v7
	v_mad_u64_u32 v[8:9], s[12:13], s17, v2, v[8:9]
	v_mov_b32_e32 v7, v8
	v_lshl_add_u64 v[6:7], v[6:7], 4, s[10:11]
	v_mov_b32_e32 v1, 0
	v_lshl_add_u64 v[6:7], v[6:7], 0, v[0:1]
	global_load_dwordx4 v[6:9], v[6:7], off
	v_add_u32_e32 v1, 0x1000, v4
	s_waitcnt vmcnt(0)
	ds_write2_b64 v1, v[6:7], v[8:9] offset1:1
.LBB140_5:
	s_or_b64 exec, exec, s[8:9]
	s_cmpk_eq_i32 s25, 0x84
	s_cselect_b64 s[8:9], -1, 0
	v_cmp_eq_u32_e32 vcc, v2, v5
	s_and_b64 s[10:11], vcc, s[8:9]
	s_and_saveexec_b64 s[8:9], s[10:11]
; %bb.6:
	v_mov_b32_e32 v6, 0
	v_mov_b32_e32 v7, 0x3ff00000
	;; [unrolled: 1-line block ×4, first 2 shown]
	ds_write_b128 v4, v[6:9]
; %bb.7:
	s_or_b64 exec, exec, s[8:9]
	s_cmpk_lg_i32 s24, 0x79
	s_cbranch_scc0 .LBB140_9
; %bb.8:
	v_cmp_lt_u32_e32 vcc, v5, v2
	s_and_b64 s[8:9], vcc, exec
	s_cbranch_execz .LBB140_10
	s_branch .LBB140_11
.LBB140_9:
	s_mov_b64 s[8:9], 0
.LBB140_10:
	v_cmp_gt_u32_e32 vcc, v5, v2
	s_andn2_b64 s[8:9], s[8:9], exec
	s_and_b64 s[10:11], vcc, exec
	s_or_b64 s[8:9], s[8:9], s[10:11]
.LBB140_11:
	s_and_saveexec_b64 s[10:11], s[8:9]
; %bb.12:
	v_mov_b32_e32 v6, 0
	v_mov_b32_e32 v7, v6
	;; [unrolled: 1-line block ×4, first 2 shown]
	ds_write_b128 v4, v[6:9]
; %bb.13:
	s_or_b64 exec, exec, s[10:11]
	s_waitcnt lgkmcnt(0)
	s_barrier
	s_and_saveexec_b64 s[8:9], s[4:5]
	s_cbranch_execz .LBB140_15
; %bb.14:
	ds_read_b128 v[4:7], v3
	ds_read_b128 v[8:11], v3 offset:256
	ds_read_b128 v[12:15], v0 offset:4096
	;; [unrolled: 1-line block ×3, first 2 shown]
	s_load_dwordx2 s[4:5], s[0:1], 0x60
	s_load_dwordx4 s[8:11], s[0:1], 0x50
	v_mov_b32_e32 v1, 0
	s_waitcnt lgkmcnt(0)
	v_mul_f64 v[20:21], v[4:5], v[14:15]
	v_fmac_f64_e32 v[20:21], v[6:7], v[12:13]
	v_add_f64 v[38:39], v[20:21], 0
	ds_read_b128 v[20:23], v3 offset:512
	ds_read_b128 v[24:27], v0 offset:4608
	v_mul_f64 v[36:37], v[8:9], v[18:19]
	v_fmac_f64_e32 v[36:37], v[10:11], v[16:17]
	ds_read_b128 v[28:31], v3 offset:768
	ds_read_b128 v[32:35], v0 offset:4864
	v_add_f64 v[36:37], v[38:39], v[36:37]
	s_waitcnt lgkmcnt(2)
	v_mul_f64 v[38:39], v[20:21], v[26:27]
	v_fmac_f64_e32 v[38:39], v[22:23], v[24:25]
	v_add_f64 v[52:53], v[36:37], v[38:39]
	ds_read_b128 v[36:39], v3 offset:1024
	ds_read_b128 v[40:43], v0 offset:5120
	;; [unrolled: 1-line block ×4, first 2 shown]
	s_waitcnt lgkmcnt(4)
	v_mul_f64 v[54:55], v[28:29], v[34:35]
	v_fmac_f64_e32 v[54:55], v[30:31], v[32:33]
	v_add_f64 v[52:53], v[52:53], v[54:55]
	s_waitcnt lgkmcnt(2)
	v_mul_f64 v[54:55], v[36:37], v[42:43]
	v_fmac_f64_e32 v[54:55], v[38:39], v[40:41]
	v_add_f64 v[52:53], v[52:53], v[54:55]
	s_waitcnt lgkmcnt(0)
	v_mul_f64 v[54:55], v[44:45], v[50:51]
	v_fmac_f64_e32 v[54:55], v[46:47], v[48:49]
	v_mul_f64 v[6:7], v[6:7], v[14:15]
	v_add_f64 v[56:57], v[52:53], v[54:55]
	ds_read_b128 v[52:55], v3 offset:1536
	v_fma_f64 v[58:59], v[4:5], v[12:13], -v[6:7]
	ds_read_b128 v[4:7], v0 offset:5632
	v_mul_f64 v[10:11], v[10:11], v[18:19]
	v_fma_f64 v[60:61], v[8:9], v[16:17], -v[10:11]
	ds_read_b128 v[8:11], v3 offset:1792
	ds_read_b128 v[12:15], v0 offset:5888
	v_add_f64 v[58:59], v[58:59], 0
	s_waitcnt lgkmcnt(2)
	v_mul_f64 v[16:17], v[52:53], v[6:7]
	v_fmac_f64_e32 v[16:17], v[54:55], v[4:5]
	v_add_f64 v[56:57], v[56:57], v[16:17]
	v_mul_f64 v[16:17], v[22:23], v[26:27]
	v_fma_f64 v[62:63], v[20:21], v[24:25], -v[16:17]
	v_mul_f64 v[20:21], v[30:31], v[34:35]
	ds_read_b128 v[16:19], v3 offset:2048
	v_fma_f64 v[66:67], v[28:29], v[32:33], -v[20:21]
	ds_read_b128 v[20:23], v0 offset:6144
	s_waitcnt lgkmcnt(2)
	v_mul_f64 v[64:65], v[8:9], v[14:15]
	v_fmac_f64_e32 v[64:65], v[10:11], v[12:13]
	v_mul_f64 v[24:25], v[38:39], v[42:43]
	v_add_f64 v[32:33], v[56:57], v[64:65]
	s_waitcnt lgkmcnt(0)
	v_mul_f64 v[34:35], v[16:17], v[22:23]
	v_fmac_f64_e32 v[34:35], v[18:19], v[20:21]
	v_fma_f64 v[68:69], v[36:37], v[40:41], -v[24:25]
	ds_read_b128 v[24:27], v3 offset:2304
	ds_read_b128 v[28:31], v0 offset:6400
	v_add_f64 v[40:41], v[32:33], v[34:35]
	v_mul_f64 v[32:33], v[46:47], v[50:51]
	v_fma_f64 v[56:57], v[44:45], v[48:49], -v[32:33]
	ds_read_b128 v[32:35], v0 offset:6656
	v_mul_f64 v[6:7], v[54:55], v[6:7]
	v_fma_f64 v[52:53], v[52:53], v[4:5], -v[6:7]
	ds_read_b128 v[4:7], v3 offset:2560
	ds_read_b128 v[36:39], v3 offset:2816
	s_waitcnt lgkmcnt(3)
	v_mul_f64 v[42:43], v[24:25], v[30:31]
	v_fmac_f64_e32 v[42:43], v[26:27], v[28:29]
	v_mul_f64 v[10:11], v[10:11], v[14:15]
	s_waitcnt lgkmcnt(1)
	v_mul_f64 v[14:15], v[4:5], v[34:35]
	v_fma_f64 v[54:55], v[8:9], v[12:13], -v[10:11]
	v_add_f64 v[12:13], v[40:41], v[42:43]
	v_fmac_f64_e32 v[14:15], v[6:7], v[32:33]
	ds_read_b128 v[8:11], v0 offset:6912
	v_add_f64 v[40:41], v[12:13], v[14:15]
	v_mul_f64 v[12:13], v[18:19], v[22:23]
	v_add_f64 v[58:59], v[58:59], v[60:61]
	v_fma_f64 v[64:65], v[16:17], v[20:21], -v[12:13]
	ds_read_b128 v[12:15], v3 offset:3072
	ds_read_b128 v[16:19], v0 offset:7168
	v_add_f64 v[58:59], v[58:59], v[62:63]
	v_add_f64 v[58:59], v[58:59], v[66:67]
	;; [unrolled: 1-line block ×4, first 2 shown]
	s_waitcnt lgkmcnt(2)
	v_mul_f64 v[42:43], v[36:37], v[10:11]
	v_mul_f64 v[20:21], v[26:27], v[30:31]
	v_add_f64 v[52:53], v[56:57], v[52:53]
	v_fmac_f64_e32 v[42:43], v[38:39], v[8:9]
	v_fma_f64 v[70:71], v[24:25], v[28:29], -v[20:21]
	ds_read_b128 v[20:23], v3 offset:3328
	ds_read_b128 v[24:27], v0 offset:7424
	s_waitcnt lgkmcnt(2)
	v_mul_f64 v[30:31], v[12:13], v[18:19]
	v_add_f64 v[52:53], v[52:53], v[54:55]
	v_add_f64 v[28:29], v[40:41], v[42:43]
	v_fmac_f64_e32 v[30:31], v[14:15], v[16:17]
	v_add_f64 v[52:53], v[52:53], v[64:65]
	v_mul_f64 v[6:7], v[6:7], v[34:35]
	v_add_f64 v[72:73], v[28:29], v[30:31]
	ds_read_b128 v[28:31], v3 offset:3584
	ds_read_b128 v[40:43], v0 offset:7680
	v_add_f64 v[52:53], v[52:53], v[70:71]
	v_fma_f64 v[4:5], v[4:5], v[32:33], -v[6:7]
	v_mul_f64 v[6:7], v[38:39], v[10:11]
	v_add_f64 v[4:5], v[52:53], v[4:5]
	v_fma_f64 v[6:7], v[36:37], v[8:9], -v[6:7]
	ds_read_b128 v[44:47], v3 offset:3840
	ds_read_b128 v[48:51], v0 offset:7936
	v_add_f64 v[4:5], v[4:5], v[6:7]
	v_mul_f64 v[6:7], v[14:15], v[18:19]
	s_waitcnt lgkmcnt(4)
	v_mul_f64 v[74:75], v[20:21], v[26:27]
	v_fma_f64 v[6:7], v[12:13], v[16:17], -v[6:7]
	v_fmac_f64_e32 v[74:75], v[22:23], v[24:25]
	v_add_f64 v[4:5], v[4:5], v[6:7]
	v_mul_f64 v[6:7], v[22:23], v[26:27]
	v_add_f64 v[72:73], v[72:73], v[74:75]
	s_waitcnt lgkmcnt(2)
	v_mul_f64 v[74:75], v[28:29], v[42:43]
	s_mul_i32 s0, s5, s3
	s_mul_hi_u32 s1, s4, s3
	v_fma_f64 v[6:7], v[20:21], v[24:25], -v[6:7]
	v_fmac_f64_e32 v[74:75], v[30:31], v[40:41]
	s_add_i32 s1, s1, s0
	s_mul_i32 s0, s4, s3
	v_add_f64 v[4:5], v[4:5], v[6:7]
	v_mul_f64 v[6:7], v[30:31], v[42:43]
	v_add_f64 v[72:73], v[72:73], v[74:75]
	s_waitcnt lgkmcnt(0)
	v_mul_f64 v[74:75], v[44:45], v[50:51]
	s_lshl_b64 s[0:1], s[0:1], 4
	v_fma_f64 v[6:7], v[28:29], v[40:41], -v[6:7]
	v_fmac_f64_e32 v[74:75], v[46:47], v[48:49]
	s_add_u32 s2, s8, s0
	v_add_f64 v[4:5], v[4:5], v[6:7]
	v_mul_f64 v[6:7], v[46:47], v[50:51]
	v_add_f64 v[72:73], v[72:73], v[74:75]
	s_addc_u32 s3, s9, s1
	s_lshl_b64 s[0:1], s[6:7], 4
	v_fma_f64 v[6:7], v[44:45], v[48:49], -v[6:7]
	s_add_u32 s0, s2, s0
	v_add_f64 v[4:5], v[4:5], v[6:7]
	v_mul_f64 v[6:7], s[20:21], v[72:73]
	v_mul_f64 v[8:9], s[22:23], v[72:73]
	s_addc_u32 s1, s3, s1
	v_fmac_f64_e32 v[6:7], s[22:23], v[4:5]
	v_fma_f64 v[4:5], s[20:21], v[4:5], -v[8:9]
	v_mad_u64_u32 v[8:9], s[2:3], s10, v2, 0
	v_mov_b32_e32 v10, v9
	v_mad_u64_u32 v[2:3], s[2:3], s11, v2, v[10:11]
	v_mov_b32_e32 v9, v2
	v_lshl_add_u64 v[2:3], v[8:9], 4, s[0:1]
	v_lshl_add_u64 v[0:1], v[2:3], 0, v[0:1]
	global_store_dwordx4 v[0:1], v[4:7], off
.LBB140_15:
	s_endpgm
	.section	.rodata,"a",@progbits
	.p2align	6, 0x0
	.amdhsa_kernel _ZL23rocblas_trmm_rTx_kernelILi16ELb0E19rocblas_complex_numIdEPKS1_S2_S1_Ev13rocblas_fill_17rocblas_diagonal_iiT2_lPT3_llS8_llPT4_lli
		.amdhsa_group_segment_fixed_size 8192
		.amdhsa_private_segment_fixed_size 0
		.amdhsa_kernarg_size 108
		.amdhsa_user_sgpr_count 2
		.amdhsa_user_sgpr_dispatch_ptr 0
		.amdhsa_user_sgpr_queue_ptr 0
		.amdhsa_user_sgpr_kernarg_segment_ptr 1
		.amdhsa_user_sgpr_dispatch_id 0
		.amdhsa_user_sgpr_kernarg_preload_length 0
		.amdhsa_user_sgpr_kernarg_preload_offset 0
		.amdhsa_user_sgpr_private_segment_size 0
		.amdhsa_uses_dynamic_stack 0
		.amdhsa_enable_private_segment 0
		.amdhsa_system_sgpr_workgroup_id_x 1
		.amdhsa_system_sgpr_workgroup_id_y 0
		.amdhsa_system_sgpr_workgroup_id_z 1
		.amdhsa_system_sgpr_workgroup_info 0
		.amdhsa_system_vgpr_workitem_id 1
		.amdhsa_next_free_vgpr 76
		.amdhsa_next_free_sgpr 28
		.amdhsa_accum_offset 76
		.amdhsa_reserve_vcc 1
		.amdhsa_float_round_mode_32 0
		.amdhsa_float_round_mode_16_64 0
		.amdhsa_float_denorm_mode_32 3
		.amdhsa_float_denorm_mode_16_64 3
		.amdhsa_dx10_clamp 1
		.amdhsa_ieee_mode 1
		.amdhsa_fp16_overflow 0
		.amdhsa_tg_split 0
		.amdhsa_exception_fp_ieee_invalid_op 0
		.amdhsa_exception_fp_denorm_src 0
		.amdhsa_exception_fp_ieee_div_zero 0
		.amdhsa_exception_fp_ieee_overflow 0
		.amdhsa_exception_fp_ieee_underflow 0
		.amdhsa_exception_fp_ieee_inexact 0
		.amdhsa_exception_int_div_zero 0
	.end_amdhsa_kernel
	.section	.text._ZL23rocblas_trmm_rTx_kernelILi16ELb0E19rocblas_complex_numIdEPKS1_S2_S1_Ev13rocblas_fill_17rocblas_diagonal_iiT2_lPT3_llS8_llPT4_lli,"axG",@progbits,_ZL23rocblas_trmm_rTx_kernelILi16ELb0E19rocblas_complex_numIdEPKS1_S2_S1_Ev13rocblas_fill_17rocblas_diagonal_iiT2_lPT3_llS8_llPT4_lli,comdat
.Lfunc_end140:
	.size	_ZL23rocblas_trmm_rTx_kernelILi16ELb0E19rocblas_complex_numIdEPKS1_S2_S1_Ev13rocblas_fill_17rocblas_diagonal_iiT2_lPT3_llS8_llPT4_lli, .Lfunc_end140-_ZL23rocblas_trmm_rTx_kernelILi16ELb0E19rocblas_complex_numIdEPKS1_S2_S1_Ev13rocblas_fill_17rocblas_diagonal_iiT2_lPT3_llS8_llPT4_lli
                                        ; -- End function
	.set _ZL23rocblas_trmm_rTx_kernelILi16ELb0E19rocblas_complex_numIdEPKS1_S2_S1_Ev13rocblas_fill_17rocblas_diagonal_iiT2_lPT3_llS8_llPT4_lli.num_vgpr, 76
	.set _ZL23rocblas_trmm_rTx_kernelILi16ELb0E19rocblas_complex_numIdEPKS1_S2_S1_Ev13rocblas_fill_17rocblas_diagonal_iiT2_lPT3_llS8_llPT4_lli.num_agpr, 0
	.set _ZL23rocblas_trmm_rTx_kernelILi16ELb0E19rocblas_complex_numIdEPKS1_S2_S1_Ev13rocblas_fill_17rocblas_diagonal_iiT2_lPT3_llS8_llPT4_lli.numbered_sgpr, 28
	.set _ZL23rocblas_trmm_rTx_kernelILi16ELb0E19rocblas_complex_numIdEPKS1_S2_S1_Ev13rocblas_fill_17rocblas_diagonal_iiT2_lPT3_llS8_llPT4_lli.num_named_barrier, 0
	.set _ZL23rocblas_trmm_rTx_kernelILi16ELb0E19rocblas_complex_numIdEPKS1_S2_S1_Ev13rocblas_fill_17rocblas_diagonal_iiT2_lPT3_llS8_llPT4_lli.private_seg_size, 0
	.set _ZL23rocblas_trmm_rTx_kernelILi16ELb0E19rocblas_complex_numIdEPKS1_S2_S1_Ev13rocblas_fill_17rocblas_diagonal_iiT2_lPT3_llS8_llPT4_lli.uses_vcc, 1
	.set _ZL23rocblas_trmm_rTx_kernelILi16ELb0E19rocblas_complex_numIdEPKS1_S2_S1_Ev13rocblas_fill_17rocblas_diagonal_iiT2_lPT3_llS8_llPT4_lli.uses_flat_scratch, 0
	.set _ZL23rocblas_trmm_rTx_kernelILi16ELb0E19rocblas_complex_numIdEPKS1_S2_S1_Ev13rocblas_fill_17rocblas_diagonal_iiT2_lPT3_llS8_llPT4_lli.has_dyn_sized_stack, 0
	.set _ZL23rocblas_trmm_rTx_kernelILi16ELb0E19rocblas_complex_numIdEPKS1_S2_S1_Ev13rocblas_fill_17rocblas_diagonal_iiT2_lPT3_llS8_llPT4_lli.has_recursion, 0
	.set _ZL23rocblas_trmm_rTx_kernelILi16ELb0E19rocblas_complex_numIdEPKS1_S2_S1_Ev13rocblas_fill_17rocblas_diagonal_iiT2_lPT3_llS8_llPT4_lli.has_indirect_call, 0
	.section	.AMDGPU.csdata,"",@progbits
; Kernel info:
; codeLenInByte = 1768
; TotalNumSgprs: 34
; NumVgprs: 76
; NumAgprs: 0
; TotalNumVgprs: 76
; ScratchSize: 0
; MemoryBound: 0
; FloatMode: 240
; IeeeMode: 1
; LDSByteSize: 8192 bytes/workgroup (compile time only)
; SGPRBlocks: 4
; VGPRBlocks: 9
; NumSGPRsForWavesPerEU: 34
; NumVGPRsForWavesPerEU: 76
; AccumOffset: 76
; Occupancy: 6
; WaveLimiterHint : 0
; COMPUTE_PGM_RSRC2:SCRATCH_EN: 0
; COMPUTE_PGM_RSRC2:USER_SGPR: 2
; COMPUTE_PGM_RSRC2:TRAP_HANDLER: 0
; COMPUTE_PGM_RSRC2:TGID_X_EN: 1
; COMPUTE_PGM_RSRC2:TGID_Y_EN: 0
; COMPUTE_PGM_RSRC2:TGID_Z_EN: 1
; COMPUTE_PGM_RSRC2:TIDIG_COMP_CNT: 1
; COMPUTE_PGM_RSRC3_GFX90A:ACCUM_OFFSET: 18
; COMPUTE_PGM_RSRC3_GFX90A:TG_SPLIT: 0
	.section	.text._ZL23rocblas_trmm_rTx_kernelILi16ELb0E19rocblas_complex_numIdES1_KS1_S1_Ev13rocblas_fill_17rocblas_diagonal_iiT2_lPT3_llS7_llPT4_lli,"axG",@progbits,_ZL23rocblas_trmm_rTx_kernelILi16ELb0E19rocblas_complex_numIdES1_KS1_S1_Ev13rocblas_fill_17rocblas_diagonal_iiT2_lPT3_llS7_llPT4_lli,comdat
	.globl	_ZL23rocblas_trmm_rTx_kernelILi16ELb0E19rocblas_complex_numIdES1_KS1_S1_Ev13rocblas_fill_17rocblas_diagonal_iiT2_lPT3_llS7_llPT4_lli ; -- Begin function _ZL23rocblas_trmm_rTx_kernelILi16ELb0E19rocblas_complex_numIdES1_KS1_S1_Ev13rocblas_fill_17rocblas_diagonal_iiT2_lPT3_llS7_llPT4_lli
	.p2align	8
	.type	_ZL23rocblas_trmm_rTx_kernelILi16ELb0E19rocblas_complex_numIdES1_KS1_S1_Ev13rocblas_fill_17rocblas_diagonal_iiT2_lPT3_llS7_llPT4_lli,@function
_ZL23rocblas_trmm_rTx_kernelILi16ELb0E19rocblas_complex_numIdES1_KS1_S1_Ev13rocblas_fill_17rocblas_diagonal_iiT2_lPT3_llS7_llPT4_lli: ; @_ZL23rocblas_trmm_rTx_kernelILi16ELb0E19rocblas_complex_numIdES1_KS1_S1_Ev13rocblas_fill_17rocblas_diagonal_iiT2_lPT3_llS7_llPT4_lli
; %bb.0:
	s_load_dwordx4 s[24:27], s[0:1], 0x10
	s_waitcnt lgkmcnt(0)
	v_cmp_neq_f64_e64 s[4:5], s[24:25], 0
	v_cmp_neq_f64_e64 s[6:7], s[26:27], 0
	s_or_b64 s[4:5], s[4:5], s[6:7]
	s_andn2_b64 vcc, exec, s[4:5]
	s_cbranch_vccnz .LBB141_15
; %bb.1:
	s_load_dwordx4 s[28:31], s[0:1], 0x0
	s_load_dwordx16 s[8:23], s[0:1], 0x28
	s_mov_b32 s4, 0
	s_mov_b32 s6, s4
	;; [unrolled: 1-line block ×3, first 2 shown]
	v_and_b32_e32 v5, 0x3ff, v0
	v_bfe_u32 v2, v0, 10, 10
	s_mov_b32 s5, s4
	v_mov_b64_e32 v[8:9], s[6:7]
	v_lshlrev_b32_e32 v3, 4, v2
	v_mov_b64_e32 v[6:7], s[4:5]
	s_waitcnt lgkmcnt(0)
	v_cmp_gt_i32_e32 vcc, s31, v2
	v_cmp_gt_i32_e64 s[4:5], s31, v5
	v_add_lshl_u32 v4, v3, v5, 4
	s_and_b64 s[6:7], vcc, s[4:5]
	v_lshlrev_b32_e32 v0, 4, v5
	ds_write_b128 v4, v[6:9]
	ds_write_b128 v4, v[6:9] offset:4096
	s_and_saveexec_b64 s[4:5], s[6:7]
	s_cbranch_execz .LBB141_3
; %bb.2:
	s_mul_i32 s6, s13, s3
	s_mul_hi_u32 s7, s12, s3
	s_add_i32 s7, s7, s6
	s_mul_i32 s6, s12, s3
	s_lshl_b64 s[6:7], s[6:7], 4
	s_add_u32 s6, s8, s6
	s_addc_u32 s7, s9, s7
	v_mad_u64_u32 v[6:7], s[8:9], s10, v2, 0
	v_mov_b32_e32 v8, v7
	v_mad_u64_u32 v[8:9], s[8:9], s11, v2, v[8:9]
	v_mov_b32_e32 v7, v8
	v_lshl_add_u64 v[6:7], v[6:7], 4, s[6:7]
	v_mov_b32_e32 v1, 0
	v_lshl_add_u64 v[6:7], v[6:7], 0, v[0:1]
	global_load_dwordx4 v[6:9], v[6:7], off
	s_waitcnt vmcnt(0)
	ds_write2_b64 v4, v[6:7], v[8:9] offset1:1
.LBB141_3:
	s_or_b64 exec, exec, s[4:5]
	s_add_i32 s4, s30, -1
	s_ashr_i32 s5, s4, 31
	s_lshr_b32 s5, s5, 28
	s_add_i32 s4, s4, s5
	s_ashr_i32 s5, s4, 4
	s_and_b32 s4, s4, -16
	s_sub_i32 s4, s30, s4
	s_cmp_ge_i32 s2, s5
	s_cselect_b32 s4, s4, 16
	s_lshl_b32 s6, s2, 4
	v_cmp_gt_i32_e64 s[4:5], s4, v5
	s_ashr_i32 s7, s6, 31
	s_and_b64 s[4:5], vcc, s[4:5]
	s_and_saveexec_b64 s[8:9], s[4:5]
	s_cbranch_execz .LBB141_5
; %bb.4:
	s_mul_i32 s2, s19, s3
	s_mul_hi_u32 s10, s18, s3
	s_add_i32 s11, s10, s2
	s_mul_i32 s10, s18, s3
	s_lshl_b64 s[10:11], s[10:11], 4
	s_add_u32 s2, s14, s10
	s_addc_u32 s12, s15, s11
	s_lshl_b64 s[10:11], s[6:7], 4
	s_add_u32 s10, s2, s10
	s_addc_u32 s11, s12, s11
	v_mad_u64_u32 v[6:7], s[12:13], s16, v2, 0
	v_mov_b32_e32 v8, v7
	v_mad_u64_u32 v[8:9], s[12:13], s17, v2, v[8:9]
	v_mov_b32_e32 v7, v8
	v_lshl_add_u64 v[6:7], v[6:7], 4, s[10:11]
	v_mov_b32_e32 v1, 0
	v_lshl_add_u64 v[6:7], v[6:7], 0, v[0:1]
	global_load_dwordx4 v[6:9], v[6:7], off
	v_add_u32_e32 v1, 0x1000, v4
	s_waitcnt vmcnt(0)
	ds_write2_b64 v1, v[6:7], v[8:9] offset1:1
.LBB141_5:
	s_or_b64 exec, exec, s[8:9]
	s_cmpk_eq_i32 s29, 0x84
	s_cselect_b64 s[8:9], -1, 0
	v_cmp_eq_u32_e32 vcc, v2, v5
	s_and_b64 s[10:11], vcc, s[8:9]
	s_and_saveexec_b64 s[8:9], s[10:11]
; %bb.6:
	v_mov_b32_e32 v6, 0
	v_mov_b32_e32 v7, 0x3ff00000
	;; [unrolled: 1-line block ×4, first 2 shown]
	ds_write_b128 v4, v[6:9]
; %bb.7:
	s_or_b64 exec, exec, s[8:9]
	s_cmpk_lg_i32 s28, 0x79
	s_cbranch_scc0 .LBB141_9
; %bb.8:
	v_cmp_lt_u32_e32 vcc, v5, v2
	s_and_b64 s[8:9], vcc, exec
	s_cbranch_execz .LBB141_10
	s_branch .LBB141_11
.LBB141_9:
	s_mov_b64 s[8:9], 0
.LBB141_10:
	v_cmp_gt_u32_e32 vcc, v5, v2
	s_andn2_b64 s[8:9], s[8:9], exec
	s_and_b64 s[10:11], vcc, exec
	s_or_b64 s[8:9], s[8:9], s[10:11]
.LBB141_11:
	s_and_saveexec_b64 s[10:11], s[8:9]
; %bb.12:
	v_mov_b32_e32 v6, 0
	v_mov_b32_e32 v7, v6
	;; [unrolled: 1-line block ×4, first 2 shown]
	ds_write_b128 v4, v[6:9]
; %bb.13:
	s_or_b64 exec, exec, s[10:11]
	s_waitcnt lgkmcnt(0)
	s_barrier
	s_and_saveexec_b64 s[8:9], s[4:5]
	s_cbranch_execz .LBB141_15
; %bb.14:
	ds_read_b128 v[4:7], v3
	ds_read_b128 v[8:11], v3 offset:256
	ds_read_b128 v[12:15], v0 offset:4096
	ds_read_b128 v[16:19], v0 offset:4352
	s_load_dwordx2 s[0:1], s[0:1], 0x68
	v_mov_b32_e32 v1, 0
	s_waitcnt lgkmcnt(0)
	v_mul_f64 v[20:21], v[4:5], v[14:15]
	v_fmac_f64_e32 v[20:21], v[6:7], v[12:13]
	v_add_f64 v[38:39], v[20:21], 0
	ds_read_b128 v[20:23], v3 offset:512
	ds_read_b128 v[24:27], v0 offset:4608
	v_mul_f64 v[36:37], v[8:9], v[18:19]
	v_fmac_f64_e32 v[36:37], v[10:11], v[16:17]
	ds_read_b128 v[28:31], v3 offset:768
	ds_read_b128 v[32:35], v0 offset:4864
	v_add_f64 v[36:37], v[38:39], v[36:37]
	s_waitcnt lgkmcnt(2)
	v_mul_f64 v[38:39], v[20:21], v[26:27]
	v_fmac_f64_e32 v[38:39], v[22:23], v[24:25]
	v_add_f64 v[52:53], v[36:37], v[38:39]
	ds_read_b128 v[36:39], v3 offset:1024
	ds_read_b128 v[40:43], v0 offset:5120
	;; [unrolled: 1-line block ×4, first 2 shown]
	s_waitcnt lgkmcnt(4)
	v_mul_f64 v[54:55], v[28:29], v[34:35]
	v_fmac_f64_e32 v[54:55], v[30:31], v[32:33]
	v_add_f64 v[52:53], v[52:53], v[54:55]
	s_waitcnt lgkmcnt(2)
	v_mul_f64 v[54:55], v[36:37], v[42:43]
	v_fmac_f64_e32 v[54:55], v[38:39], v[40:41]
	v_add_f64 v[52:53], v[52:53], v[54:55]
	s_waitcnt lgkmcnt(0)
	v_mul_f64 v[54:55], v[44:45], v[50:51]
	v_fmac_f64_e32 v[54:55], v[46:47], v[48:49]
	v_mul_f64 v[6:7], v[6:7], v[14:15]
	v_add_f64 v[56:57], v[52:53], v[54:55]
	ds_read_b128 v[52:55], v3 offset:1536
	v_fma_f64 v[58:59], v[4:5], v[12:13], -v[6:7]
	ds_read_b128 v[4:7], v0 offset:5632
	v_mul_f64 v[10:11], v[10:11], v[18:19]
	v_fma_f64 v[60:61], v[8:9], v[16:17], -v[10:11]
	ds_read_b128 v[8:11], v3 offset:1792
	ds_read_b128 v[12:15], v0 offset:5888
	v_add_f64 v[58:59], v[58:59], 0
	s_waitcnt lgkmcnt(2)
	v_mul_f64 v[16:17], v[52:53], v[6:7]
	v_fmac_f64_e32 v[16:17], v[54:55], v[4:5]
	v_add_f64 v[56:57], v[56:57], v[16:17]
	v_mul_f64 v[16:17], v[22:23], v[26:27]
	v_fma_f64 v[62:63], v[20:21], v[24:25], -v[16:17]
	v_mul_f64 v[20:21], v[30:31], v[34:35]
	ds_read_b128 v[16:19], v3 offset:2048
	v_fma_f64 v[66:67], v[28:29], v[32:33], -v[20:21]
	ds_read_b128 v[20:23], v0 offset:6144
	s_waitcnt lgkmcnt(2)
	v_mul_f64 v[64:65], v[8:9], v[14:15]
	v_fmac_f64_e32 v[64:65], v[10:11], v[12:13]
	v_mul_f64 v[24:25], v[38:39], v[42:43]
	v_add_f64 v[32:33], v[56:57], v[64:65]
	s_waitcnt lgkmcnt(0)
	v_mul_f64 v[34:35], v[16:17], v[22:23]
	v_fmac_f64_e32 v[34:35], v[18:19], v[20:21]
	v_fma_f64 v[68:69], v[36:37], v[40:41], -v[24:25]
	ds_read_b128 v[24:27], v3 offset:2304
	ds_read_b128 v[28:31], v0 offset:6400
	v_add_f64 v[40:41], v[32:33], v[34:35]
	v_mul_f64 v[32:33], v[46:47], v[50:51]
	v_fma_f64 v[56:57], v[44:45], v[48:49], -v[32:33]
	ds_read_b128 v[32:35], v0 offset:6656
	v_mul_f64 v[6:7], v[54:55], v[6:7]
	v_fma_f64 v[52:53], v[52:53], v[4:5], -v[6:7]
	ds_read_b128 v[4:7], v3 offset:2560
	ds_read_b128 v[36:39], v3 offset:2816
	s_waitcnt lgkmcnt(3)
	v_mul_f64 v[42:43], v[24:25], v[30:31]
	v_fmac_f64_e32 v[42:43], v[26:27], v[28:29]
	v_mul_f64 v[10:11], v[10:11], v[14:15]
	s_waitcnt lgkmcnt(1)
	v_mul_f64 v[14:15], v[4:5], v[34:35]
	v_fma_f64 v[54:55], v[8:9], v[12:13], -v[10:11]
	v_add_f64 v[12:13], v[40:41], v[42:43]
	v_fmac_f64_e32 v[14:15], v[6:7], v[32:33]
	ds_read_b128 v[8:11], v0 offset:6912
	v_add_f64 v[40:41], v[12:13], v[14:15]
	v_mul_f64 v[12:13], v[18:19], v[22:23]
	v_add_f64 v[58:59], v[58:59], v[60:61]
	v_fma_f64 v[64:65], v[16:17], v[20:21], -v[12:13]
	ds_read_b128 v[12:15], v3 offset:3072
	ds_read_b128 v[16:19], v0 offset:7168
	v_add_f64 v[58:59], v[58:59], v[62:63]
	v_add_f64 v[58:59], v[58:59], v[66:67]
	;; [unrolled: 1-line block ×4, first 2 shown]
	s_waitcnt lgkmcnt(2)
	v_mul_f64 v[42:43], v[36:37], v[10:11]
	v_mul_f64 v[20:21], v[26:27], v[30:31]
	v_add_f64 v[52:53], v[56:57], v[52:53]
	v_fmac_f64_e32 v[42:43], v[38:39], v[8:9]
	v_fma_f64 v[70:71], v[24:25], v[28:29], -v[20:21]
	ds_read_b128 v[20:23], v3 offset:3328
	ds_read_b128 v[24:27], v0 offset:7424
	s_waitcnt lgkmcnt(2)
	v_mul_f64 v[30:31], v[12:13], v[18:19]
	v_add_f64 v[52:53], v[52:53], v[54:55]
	v_add_f64 v[28:29], v[40:41], v[42:43]
	v_fmac_f64_e32 v[30:31], v[14:15], v[16:17]
	v_add_f64 v[52:53], v[52:53], v[64:65]
	v_mul_f64 v[6:7], v[6:7], v[34:35]
	v_add_f64 v[72:73], v[28:29], v[30:31]
	ds_read_b128 v[28:31], v3 offset:3584
	ds_read_b128 v[40:43], v0 offset:7680
	v_add_f64 v[52:53], v[52:53], v[70:71]
	v_fma_f64 v[4:5], v[4:5], v[32:33], -v[6:7]
	v_mul_f64 v[6:7], v[38:39], v[10:11]
	v_add_f64 v[4:5], v[52:53], v[4:5]
	v_fma_f64 v[6:7], v[36:37], v[8:9], -v[6:7]
	ds_read_b128 v[44:47], v3 offset:3840
	ds_read_b128 v[48:51], v0 offset:7936
	v_add_f64 v[4:5], v[4:5], v[6:7]
	v_mul_f64 v[6:7], v[14:15], v[18:19]
	s_waitcnt lgkmcnt(4)
	v_mul_f64 v[74:75], v[20:21], v[26:27]
	v_fma_f64 v[6:7], v[12:13], v[16:17], -v[6:7]
	v_fmac_f64_e32 v[74:75], v[22:23], v[24:25]
	v_add_f64 v[4:5], v[4:5], v[6:7]
	v_mul_f64 v[6:7], v[22:23], v[26:27]
	v_add_f64 v[72:73], v[72:73], v[74:75]
	s_waitcnt lgkmcnt(2)
	v_mul_f64 v[74:75], v[28:29], v[42:43]
	s_mul_i32 s1, s1, s3
	s_mul_hi_u32 s2, s0, s3
	v_fma_f64 v[6:7], v[20:21], v[24:25], -v[6:7]
	v_fmac_f64_e32 v[74:75], v[30:31], v[40:41]
	s_add_i32 s1, s2, s1
	s_mul_i32 s0, s0, s3
	v_add_f64 v[4:5], v[4:5], v[6:7]
	v_mul_f64 v[6:7], v[30:31], v[42:43]
	v_add_f64 v[72:73], v[72:73], v[74:75]
	s_waitcnt lgkmcnt(0)
	v_mul_f64 v[74:75], v[44:45], v[50:51]
	s_lshl_b64 s[0:1], s[0:1], 4
	v_fma_f64 v[6:7], v[28:29], v[40:41], -v[6:7]
	v_fmac_f64_e32 v[74:75], v[46:47], v[48:49]
	s_add_u32 s2, s20, s0
	v_add_f64 v[4:5], v[4:5], v[6:7]
	v_mul_f64 v[6:7], v[46:47], v[50:51]
	v_add_f64 v[72:73], v[72:73], v[74:75]
	s_addc_u32 s3, s21, s1
	s_lshl_b64 s[0:1], s[6:7], 4
	v_fma_f64 v[6:7], v[44:45], v[48:49], -v[6:7]
	s_add_u32 s0, s2, s0
	v_add_f64 v[4:5], v[4:5], v[6:7]
	v_mul_f64 v[6:7], s[24:25], v[72:73]
	v_mul_f64 v[8:9], s[26:27], v[72:73]
	s_addc_u32 s1, s3, s1
	v_fmac_f64_e32 v[6:7], s[26:27], v[4:5]
	v_fma_f64 v[4:5], s[24:25], v[4:5], -v[8:9]
	v_mad_u64_u32 v[8:9], s[2:3], s22, v2, 0
	v_mov_b32_e32 v10, v9
	v_mad_u64_u32 v[2:3], s[2:3], s23, v2, v[10:11]
	v_mov_b32_e32 v9, v2
	v_lshl_add_u64 v[2:3], v[8:9], 4, s[0:1]
	v_lshl_add_u64 v[0:1], v[2:3], 0, v[0:1]
	global_store_dwordx4 v[0:1], v[4:7], off
.LBB141_15:
	s_endpgm
	.section	.rodata,"a",@progbits
	.p2align	6, 0x0
	.amdhsa_kernel _ZL23rocblas_trmm_rTx_kernelILi16ELb0E19rocblas_complex_numIdES1_KS1_S1_Ev13rocblas_fill_17rocblas_diagonal_iiT2_lPT3_llS7_llPT4_lli
		.amdhsa_group_segment_fixed_size 8192
		.amdhsa_private_segment_fixed_size 0
		.amdhsa_kernarg_size 116
		.amdhsa_user_sgpr_count 2
		.amdhsa_user_sgpr_dispatch_ptr 0
		.amdhsa_user_sgpr_queue_ptr 0
		.amdhsa_user_sgpr_kernarg_segment_ptr 1
		.amdhsa_user_sgpr_dispatch_id 0
		.amdhsa_user_sgpr_kernarg_preload_length 0
		.amdhsa_user_sgpr_kernarg_preload_offset 0
		.amdhsa_user_sgpr_private_segment_size 0
		.amdhsa_uses_dynamic_stack 0
		.amdhsa_enable_private_segment 0
		.amdhsa_system_sgpr_workgroup_id_x 1
		.amdhsa_system_sgpr_workgroup_id_y 0
		.amdhsa_system_sgpr_workgroup_id_z 1
		.amdhsa_system_sgpr_workgroup_info 0
		.amdhsa_system_vgpr_workitem_id 1
		.amdhsa_next_free_vgpr 76
		.amdhsa_next_free_sgpr 32
		.amdhsa_accum_offset 76
		.amdhsa_reserve_vcc 1
		.amdhsa_float_round_mode_32 0
		.amdhsa_float_round_mode_16_64 0
		.amdhsa_float_denorm_mode_32 3
		.amdhsa_float_denorm_mode_16_64 3
		.amdhsa_dx10_clamp 1
		.amdhsa_ieee_mode 1
		.amdhsa_fp16_overflow 0
		.amdhsa_tg_split 0
		.amdhsa_exception_fp_ieee_invalid_op 0
		.amdhsa_exception_fp_denorm_src 0
		.amdhsa_exception_fp_ieee_div_zero 0
		.amdhsa_exception_fp_ieee_overflow 0
		.amdhsa_exception_fp_ieee_underflow 0
		.amdhsa_exception_fp_ieee_inexact 0
		.amdhsa_exception_int_div_zero 0
	.end_amdhsa_kernel
	.section	.text._ZL23rocblas_trmm_rTx_kernelILi16ELb0E19rocblas_complex_numIdES1_KS1_S1_Ev13rocblas_fill_17rocblas_diagonal_iiT2_lPT3_llS7_llPT4_lli,"axG",@progbits,_ZL23rocblas_trmm_rTx_kernelILi16ELb0E19rocblas_complex_numIdES1_KS1_S1_Ev13rocblas_fill_17rocblas_diagonal_iiT2_lPT3_llS7_llPT4_lli,comdat
.Lfunc_end141:
	.size	_ZL23rocblas_trmm_rTx_kernelILi16ELb0E19rocblas_complex_numIdES1_KS1_S1_Ev13rocblas_fill_17rocblas_diagonal_iiT2_lPT3_llS7_llPT4_lli, .Lfunc_end141-_ZL23rocblas_trmm_rTx_kernelILi16ELb0E19rocblas_complex_numIdES1_KS1_S1_Ev13rocblas_fill_17rocblas_diagonal_iiT2_lPT3_llS7_llPT4_lli
                                        ; -- End function
	.set _ZL23rocblas_trmm_rTx_kernelILi16ELb0E19rocblas_complex_numIdES1_KS1_S1_Ev13rocblas_fill_17rocblas_diagonal_iiT2_lPT3_llS7_llPT4_lli.num_vgpr, 76
	.set _ZL23rocblas_trmm_rTx_kernelILi16ELb0E19rocblas_complex_numIdES1_KS1_S1_Ev13rocblas_fill_17rocblas_diagonal_iiT2_lPT3_llS7_llPT4_lli.num_agpr, 0
	.set _ZL23rocblas_trmm_rTx_kernelILi16ELb0E19rocblas_complex_numIdES1_KS1_S1_Ev13rocblas_fill_17rocblas_diagonal_iiT2_lPT3_llS7_llPT4_lli.numbered_sgpr, 32
	.set _ZL23rocblas_trmm_rTx_kernelILi16ELb0E19rocblas_complex_numIdES1_KS1_S1_Ev13rocblas_fill_17rocblas_diagonal_iiT2_lPT3_llS7_llPT4_lli.num_named_barrier, 0
	.set _ZL23rocblas_trmm_rTx_kernelILi16ELb0E19rocblas_complex_numIdES1_KS1_S1_Ev13rocblas_fill_17rocblas_diagonal_iiT2_lPT3_llS7_llPT4_lli.private_seg_size, 0
	.set _ZL23rocblas_trmm_rTx_kernelILi16ELb0E19rocblas_complex_numIdES1_KS1_S1_Ev13rocblas_fill_17rocblas_diagonal_iiT2_lPT3_llS7_llPT4_lli.uses_vcc, 1
	.set _ZL23rocblas_trmm_rTx_kernelILi16ELb0E19rocblas_complex_numIdES1_KS1_S1_Ev13rocblas_fill_17rocblas_diagonal_iiT2_lPT3_llS7_llPT4_lli.uses_flat_scratch, 0
	.set _ZL23rocblas_trmm_rTx_kernelILi16ELb0E19rocblas_complex_numIdES1_KS1_S1_Ev13rocblas_fill_17rocblas_diagonal_iiT2_lPT3_llS7_llPT4_lli.has_dyn_sized_stack, 0
	.set _ZL23rocblas_trmm_rTx_kernelILi16ELb0E19rocblas_complex_numIdES1_KS1_S1_Ev13rocblas_fill_17rocblas_diagonal_iiT2_lPT3_llS7_llPT4_lli.has_recursion, 0
	.set _ZL23rocblas_trmm_rTx_kernelILi16ELb0E19rocblas_complex_numIdES1_KS1_S1_Ev13rocblas_fill_17rocblas_diagonal_iiT2_lPT3_llS7_llPT4_lli.has_indirect_call, 0
	.section	.AMDGPU.csdata,"",@progbits
; Kernel info:
; codeLenInByte = 1728
; TotalNumSgprs: 38
; NumVgprs: 76
; NumAgprs: 0
; TotalNumVgprs: 76
; ScratchSize: 0
; MemoryBound: 0
; FloatMode: 240
; IeeeMode: 1
; LDSByteSize: 8192 bytes/workgroup (compile time only)
; SGPRBlocks: 4
; VGPRBlocks: 9
; NumSGPRsForWavesPerEU: 38
; NumVGPRsForWavesPerEU: 76
; AccumOffset: 76
; Occupancy: 6
; WaveLimiterHint : 0
; COMPUTE_PGM_RSRC2:SCRATCH_EN: 0
; COMPUTE_PGM_RSRC2:USER_SGPR: 2
; COMPUTE_PGM_RSRC2:TRAP_HANDLER: 0
; COMPUTE_PGM_RSRC2:TGID_X_EN: 1
; COMPUTE_PGM_RSRC2:TGID_Y_EN: 0
; COMPUTE_PGM_RSRC2:TGID_Z_EN: 1
; COMPUTE_PGM_RSRC2:TIDIG_COMP_CNT: 1
; COMPUTE_PGM_RSRC3_GFX90A:ACCUM_OFFSET: 18
; COMPUTE_PGM_RSRC3_GFX90A:TG_SPLIT: 0
	.section	.text._ZL23rocblas_trmm_rTx_kernelILi16ELb1E19rocblas_complex_numIdEPKS1_S2_S1_Ev13rocblas_fill_17rocblas_diagonal_iiT2_lPT3_llS8_llPT4_lli,"axG",@progbits,_ZL23rocblas_trmm_rTx_kernelILi16ELb1E19rocblas_complex_numIdEPKS1_S2_S1_Ev13rocblas_fill_17rocblas_diagonal_iiT2_lPT3_llS8_llPT4_lli,comdat
	.globl	_ZL23rocblas_trmm_rTx_kernelILi16ELb1E19rocblas_complex_numIdEPKS1_S2_S1_Ev13rocblas_fill_17rocblas_diagonal_iiT2_lPT3_llS8_llPT4_lli ; -- Begin function _ZL23rocblas_trmm_rTx_kernelILi16ELb1E19rocblas_complex_numIdEPKS1_S2_S1_Ev13rocblas_fill_17rocblas_diagonal_iiT2_lPT3_llS8_llPT4_lli
	.p2align	8
	.type	_ZL23rocblas_trmm_rTx_kernelILi16ELb1E19rocblas_complex_numIdEPKS1_S2_S1_Ev13rocblas_fill_17rocblas_diagonal_iiT2_lPT3_llS8_llPT4_lli,@function
_ZL23rocblas_trmm_rTx_kernelILi16ELb1E19rocblas_complex_numIdEPKS1_S2_S1_Ev13rocblas_fill_17rocblas_diagonal_iiT2_lPT3_llS8_llPT4_lli: ; @_ZL23rocblas_trmm_rTx_kernelILi16ELb1E19rocblas_complex_numIdEPKS1_S2_S1_Ev13rocblas_fill_17rocblas_diagonal_iiT2_lPT3_llS8_llPT4_lli
; %bb.0:
	s_load_dwordx16 s[4:19], s[0:1], 0x10
	s_waitcnt lgkmcnt(0)
	s_mul_i32 s7, s7, s3
	s_mul_hi_u32 s20, s6, s3
	s_add_i32 s7, s20, s7
	s_mul_i32 s6, s6, s3
	s_lshl_b64 s[6:7], s[6:7], 4
	s_add_u32 s4, s4, s6
	s_addc_u32 s5, s5, s7
	s_load_dwordx4 s[20:23], s[4:5], 0x0
	s_waitcnt lgkmcnt(0)
	v_cmp_neq_f64_e64 s[4:5], s[20:21], 0
	v_cmp_neq_f64_e64 s[6:7], s[22:23], 0
	s_or_b64 s[4:5], s[4:5], s[6:7]
	s_andn2_b64 vcc, exec, s[4:5]
	s_cbranch_vccnz .LBB142_15
; %bb.1:
	s_load_dwordx4 s[24:27], s[0:1], 0x0
	s_mov_b32 s4, 0
	s_mov_b32 s6, s4
	;; [unrolled: 1-line block ×3, first 2 shown]
	v_and_b32_e32 v5, 0x3ff, v0
	v_bfe_u32 v2, v0, 10, 10
	s_mov_b32 s5, s4
	v_mov_b64_e32 v[8:9], s[6:7]
	v_lshlrev_b32_e32 v3, 4, v2
	v_mov_b64_e32 v[6:7], s[4:5]
	s_waitcnt lgkmcnt(0)
	v_cmp_gt_i32_e32 vcc, s27, v2
	v_cmp_gt_i32_e64 s[4:5], s27, v5
	v_add_lshl_u32 v4, v3, v5, 4
	s_and_b64 s[6:7], vcc, s[4:5]
	v_lshlrev_b32_e32 v0, 4, v5
	ds_write_b128 v4, v[6:9]
	ds_write_b128 v4, v[6:9] offset:4096
	s_and_saveexec_b64 s[4:5], s[6:7]
	s_cbranch_execz .LBB142_3
; %bb.2:
	s_mul_i32 s6, s13, s3
	s_mul_hi_u32 s7, s12, s3
	s_add_i32 s7, s7, s6
	s_mul_i32 s6, s12, s3
	s_lshl_b64 s[6:7], s[6:7], 4
	s_add_u32 s6, s8, s6
	s_addc_u32 s7, s9, s7
	v_mad_u64_u32 v[6:7], s[8:9], s10, v2, 0
	v_mov_b32_e32 v8, v7
	v_mad_u64_u32 v[8:9], s[8:9], s11, v2, v[8:9]
	v_mov_b32_e32 v7, v8
	v_lshl_add_u64 v[6:7], v[6:7], 4, s[6:7]
	v_mov_b32_e32 v1, 0
	v_lshl_add_u64 v[6:7], v[6:7], 0, v[0:1]
	global_load_dwordx4 v[6:9], v[6:7], off
	s_waitcnt vmcnt(0)
	v_xor_b32_e32 v9, 0x80000000, v9
	ds_write_b128 v4, v[6:9]
.LBB142_3:
	s_or_b64 exec, exec, s[4:5]
	s_add_i32 s4, s26, -1
	s_ashr_i32 s5, s4, 31
	s_lshr_b32 s5, s5, 28
	s_add_i32 s4, s4, s5
	s_ashr_i32 s5, s4, 4
	s_and_b32 s4, s4, -16
	s_sub_i32 s4, s26, s4
	s_cmp_ge_i32 s2, s5
	s_cselect_b32 s4, s4, 16
	s_lshl_b32 s6, s2, 4
	v_cmp_gt_i32_e64 s[4:5], s4, v5
	s_ashr_i32 s7, s6, 31
	s_and_b64 s[4:5], vcc, s[4:5]
	s_and_saveexec_b64 s[8:9], s[4:5]
	s_cbranch_execz .LBB142_5
; %bb.4:
	s_mul_i32 s2, s19, s3
	s_mul_hi_u32 s10, s18, s3
	s_add_i32 s11, s10, s2
	s_mul_i32 s10, s18, s3
	s_lshl_b64 s[10:11], s[10:11], 4
	s_add_u32 s2, s14, s10
	s_addc_u32 s12, s15, s11
	s_lshl_b64 s[10:11], s[6:7], 4
	s_add_u32 s10, s2, s10
	s_addc_u32 s11, s12, s11
	v_mad_u64_u32 v[6:7], s[12:13], s16, v2, 0
	v_mov_b32_e32 v8, v7
	v_mad_u64_u32 v[8:9], s[12:13], s17, v2, v[8:9]
	v_mov_b32_e32 v7, v8
	v_lshl_add_u64 v[6:7], v[6:7], 4, s[10:11]
	v_mov_b32_e32 v1, 0
	v_lshl_add_u64 v[6:7], v[6:7], 0, v[0:1]
	global_load_dwordx4 v[6:9], v[6:7], off
	v_add_u32_e32 v1, 0x1000, v4
	s_waitcnt vmcnt(0)
	ds_write2_b64 v1, v[6:7], v[8:9] offset1:1
.LBB142_5:
	s_or_b64 exec, exec, s[8:9]
	s_cmpk_eq_i32 s25, 0x84
	s_cselect_b64 s[8:9], -1, 0
	v_cmp_eq_u32_e32 vcc, v2, v5
	s_and_b64 s[10:11], vcc, s[8:9]
	s_and_saveexec_b64 s[8:9], s[10:11]
; %bb.6:
	v_mov_b32_e32 v6, 0
	v_mov_b32_e32 v7, 0x3ff00000
	v_mov_b32_e32 v8, v6
	v_mov_b32_e32 v9, v6
	ds_write_b128 v4, v[6:9]
; %bb.7:
	s_or_b64 exec, exec, s[8:9]
	s_cmpk_lg_i32 s24, 0x79
	s_cbranch_scc0 .LBB142_9
; %bb.8:
	v_cmp_lt_u32_e32 vcc, v5, v2
	s_and_b64 s[8:9], vcc, exec
	s_cbranch_execz .LBB142_10
	s_branch .LBB142_11
.LBB142_9:
	s_mov_b64 s[8:9], 0
.LBB142_10:
	v_cmp_gt_u32_e32 vcc, v5, v2
	s_andn2_b64 s[8:9], s[8:9], exec
	s_and_b64 s[10:11], vcc, exec
	s_or_b64 s[8:9], s[8:9], s[10:11]
.LBB142_11:
	s_and_saveexec_b64 s[10:11], s[8:9]
; %bb.12:
	v_mov_b32_e32 v6, 0
	v_mov_b32_e32 v7, v6
	;; [unrolled: 1-line block ×4, first 2 shown]
	ds_write_b128 v4, v[6:9]
; %bb.13:
	s_or_b64 exec, exec, s[10:11]
	s_waitcnt lgkmcnt(0)
	s_barrier
	s_and_saveexec_b64 s[8:9], s[4:5]
	s_cbranch_execz .LBB142_15
; %bb.14:
	ds_read_b128 v[4:7], v3
	ds_read_b128 v[8:11], v3 offset:256
	ds_read_b128 v[12:15], v0 offset:4096
	;; [unrolled: 1-line block ×3, first 2 shown]
	s_load_dwordx2 s[4:5], s[0:1], 0x60
	s_load_dwordx4 s[8:11], s[0:1], 0x50
	v_mov_b32_e32 v1, 0
	s_waitcnt lgkmcnt(0)
	v_mul_f64 v[20:21], v[4:5], v[14:15]
	v_fmac_f64_e32 v[20:21], v[6:7], v[12:13]
	v_add_f64 v[38:39], v[20:21], 0
	ds_read_b128 v[20:23], v3 offset:512
	ds_read_b128 v[24:27], v0 offset:4608
	v_mul_f64 v[36:37], v[8:9], v[18:19]
	v_fmac_f64_e32 v[36:37], v[10:11], v[16:17]
	ds_read_b128 v[28:31], v3 offset:768
	ds_read_b128 v[32:35], v0 offset:4864
	v_add_f64 v[36:37], v[38:39], v[36:37]
	s_waitcnt lgkmcnt(2)
	v_mul_f64 v[38:39], v[20:21], v[26:27]
	v_fmac_f64_e32 v[38:39], v[22:23], v[24:25]
	v_add_f64 v[52:53], v[36:37], v[38:39]
	ds_read_b128 v[36:39], v3 offset:1024
	ds_read_b128 v[40:43], v0 offset:5120
	;; [unrolled: 1-line block ×4, first 2 shown]
	s_waitcnt lgkmcnt(4)
	v_mul_f64 v[54:55], v[28:29], v[34:35]
	v_fmac_f64_e32 v[54:55], v[30:31], v[32:33]
	v_add_f64 v[52:53], v[52:53], v[54:55]
	s_waitcnt lgkmcnt(2)
	v_mul_f64 v[54:55], v[36:37], v[42:43]
	v_fmac_f64_e32 v[54:55], v[38:39], v[40:41]
	v_add_f64 v[52:53], v[52:53], v[54:55]
	s_waitcnt lgkmcnt(0)
	v_mul_f64 v[54:55], v[44:45], v[50:51]
	v_fmac_f64_e32 v[54:55], v[46:47], v[48:49]
	v_mul_f64 v[6:7], v[6:7], v[14:15]
	v_add_f64 v[56:57], v[52:53], v[54:55]
	ds_read_b128 v[52:55], v3 offset:1536
	v_fma_f64 v[58:59], v[4:5], v[12:13], -v[6:7]
	ds_read_b128 v[4:7], v0 offset:5632
	v_mul_f64 v[10:11], v[10:11], v[18:19]
	v_fma_f64 v[60:61], v[8:9], v[16:17], -v[10:11]
	ds_read_b128 v[8:11], v3 offset:1792
	ds_read_b128 v[12:15], v0 offset:5888
	v_add_f64 v[58:59], v[58:59], 0
	s_waitcnt lgkmcnt(2)
	v_mul_f64 v[16:17], v[52:53], v[6:7]
	v_fmac_f64_e32 v[16:17], v[54:55], v[4:5]
	v_add_f64 v[56:57], v[56:57], v[16:17]
	v_mul_f64 v[16:17], v[22:23], v[26:27]
	v_fma_f64 v[62:63], v[20:21], v[24:25], -v[16:17]
	v_mul_f64 v[20:21], v[30:31], v[34:35]
	ds_read_b128 v[16:19], v3 offset:2048
	v_fma_f64 v[66:67], v[28:29], v[32:33], -v[20:21]
	ds_read_b128 v[20:23], v0 offset:6144
	s_waitcnt lgkmcnt(2)
	v_mul_f64 v[64:65], v[8:9], v[14:15]
	v_fmac_f64_e32 v[64:65], v[10:11], v[12:13]
	v_mul_f64 v[24:25], v[38:39], v[42:43]
	v_add_f64 v[32:33], v[56:57], v[64:65]
	s_waitcnt lgkmcnt(0)
	v_mul_f64 v[34:35], v[16:17], v[22:23]
	v_fmac_f64_e32 v[34:35], v[18:19], v[20:21]
	v_fma_f64 v[68:69], v[36:37], v[40:41], -v[24:25]
	ds_read_b128 v[24:27], v3 offset:2304
	ds_read_b128 v[28:31], v0 offset:6400
	v_add_f64 v[40:41], v[32:33], v[34:35]
	v_mul_f64 v[32:33], v[46:47], v[50:51]
	v_fma_f64 v[56:57], v[44:45], v[48:49], -v[32:33]
	ds_read_b128 v[32:35], v0 offset:6656
	v_mul_f64 v[6:7], v[54:55], v[6:7]
	v_fma_f64 v[52:53], v[52:53], v[4:5], -v[6:7]
	ds_read_b128 v[4:7], v3 offset:2560
	ds_read_b128 v[36:39], v3 offset:2816
	s_waitcnt lgkmcnt(3)
	v_mul_f64 v[42:43], v[24:25], v[30:31]
	v_fmac_f64_e32 v[42:43], v[26:27], v[28:29]
	v_mul_f64 v[10:11], v[10:11], v[14:15]
	s_waitcnt lgkmcnt(1)
	v_mul_f64 v[14:15], v[4:5], v[34:35]
	v_fma_f64 v[54:55], v[8:9], v[12:13], -v[10:11]
	v_add_f64 v[12:13], v[40:41], v[42:43]
	v_fmac_f64_e32 v[14:15], v[6:7], v[32:33]
	ds_read_b128 v[8:11], v0 offset:6912
	v_add_f64 v[40:41], v[12:13], v[14:15]
	v_mul_f64 v[12:13], v[18:19], v[22:23]
	v_add_f64 v[58:59], v[58:59], v[60:61]
	v_fma_f64 v[64:65], v[16:17], v[20:21], -v[12:13]
	ds_read_b128 v[12:15], v3 offset:3072
	ds_read_b128 v[16:19], v0 offset:7168
	v_add_f64 v[58:59], v[58:59], v[62:63]
	v_add_f64 v[58:59], v[58:59], v[66:67]
	;; [unrolled: 1-line block ×4, first 2 shown]
	s_waitcnt lgkmcnt(2)
	v_mul_f64 v[42:43], v[36:37], v[10:11]
	v_mul_f64 v[20:21], v[26:27], v[30:31]
	v_add_f64 v[52:53], v[56:57], v[52:53]
	v_fmac_f64_e32 v[42:43], v[38:39], v[8:9]
	v_fma_f64 v[70:71], v[24:25], v[28:29], -v[20:21]
	ds_read_b128 v[20:23], v3 offset:3328
	ds_read_b128 v[24:27], v0 offset:7424
	s_waitcnt lgkmcnt(2)
	v_mul_f64 v[30:31], v[12:13], v[18:19]
	v_add_f64 v[52:53], v[52:53], v[54:55]
	v_add_f64 v[28:29], v[40:41], v[42:43]
	v_fmac_f64_e32 v[30:31], v[14:15], v[16:17]
	v_add_f64 v[52:53], v[52:53], v[64:65]
	v_mul_f64 v[6:7], v[6:7], v[34:35]
	v_add_f64 v[72:73], v[28:29], v[30:31]
	ds_read_b128 v[28:31], v3 offset:3584
	ds_read_b128 v[40:43], v0 offset:7680
	v_add_f64 v[52:53], v[52:53], v[70:71]
	v_fma_f64 v[4:5], v[4:5], v[32:33], -v[6:7]
	v_mul_f64 v[6:7], v[38:39], v[10:11]
	v_add_f64 v[4:5], v[52:53], v[4:5]
	v_fma_f64 v[6:7], v[36:37], v[8:9], -v[6:7]
	ds_read_b128 v[44:47], v3 offset:3840
	ds_read_b128 v[48:51], v0 offset:7936
	v_add_f64 v[4:5], v[4:5], v[6:7]
	v_mul_f64 v[6:7], v[14:15], v[18:19]
	s_waitcnt lgkmcnt(4)
	v_mul_f64 v[74:75], v[20:21], v[26:27]
	v_fma_f64 v[6:7], v[12:13], v[16:17], -v[6:7]
	v_fmac_f64_e32 v[74:75], v[22:23], v[24:25]
	v_add_f64 v[4:5], v[4:5], v[6:7]
	v_mul_f64 v[6:7], v[22:23], v[26:27]
	v_add_f64 v[72:73], v[72:73], v[74:75]
	s_waitcnt lgkmcnt(2)
	v_mul_f64 v[74:75], v[28:29], v[42:43]
	s_mul_i32 s0, s5, s3
	s_mul_hi_u32 s1, s4, s3
	v_fma_f64 v[6:7], v[20:21], v[24:25], -v[6:7]
	v_fmac_f64_e32 v[74:75], v[30:31], v[40:41]
	s_add_i32 s1, s1, s0
	s_mul_i32 s0, s4, s3
	v_add_f64 v[4:5], v[4:5], v[6:7]
	v_mul_f64 v[6:7], v[30:31], v[42:43]
	v_add_f64 v[72:73], v[72:73], v[74:75]
	s_waitcnt lgkmcnt(0)
	v_mul_f64 v[74:75], v[44:45], v[50:51]
	s_lshl_b64 s[0:1], s[0:1], 4
	v_fma_f64 v[6:7], v[28:29], v[40:41], -v[6:7]
	v_fmac_f64_e32 v[74:75], v[46:47], v[48:49]
	s_add_u32 s2, s8, s0
	v_add_f64 v[4:5], v[4:5], v[6:7]
	v_mul_f64 v[6:7], v[46:47], v[50:51]
	v_add_f64 v[72:73], v[72:73], v[74:75]
	s_addc_u32 s3, s9, s1
	s_lshl_b64 s[0:1], s[6:7], 4
	v_fma_f64 v[6:7], v[44:45], v[48:49], -v[6:7]
	s_add_u32 s0, s2, s0
	v_add_f64 v[4:5], v[4:5], v[6:7]
	v_mul_f64 v[6:7], s[20:21], v[72:73]
	v_mul_f64 v[8:9], s[22:23], v[72:73]
	s_addc_u32 s1, s3, s1
	v_fmac_f64_e32 v[6:7], s[22:23], v[4:5]
	v_fma_f64 v[4:5], s[20:21], v[4:5], -v[8:9]
	v_mad_u64_u32 v[8:9], s[2:3], s10, v2, 0
	v_mov_b32_e32 v10, v9
	v_mad_u64_u32 v[2:3], s[2:3], s11, v2, v[10:11]
	v_mov_b32_e32 v9, v2
	v_lshl_add_u64 v[2:3], v[8:9], 4, s[0:1]
	v_lshl_add_u64 v[0:1], v[2:3], 0, v[0:1]
	global_store_dwordx4 v[0:1], v[4:7], off
.LBB142_15:
	s_endpgm
	.section	.rodata,"a",@progbits
	.p2align	6, 0x0
	.amdhsa_kernel _ZL23rocblas_trmm_rTx_kernelILi16ELb1E19rocblas_complex_numIdEPKS1_S2_S1_Ev13rocblas_fill_17rocblas_diagonal_iiT2_lPT3_llS8_llPT4_lli
		.amdhsa_group_segment_fixed_size 8192
		.amdhsa_private_segment_fixed_size 0
		.amdhsa_kernarg_size 108
		.amdhsa_user_sgpr_count 2
		.amdhsa_user_sgpr_dispatch_ptr 0
		.amdhsa_user_sgpr_queue_ptr 0
		.amdhsa_user_sgpr_kernarg_segment_ptr 1
		.amdhsa_user_sgpr_dispatch_id 0
		.amdhsa_user_sgpr_kernarg_preload_length 0
		.amdhsa_user_sgpr_kernarg_preload_offset 0
		.amdhsa_user_sgpr_private_segment_size 0
		.amdhsa_uses_dynamic_stack 0
		.amdhsa_enable_private_segment 0
		.amdhsa_system_sgpr_workgroup_id_x 1
		.amdhsa_system_sgpr_workgroup_id_y 0
		.amdhsa_system_sgpr_workgroup_id_z 1
		.amdhsa_system_sgpr_workgroup_info 0
		.amdhsa_system_vgpr_workitem_id 1
		.amdhsa_next_free_vgpr 76
		.amdhsa_next_free_sgpr 28
		.amdhsa_accum_offset 76
		.amdhsa_reserve_vcc 1
		.amdhsa_float_round_mode_32 0
		.amdhsa_float_round_mode_16_64 0
		.amdhsa_float_denorm_mode_32 3
		.amdhsa_float_denorm_mode_16_64 3
		.amdhsa_dx10_clamp 1
		.amdhsa_ieee_mode 1
		.amdhsa_fp16_overflow 0
		.amdhsa_tg_split 0
		.amdhsa_exception_fp_ieee_invalid_op 0
		.amdhsa_exception_fp_denorm_src 0
		.amdhsa_exception_fp_ieee_div_zero 0
		.amdhsa_exception_fp_ieee_overflow 0
		.amdhsa_exception_fp_ieee_underflow 0
		.amdhsa_exception_fp_ieee_inexact 0
		.amdhsa_exception_int_div_zero 0
	.end_amdhsa_kernel
	.section	.text._ZL23rocblas_trmm_rTx_kernelILi16ELb1E19rocblas_complex_numIdEPKS1_S2_S1_Ev13rocblas_fill_17rocblas_diagonal_iiT2_lPT3_llS8_llPT4_lli,"axG",@progbits,_ZL23rocblas_trmm_rTx_kernelILi16ELb1E19rocblas_complex_numIdEPKS1_S2_S1_Ev13rocblas_fill_17rocblas_diagonal_iiT2_lPT3_llS8_llPT4_lli,comdat
.Lfunc_end142:
	.size	_ZL23rocblas_trmm_rTx_kernelILi16ELb1E19rocblas_complex_numIdEPKS1_S2_S1_Ev13rocblas_fill_17rocblas_diagonal_iiT2_lPT3_llS8_llPT4_lli, .Lfunc_end142-_ZL23rocblas_trmm_rTx_kernelILi16ELb1E19rocblas_complex_numIdEPKS1_S2_S1_Ev13rocblas_fill_17rocblas_diagonal_iiT2_lPT3_llS8_llPT4_lli
                                        ; -- End function
	.set _ZL23rocblas_trmm_rTx_kernelILi16ELb1E19rocblas_complex_numIdEPKS1_S2_S1_Ev13rocblas_fill_17rocblas_diagonal_iiT2_lPT3_llS8_llPT4_lli.num_vgpr, 76
	.set _ZL23rocblas_trmm_rTx_kernelILi16ELb1E19rocblas_complex_numIdEPKS1_S2_S1_Ev13rocblas_fill_17rocblas_diagonal_iiT2_lPT3_llS8_llPT4_lli.num_agpr, 0
	.set _ZL23rocblas_trmm_rTx_kernelILi16ELb1E19rocblas_complex_numIdEPKS1_S2_S1_Ev13rocblas_fill_17rocblas_diagonal_iiT2_lPT3_llS8_llPT4_lli.numbered_sgpr, 28
	.set _ZL23rocblas_trmm_rTx_kernelILi16ELb1E19rocblas_complex_numIdEPKS1_S2_S1_Ev13rocblas_fill_17rocblas_diagonal_iiT2_lPT3_llS8_llPT4_lli.num_named_barrier, 0
	.set _ZL23rocblas_trmm_rTx_kernelILi16ELb1E19rocblas_complex_numIdEPKS1_S2_S1_Ev13rocblas_fill_17rocblas_diagonal_iiT2_lPT3_llS8_llPT4_lli.private_seg_size, 0
	.set _ZL23rocblas_trmm_rTx_kernelILi16ELb1E19rocblas_complex_numIdEPKS1_S2_S1_Ev13rocblas_fill_17rocblas_diagonal_iiT2_lPT3_llS8_llPT4_lli.uses_vcc, 1
	.set _ZL23rocblas_trmm_rTx_kernelILi16ELb1E19rocblas_complex_numIdEPKS1_S2_S1_Ev13rocblas_fill_17rocblas_diagonal_iiT2_lPT3_llS8_llPT4_lli.uses_flat_scratch, 0
	.set _ZL23rocblas_trmm_rTx_kernelILi16ELb1E19rocblas_complex_numIdEPKS1_S2_S1_Ev13rocblas_fill_17rocblas_diagonal_iiT2_lPT3_llS8_llPT4_lli.has_dyn_sized_stack, 0
	.set _ZL23rocblas_trmm_rTx_kernelILi16ELb1E19rocblas_complex_numIdEPKS1_S2_S1_Ev13rocblas_fill_17rocblas_diagonal_iiT2_lPT3_llS8_llPT4_lli.has_recursion, 0
	.set _ZL23rocblas_trmm_rTx_kernelILi16ELb1E19rocblas_complex_numIdEPKS1_S2_S1_Ev13rocblas_fill_17rocblas_diagonal_iiT2_lPT3_llS8_llPT4_lli.has_indirect_call, 0
	.section	.AMDGPU.csdata,"",@progbits
; Kernel info:
; codeLenInByte = 1776
; TotalNumSgprs: 34
; NumVgprs: 76
; NumAgprs: 0
; TotalNumVgprs: 76
; ScratchSize: 0
; MemoryBound: 0
; FloatMode: 240
; IeeeMode: 1
; LDSByteSize: 8192 bytes/workgroup (compile time only)
; SGPRBlocks: 4
; VGPRBlocks: 9
; NumSGPRsForWavesPerEU: 34
; NumVGPRsForWavesPerEU: 76
; AccumOffset: 76
; Occupancy: 6
; WaveLimiterHint : 0
; COMPUTE_PGM_RSRC2:SCRATCH_EN: 0
; COMPUTE_PGM_RSRC2:USER_SGPR: 2
; COMPUTE_PGM_RSRC2:TRAP_HANDLER: 0
; COMPUTE_PGM_RSRC2:TGID_X_EN: 1
; COMPUTE_PGM_RSRC2:TGID_Y_EN: 0
; COMPUTE_PGM_RSRC2:TGID_Z_EN: 1
; COMPUTE_PGM_RSRC2:TIDIG_COMP_CNT: 1
; COMPUTE_PGM_RSRC3_GFX90A:ACCUM_OFFSET: 18
; COMPUTE_PGM_RSRC3_GFX90A:TG_SPLIT: 0
	.section	.text._ZL23rocblas_trmm_rTx_kernelILi16ELb1E19rocblas_complex_numIdES1_KS1_S1_Ev13rocblas_fill_17rocblas_diagonal_iiT2_lPT3_llS7_llPT4_lli,"axG",@progbits,_ZL23rocblas_trmm_rTx_kernelILi16ELb1E19rocblas_complex_numIdES1_KS1_S1_Ev13rocblas_fill_17rocblas_diagonal_iiT2_lPT3_llS7_llPT4_lli,comdat
	.globl	_ZL23rocblas_trmm_rTx_kernelILi16ELb1E19rocblas_complex_numIdES1_KS1_S1_Ev13rocblas_fill_17rocblas_diagonal_iiT2_lPT3_llS7_llPT4_lli ; -- Begin function _ZL23rocblas_trmm_rTx_kernelILi16ELb1E19rocblas_complex_numIdES1_KS1_S1_Ev13rocblas_fill_17rocblas_diagonal_iiT2_lPT3_llS7_llPT4_lli
	.p2align	8
	.type	_ZL23rocblas_trmm_rTx_kernelILi16ELb1E19rocblas_complex_numIdES1_KS1_S1_Ev13rocblas_fill_17rocblas_diagonal_iiT2_lPT3_llS7_llPT4_lli,@function
_ZL23rocblas_trmm_rTx_kernelILi16ELb1E19rocblas_complex_numIdES1_KS1_S1_Ev13rocblas_fill_17rocblas_diagonal_iiT2_lPT3_llS7_llPT4_lli: ; @_ZL23rocblas_trmm_rTx_kernelILi16ELb1E19rocblas_complex_numIdES1_KS1_S1_Ev13rocblas_fill_17rocblas_diagonal_iiT2_lPT3_llS7_llPT4_lli
; %bb.0:
	s_load_dwordx4 s[24:27], s[0:1], 0x10
	s_waitcnt lgkmcnt(0)
	v_cmp_neq_f64_e64 s[4:5], s[24:25], 0
	v_cmp_neq_f64_e64 s[6:7], s[26:27], 0
	s_or_b64 s[4:5], s[4:5], s[6:7]
	s_andn2_b64 vcc, exec, s[4:5]
	s_cbranch_vccnz .LBB143_15
; %bb.1:
	s_load_dwordx4 s[28:31], s[0:1], 0x0
	s_load_dwordx16 s[8:23], s[0:1], 0x28
	s_mov_b32 s4, 0
	s_mov_b32 s6, s4
	;; [unrolled: 1-line block ×3, first 2 shown]
	v_and_b32_e32 v5, 0x3ff, v0
	v_bfe_u32 v2, v0, 10, 10
	s_mov_b32 s5, s4
	v_mov_b64_e32 v[8:9], s[6:7]
	v_lshlrev_b32_e32 v3, 4, v2
	v_mov_b64_e32 v[6:7], s[4:5]
	s_waitcnt lgkmcnt(0)
	v_cmp_gt_i32_e32 vcc, s31, v2
	v_cmp_gt_i32_e64 s[4:5], s31, v5
	v_add_lshl_u32 v4, v3, v5, 4
	s_and_b64 s[6:7], vcc, s[4:5]
	v_lshlrev_b32_e32 v0, 4, v5
	ds_write_b128 v4, v[6:9]
	ds_write_b128 v4, v[6:9] offset:4096
	s_and_saveexec_b64 s[4:5], s[6:7]
	s_cbranch_execz .LBB143_3
; %bb.2:
	s_mul_i32 s6, s13, s3
	s_mul_hi_u32 s7, s12, s3
	s_add_i32 s7, s7, s6
	s_mul_i32 s6, s12, s3
	s_lshl_b64 s[6:7], s[6:7], 4
	s_add_u32 s6, s8, s6
	s_addc_u32 s7, s9, s7
	v_mad_u64_u32 v[6:7], s[8:9], s10, v2, 0
	v_mov_b32_e32 v8, v7
	v_mad_u64_u32 v[8:9], s[8:9], s11, v2, v[8:9]
	v_mov_b32_e32 v7, v8
	v_lshl_add_u64 v[6:7], v[6:7], 4, s[6:7]
	v_mov_b32_e32 v1, 0
	v_lshl_add_u64 v[6:7], v[6:7], 0, v[0:1]
	global_load_dwordx4 v[6:9], v[6:7], off
	s_waitcnt vmcnt(0)
	v_xor_b32_e32 v9, 0x80000000, v9
	ds_write_b128 v4, v[6:9]
.LBB143_3:
	s_or_b64 exec, exec, s[4:5]
	s_add_i32 s4, s30, -1
	s_ashr_i32 s5, s4, 31
	s_lshr_b32 s5, s5, 28
	s_add_i32 s4, s4, s5
	s_ashr_i32 s5, s4, 4
	s_and_b32 s4, s4, -16
	s_sub_i32 s4, s30, s4
	s_cmp_ge_i32 s2, s5
	s_cselect_b32 s4, s4, 16
	s_lshl_b32 s6, s2, 4
	v_cmp_gt_i32_e64 s[4:5], s4, v5
	s_ashr_i32 s7, s6, 31
	s_and_b64 s[4:5], vcc, s[4:5]
	s_and_saveexec_b64 s[8:9], s[4:5]
	s_cbranch_execz .LBB143_5
; %bb.4:
	s_mul_i32 s2, s19, s3
	s_mul_hi_u32 s10, s18, s3
	s_add_i32 s11, s10, s2
	s_mul_i32 s10, s18, s3
	s_lshl_b64 s[10:11], s[10:11], 4
	s_add_u32 s2, s14, s10
	s_addc_u32 s12, s15, s11
	s_lshl_b64 s[10:11], s[6:7], 4
	s_add_u32 s10, s2, s10
	s_addc_u32 s11, s12, s11
	v_mad_u64_u32 v[6:7], s[12:13], s16, v2, 0
	v_mov_b32_e32 v8, v7
	v_mad_u64_u32 v[8:9], s[12:13], s17, v2, v[8:9]
	v_mov_b32_e32 v7, v8
	v_lshl_add_u64 v[6:7], v[6:7], 4, s[10:11]
	v_mov_b32_e32 v1, 0
	v_lshl_add_u64 v[6:7], v[6:7], 0, v[0:1]
	global_load_dwordx4 v[6:9], v[6:7], off
	v_add_u32_e32 v1, 0x1000, v4
	s_waitcnt vmcnt(0)
	ds_write2_b64 v1, v[6:7], v[8:9] offset1:1
.LBB143_5:
	s_or_b64 exec, exec, s[8:9]
	s_cmpk_eq_i32 s29, 0x84
	s_cselect_b64 s[8:9], -1, 0
	v_cmp_eq_u32_e32 vcc, v2, v5
	s_and_b64 s[10:11], vcc, s[8:9]
	s_and_saveexec_b64 s[8:9], s[10:11]
; %bb.6:
	v_mov_b32_e32 v6, 0
	v_mov_b32_e32 v7, 0x3ff00000
	;; [unrolled: 1-line block ×4, first 2 shown]
	ds_write_b128 v4, v[6:9]
; %bb.7:
	s_or_b64 exec, exec, s[8:9]
	s_cmpk_lg_i32 s28, 0x79
	s_cbranch_scc0 .LBB143_9
; %bb.8:
	v_cmp_lt_u32_e32 vcc, v5, v2
	s_and_b64 s[8:9], vcc, exec
	s_cbranch_execz .LBB143_10
	s_branch .LBB143_11
.LBB143_9:
	s_mov_b64 s[8:9], 0
.LBB143_10:
	v_cmp_gt_u32_e32 vcc, v5, v2
	s_andn2_b64 s[8:9], s[8:9], exec
	s_and_b64 s[10:11], vcc, exec
	s_or_b64 s[8:9], s[8:9], s[10:11]
.LBB143_11:
	s_and_saveexec_b64 s[10:11], s[8:9]
; %bb.12:
	v_mov_b32_e32 v6, 0
	v_mov_b32_e32 v7, v6
	v_mov_b32_e32 v8, v6
	v_mov_b32_e32 v9, v6
	ds_write_b128 v4, v[6:9]
; %bb.13:
	s_or_b64 exec, exec, s[10:11]
	s_waitcnt lgkmcnt(0)
	s_barrier
	s_and_saveexec_b64 s[8:9], s[4:5]
	s_cbranch_execz .LBB143_15
; %bb.14:
	ds_read_b128 v[4:7], v3
	ds_read_b128 v[8:11], v3 offset:256
	ds_read_b128 v[12:15], v0 offset:4096
	;; [unrolled: 1-line block ×3, first 2 shown]
	s_load_dwordx2 s[0:1], s[0:1], 0x68
	v_mov_b32_e32 v1, 0
	s_waitcnt lgkmcnt(0)
	v_mul_f64 v[20:21], v[4:5], v[14:15]
	v_fmac_f64_e32 v[20:21], v[6:7], v[12:13]
	v_add_f64 v[38:39], v[20:21], 0
	ds_read_b128 v[20:23], v3 offset:512
	ds_read_b128 v[24:27], v0 offset:4608
	v_mul_f64 v[36:37], v[8:9], v[18:19]
	v_fmac_f64_e32 v[36:37], v[10:11], v[16:17]
	ds_read_b128 v[28:31], v3 offset:768
	ds_read_b128 v[32:35], v0 offset:4864
	v_add_f64 v[36:37], v[38:39], v[36:37]
	s_waitcnt lgkmcnt(2)
	v_mul_f64 v[38:39], v[20:21], v[26:27]
	v_fmac_f64_e32 v[38:39], v[22:23], v[24:25]
	v_add_f64 v[52:53], v[36:37], v[38:39]
	ds_read_b128 v[36:39], v3 offset:1024
	ds_read_b128 v[40:43], v0 offset:5120
	;; [unrolled: 1-line block ×4, first 2 shown]
	s_waitcnt lgkmcnt(4)
	v_mul_f64 v[54:55], v[28:29], v[34:35]
	v_fmac_f64_e32 v[54:55], v[30:31], v[32:33]
	v_add_f64 v[52:53], v[52:53], v[54:55]
	s_waitcnt lgkmcnt(2)
	v_mul_f64 v[54:55], v[36:37], v[42:43]
	v_fmac_f64_e32 v[54:55], v[38:39], v[40:41]
	v_add_f64 v[52:53], v[52:53], v[54:55]
	s_waitcnt lgkmcnt(0)
	v_mul_f64 v[54:55], v[44:45], v[50:51]
	v_fmac_f64_e32 v[54:55], v[46:47], v[48:49]
	v_mul_f64 v[6:7], v[6:7], v[14:15]
	v_add_f64 v[56:57], v[52:53], v[54:55]
	ds_read_b128 v[52:55], v3 offset:1536
	v_fma_f64 v[58:59], v[4:5], v[12:13], -v[6:7]
	ds_read_b128 v[4:7], v0 offset:5632
	v_mul_f64 v[10:11], v[10:11], v[18:19]
	v_fma_f64 v[60:61], v[8:9], v[16:17], -v[10:11]
	ds_read_b128 v[8:11], v3 offset:1792
	ds_read_b128 v[12:15], v0 offset:5888
	v_add_f64 v[58:59], v[58:59], 0
	s_waitcnt lgkmcnt(2)
	v_mul_f64 v[16:17], v[52:53], v[6:7]
	v_fmac_f64_e32 v[16:17], v[54:55], v[4:5]
	v_add_f64 v[56:57], v[56:57], v[16:17]
	v_mul_f64 v[16:17], v[22:23], v[26:27]
	v_fma_f64 v[62:63], v[20:21], v[24:25], -v[16:17]
	v_mul_f64 v[20:21], v[30:31], v[34:35]
	ds_read_b128 v[16:19], v3 offset:2048
	v_fma_f64 v[66:67], v[28:29], v[32:33], -v[20:21]
	ds_read_b128 v[20:23], v0 offset:6144
	s_waitcnt lgkmcnt(2)
	v_mul_f64 v[64:65], v[8:9], v[14:15]
	v_fmac_f64_e32 v[64:65], v[10:11], v[12:13]
	v_mul_f64 v[24:25], v[38:39], v[42:43]
	v_add_f64 v[32:33], v[56:57], v[64:65]
	s_waitcnt lgkmcnt(0)
	v_mul_f64 v[34:35], v[16:17], v[22:23]
	v_fmac_f64_e32 v[34:35], v[18:19], v[20:21]
	v_fma_f64 v[68:69], v[36:37], v[40:41], -v[24:25]
	ds_read_b128 v[24:27], v3 offset:2304
	ds_read_b128 v[28:31], v0 offset:6400
	v_add_f64 v[40:41], v[32:33], v[34:35]
	v_mul_f64 v[32:33], v[46:47], v[50:51]
	v_fma_f64 v[56:57], v[44:45], v[48:49], -v[32:33]
	ds_read_b128 v[32:35], v0 offset:6656
	v_mul_f64 v[6:7], v[54:55], v[6:7]
	v_fma_f64 v[52:53], v[52:53], v[4:5], -v[6:7]
	ds_read_b128 v[4:7], v3 offset:2560
	ds_read_b128 v[36:39], v3 offset:2816
	s_waitcnt lgkmcnt(3)
	v_mul_f64 v[42:43], v[24:25], v[30:31]
	v_fmac_f64_e32 v[42:43], v[26:27], v[28:29]
	v_mul_f64 v[10:11], v[10:11], v[14:15]
	s_waitcnt lgkmcnt(1)
	v_mul_f64 v[14:15], v[4:5], v[34:35]
	v_fma_f64 v[54:55], v[8:9], v[12:13], -v[10:11]
	v_add_f64 v[12:13], v[40:41], v[42:43]
	v_fmac_f64_e32 v[14:15], v[6:7], v[32:33]
	ds_read_b128 v[8:11], v0 offset:6912
	v_add_f64 v[40:41], v[12:13], v[14:15]
	v_mul_f64 v[12:13], v[18:19], v[22:23]
	v_add_f64 v[58:59], v[58:59], v[60:61]
	v_fma_f64 v[64:65], v[16:17], v[20:21], -v[12:13]
	ds_read_b128 v[12:15], v3 offset:3072
	ds_read_b128 v[16:19], v0 offset:7168
	v_add_f64 v[58:59], v[58:59], v[62:63]
	v_add_f64 v[58:59], v[58:59], v[66:67]
	;; [unrolled: 1-line block ×4, first 2 shown]
	s_waitcnt lgkmcnt(2)
	v_mul_f64 v[42:43], v[36:37], v[10:11]
	v_mul_f64 v[20:21], v[26:27], v[30:31]
	v_add_f64 v[52:53], v[56:57], v[52:53]
	v_fmac_f64_e32 v[42:43], v[38:39], v[8:9]
	v_fma_f64 v[70:71], v[24:25], v[28:29], -v[20:21]
	ds_read_b128 v[20:23], v3 offset:3328
	ds_read_b128 v[24:27], v0 offset:7424
	s_waitcnt lgkmcnt(2)
	v_mul_f64 v[30:31], v[12:13], v[18:19]
	v_add_f64 v[52:53], v[52:53], v[54:55]
	v_add_f64 v[28:29], v[40:41], v[42:43]
	v_fmac_f64_e32 v[30:31], v[14:15], v[16:17]
	v_add_f64 v[52:53], v[52:53], v[64:65]
	v_mul_f64 v[6:7], v[6:7], v[34:35]
	v_add_f64 v[72:73], v[28:29], v[30:31]
	ds_read_b128 v[28:31], v3 offset:3584
	ds_read_b128 v[40:43], v0 offset:7680
	v_add_f64 v[52:53], v[52:53], v[70:71]
	v_fma_f64 v[4:5], v[4:5], v[32:33], -v[6:7]
	v_mul_f64 v[6:7], v[38:39], v[10:11]
	v_add_f64 v[4:5], v[52:53], v[4:5]
	v_fma_f64 v[6:7], v[36:37], v[8:9], -v[6:7]
	ds_read_b128 v[44:47], v3 offset:3840
	ds_read_b128 v[48:51], v0 offset:7936
	v_add_f64 v[4:5], v[4:5], v[6:7]
	v_mul_f64 v[6:7], v[14:15], v[18:19]
	s_waitcnt lgkmcnt(4)
	v_mul_f64 v[74:75], v[20:21], v[26:27]
	v_fma_f64 v[6:7], v[12:13], v[16:17], -v[6:7]
	v_fmac_f64_e32 v[74:75], v[22:23], v[24:25]
	v_add_f64 v[4:5], v[4:5], v[6:7]
	v_mul_f64 v[6:7], v[22:23], v[26:27]
	v_add_f64 v[72:73], v[72:73], v[74:75]
	s_waitcnt lgkmcnt(2)
	v_mul_f64 v[74:75], v[28:29], v[42:43]
	s_mul_i32 s1, s1, s3
	s_mul_hi_u32 s2, s0, s3
	v_fma_f64 v[6:7], v[20:21], v[24:25], -v[6:7]
	v_fmac_f64_e32 v[74:75], v[30:31], v[40:41]
	s_add_i32 s1, s2, s1
	s_mul_i32 s0, s0, s3
	v_add_f64 v[4:5], v[4:5], v[6:7]
	v_mul_f64 v[6:7], v[30:31], v[42:43]
	v_add_f64 v[72:73], v[72:73], v[74:75]
	s_waitcnt lgkmcnt(0)
	v_mul_f64 v[74:75], v[44:45], v[50:51]
	s_lshl_b64 s[0:1], s[0:1], 4
	v_fma_f64 v[6:7], v[28:29], v[40:41], -v[6:7]
	v_fmac_f64_e32 v[74:75], v[46:47], v[48:49]
	s_add_u32 s2, s20, s0
	v_add_f64 v[4:5], v[4:5], v[6:7]
	v_mul_f64 v[6:7], v[46:47], v[50:51]
	v_add_f64 v[72:73], v[72:73], v[74:75]
	s_addc_u32 s3, s21, s1
	s_lshl_b64 s[0:1], s[6:7], 4
	v_fma_f64 v[6:7], v[44:45], v[48:49], -v[6:7]
	s_add_u32 s0, s2, s0
	v_add_f64 v[4:5], v[4:5], v[6:7]
	v_mul_f64 v[6:7], s[24:25], v[72:73]
	v_mul_f64 v[8:9], s[26:27], v[72:73]
	s_addc_u32 s1, s3, s1
	v_fmac_f64_e32 v[6:7], s[26:27], v[4:5]
	v_fma_f64 v[4:5], s[24:25], v[4:5], -v[8:9]
	v_mad_u64_u32 v[8:9], s[2:3], s22, v2, 0
	v_mov_b32_e32 v10, v9
	v_mad_u64_u32 v[2:3], s[2:3], s23, v2, v[10:11]
	v_mov_b32_e32 v9, v2
	v_lshl_add_u64 v[2:3], v[8:9], 4, s[0:1]
	v_lshl_add_u64 v[0:1], v[2:3], 0, v[0:1]
	global_store_dwordx4 v[0:1], v[4:7], off
.LBB143_15:
	s_endpgm
	.section	.rodata,"a",@progbits
	.p2align	6, 0x0
	.amdhsa_kernel _ZL23rocblas_trmm_rTx_kernelILi16ELb1E19rocblas_complex_numIdES1_KS1_S1_Ev13rocblas_fill_17rocblas_diagonal_iiT2_lPT3_llS7_llPT4_lli
		.amdhsa_group_segment_fixed_size 8192
		.amdhsa_private_segment_fixed_size 0
		.amdhsa_kernarg_size 116
		.amdhsa_user_sgpr_count 2
		.amdhsa_user_sgpr_dispatch_ptr 0
		.amdhsa_user_sgpr_queue_ptr 0
		.amdhsa_user_sgpr_kernarg_segment_ptr 1
		.amdhsa_user_sgpr_dispatch_id 0
		.amdhsa_user_sgpr_kernarg_preload_length 0
		.amdhsa_user_sgpr_kernarg_preload_offset 0
		.amdhsa_user_sgpr_private_segment_size 0
		.amdhsa_uses_dynamic_stack 0
		.amdhsa_enable_private_segment 0
		.amdhsa_system_sgpr_workgroup_id_x 1
		.amdhsa_system_sgpr_workgroup_id_y 0
		.amdhsa_system_sgpr_workgroup_id_z 1
		.amdhsa_system_sgpr_workgroup_info 0
		.amdhsa_system_vgpr_workitem_id 1
		.amdhsa_next_free_vgpr 76
		.amdhsa_next_free_sgpr 32
		.amdhsa_accum_offset 76
		.amdhsa_reserve_vcc 1
		.amdhsa_float_round_mode_32 0
		.amdhsa_float_round_mode_16_64 0
		.amdhsa_float_denorm_mode_32 3
		.amdhsa_float_denorm_mode_16_64 3
		.amdhsa_dx10_clamp 1
		.amdhsa_ieee_mode 1
		.amdhsa_fp16_overflow 0
		.amdhsa_tg_split 0
		.amdhsa_exception_fp_ieee_invalid_op 0
		.amdhsa_exception_fp_denorm_src 0
		.amdhsa_exception_fp_ieee_div_zero 0
		.amdhsa_exception_fp_ieee_overflow 0
		.amdhsa_exception_fp_ieee_underflow 0
		.amdhsa_exception_fp_ieee_inexact 0
		.amdhsa_exception_int_div_zero 0
	.end_amdhsa_kernel
	.section	.text._ZL23rocblas_trmm_rTx_kernelILi16ELb1E19rocblas_complex_numIdES1_KS1_S1_Ev13rocblas_fill_17rocblas_diagonal_iiT2_lPT3_llS7_llPT4_lli,"axG",@progbits,_ZL23rocblas_trmm_rTx_kernelILi16ELb1E19rocblas_complex_numIdES1_KS1_S1_Ev13rocblas_fill_17rocblas_diagonal_iiT2_lPT3_llS7_llPT4_lli,comdat
.Lfunc_end143:
	.size	_ZL23rocblas_trmm_rTx_kernelILi16ELb1E19rocblas_complex_numIdES1_KS1_S1_Ev13rocblas_fill_17rocblas_diagonal_iiT2_lPT3_llS7_llPT4_lli, .Lfunc_end143-_ZL23rocblas_trmm_rTx_kernelILi16ELb1E19rocblas_complex_numIdES1_KS1_S1_Ev13rocblas_fill_17rocblas_diagonal_iiT2_lPT3_llS7_llPT4_lli
                                        ; -- End function
	.set _ZL23rocblas_trmm_rTx_kernelILi16ELb1E19rocblas_complex_numIdES1_KS1_S1_Ev13rocblas_fill_17rocblas_diagonal_iiT2_lPT3_llS7_llPT4_lli.num_vgpr, 76
	.set _ZL23rocblas_trmm_rTx_kernelILi16ELb1E19rocblas_complex_numIdES1_KS1_S1_Ev13rocblas_fill_17rocblas_diagonal_iiT2_lPT3_llS7_llPT4_lli.num_agpr, 0
	.set _ZL23rocblas_trmm_rTx_kernelILi16ELb1E19rocblas_complex_numIdES1_KS1_S1_Ev13rocblas_fill_17rocblas_diagonal_iiT2_lPT3_llS7_llPT4_lli.numbered_sgpr, 32
	.set _ZL23rocblas_trmm_rTx_kernelILi16ELb1E19rocblas_complex_numIdES1_KS1_S1_Ev13rocblas_fill_17rocblas_diagonal_iiT2_lPT3_llS7_llPT4_lli.num_named_barrier, 0
	.set _ZL23rocblas_trmm_rTx_kernelILi16ELb1E19rocblas_complex_numIdES1_KS1_S1_Ev13rocblas_fill_17rocblas_diagonal_iiT2_lPT3_llS7_llPT4_lli.private_seg_size, 0
	.set _ZL23rocblas_trmm_rTx_kernelILi16ELb1E19rocblas_complex_numIdES1_KS1_S1_Ev13rocblas_fill_17rocblas_diagonal_iiT2_lPT3_llS7_llPT4_lli.uses_vcc, 1
	.set _ZL23rocblas_trmm_rTx_kernelILi16ELb1E19rocblas_complex_numIdES1_KS1_S1_Ev13rocblas_fill_17rocblas_diagonal_iiT2_lPT3_llS7_llPT4_lli.uses_flat_scratch, 0
	.set _ZL23rocblas_trmm_rTx_kernelILi16ELb1E19rocblas_complex_numIdES1_KS1_S1_Ev13rocblas_fill_17rocblas_diagonal_iiT2_lPT3_llS7_llPT4_lli.has_dyn_sized_stack, 0
	.set _ZL23rocblas_trmm_rTx_kernelILi16ELb1E19rocblas_complex_numIdES1_KS1_S1_Ev13rocblas_fill_17rocblas_diagonal_iiT2_lPT3_llS7_llPT4_lli.has_recursion, 0
	.set _ZL23rocblas_trmm_rTx_kernelILi16ELb1E19rocblas_complex_numIdES1_KS1_S1_Ev13rocblas_fill_17rocblas_diagonal_iiT2_lPT3_llS7_llPT4_lli.has_indirect_call, 0
	.section	.AMDGPU.csdata,"",@progbits
; Kernel info:
; codeLenInByte = 1736
; TotalNumSgprs: 38
; NumVgprs: 76
; NumAgprs: 0
; TotalNumVgprs: 76
; ScratchSize: 0
; MemoryBound: 0
; FloatMode: 240
; IeeeMode: 1
; LDSByteSize: 8192 bytes/workgroup (compile time only)
; SGPRBlocks: 4
; VGPRBlocks: 9
; NumSGPRsForWavesPerEU: 38
; NumVGPRsForWavesPerEU: 76
; AccumOffset: 76
; Occupancy: 6
; WaveLimiterHint : 0
; COMPUTE_PGM_RSRC2:SCRATCH_EN: 0
; COMPUTE_PGM_RSRC2:USER_SGPR: 2
; COMPUTE_PGM_RSRC2:TRAP_HANDLER: 0
; COMPUTE_PGM_RSRC2:TGID_X_EN: 1
; COMPUTE_PGM_RSRC2:TGID_Y_EN: 0
; COMPUTE_PGM_RSRC2:TGID_Z_EN: 1
; COMPUTE_PGM_RSRC2:TIDIG_COMP_CNT: 1
; COMPUTE_PGM_RSRC3_GFX90A:ACCUM_OFFSET: 18
; COMPUTE_PGM_RSRC3_GFX90A:TG_SPLIT: 0
	.section	.text._ZL23rocblas_trmm_lNx_kernelILi32EfPKfKS1_KPfEv13rocblas_fill_17rocblas_diagonal_iiT1_lPT2_llS9_llPT3_lli,"axG",@progbits,_ZL23rocblas_trmm_lNx_kernelILi32EfPKfKS1_KPfEv13rocblas_fill_17rocblas_diagonal_iiT1_lPT2_llS9_llPT3_lli,comdat
	.globl	_ZL23rocblas_trmm_lNx_kernelILi32EfPKfKS1_KPfEv13rocblas_fill_17rocblas_diagonal_iiT1_lPT2_llS9_llPT3_lli ; -- Begin function _ZL23rocblas_trmm_lNx_kernelILi32EfPKfKS1_KPfEv13rocblas_fill_17rocblas_diagonal_iiT1_lPT2_llS9_llPT3_lli
	.p2align	8
	.type	_ZL23rocblas_trmm_lNx_kernelILi32EfPKfKS1_KPfEv13rocblas_fill_17rocblas_diagonal_iiT1_lPT2_llS9_llPT3_lli,@function
_ZL23rocblas_trmm_lNx_kernelILi32EfPKfKS1_KPfEv13rocblas_fill_17rocblas_diagonal_iiT1_lPT2_llS9_llPT3_lli: ; @_ZL23rocblas_trmm_lNx_kernelILi32EfPKfKS1_KPfEv13rocblas_fill_17rocblas_diagonal_iiT1_lPT2_llS9_llPT3_lli
; %bb.0:
	s_load_dwordx16 s[4:19], s[0:1], 0x10
	s_mov_b32 s24, s3
	s_waitcnt lgkmcnt(0)
	s_mul_i32 s3, s7, s3
	s_mul_hi_u32 s7, s6, s24
	s_add_i32 s7, s7, s3
	s_mul_i32 s6, s6, s24
	s_lshl_b64 s[6:7], s[6:7], 2
	s_add_u32 s4, s4, s6
	s_addc_u32 s5, s5, s7
	s_load_dword s28, s[4:5], 0x0
	s_waitcnt lgkmcnt(0)
	v_cmp_eq_f32_e64 s[4:5], s28, 0
	s_and_b64 vcc, exec, s[4:5]
	s_cbranch_vccnz .LBB144_15
; %bb.1:
	s_load_dwordx4 s[20:23], s[0:1], 0x0
	s_load_dwordx4 s[4:7], s[0:1], 0x50
	s_mov_b32 s25, 0
	s_lshl_b64 s[26:27], s[24:25], 3
	s_add_u32 s14, s14, s26
	s_addc_u32 s15, s15, s27
	s_waitcnt lgkmcnt(0)
	s_add_u32 s4, s4, s26
	s_addc_u32 s5, s5, s27
	s_load_dwordx2 s[24:25], s[14:15], 0x0
	v_and_b32_e32 v5, 0x3ff, v0
	s_load_dwordx2 s[14:15], s[4:5], 0x0
	v_bfe_u32 v2, v0, 10, 10
	v_lshlrev_b32_e32 v3, 5, v2
	v_cmp_gt_i32_e64 s[4:5], s22, v2
	v_cmp_gt_i32_e32 vcc, s22, v5
	v_add_lshl_u32 v4, v3, v5, 2
	v_mov_b32_e32 v1, 0
	s_and_b64 s[30:31], s[4:5], vcc
	v_lshlrev_b32_e32 v0, 2, v5
	ds_write2st64_b32 v4, v1, v1 offset1:16
	s_and_saveexec_b64 s[4:5], s[30:31]
	s_cbranch_execz .LBB144_3
; %bb.2:
	s_add_u32 s8, s8, s26
	s_addc_u32 s9, s9, s27
	s_load_dwordx2 s[8:9], s[8:9], 0x0
	v_mad_u64_u32 v[6:7], s[26:27], s10, v2, 0
	s_lshl_b64 s[12:13], s[12:13], 2
	v_mov_b32_e32 v8, v7
	s_waitcnt lgkmcnt(0)
	s_add_u32 s8, s8, s12
	v_mad_u64_u32 v[8:9], s[10:11], s11, v2, v[8:9]
	s_addc_u32 s9, s9, s13
	v_mov_b32_e32 v7, v8
	v_lshl_add_u64 v[6:7], v[6:7], 2, s[8:9]
	v_lshl_add_u64 v[6:7], v[6:7], 0, v[0:1]
	flat_load_dword v1, v[6:7]
	s_waitcnt vmcnt(0) lgkmcnt(0)
	ds_write_b32 v4, v1
.LBB144_3:
	s_or_b64 exec, exec, s[4:5]
	s_add_i32 s3, s23, -1
	s_ashr_i32 s4, s3, 31
	s_lshr_b32 s4, s4, 27
	s_add_i32 s3, s3, s4
	s_ashr_i32 s4, s3, 5
	s_andn2_b32 s3, s3, 31
	s_sub_i32 s3, s23, s3
	s_cmp_ge_i32 s2, s4
	s_cselect_b32 s3, s3, 32
	s_lshl_b32 s10, s2, 5
	v_cmp_gt_i32_e64 s[2:3], s3, v2
	s_ashr_i32 s11, s10, 31
	s_and_b64 s[2:3], vcc, s[2:3]
	s_and_saveexec_b64 s[4:5], s[2:3]
	s_cbranch_execz .LBB144_5
; %bb.4:
	s_lshl_b64 s[8:9], s[18:19], 2
	s_waitcnt lgkmcnt(0)
	s_add_u32 s12, s24, s8
	s_addc_u32 s13, s25, s9
	s_mul_i32 s8, s16, s11
	s_mul_hi_u32 s9, s16, s10
	s_add_i32 s8, s9, s8
	s_mul_i32 s9, s17, s10
	s_add_i32 s9, s8, s9
	s_mul_i32 s8, s16, s10
	s_lshl_b64 s[8:9], s[8:9], 2
	s_add_u32 s8, s12, s8
	s_addc_u32 s9, s13, s9
	v_mad_u64_u32 v[6:7], s[12:13], s16, v2, 0
	v_mov_b32_e32 v8, v7
	v_mad_u64_u32 v[8:9], s[12:13], s17, v2, v[8:9]
	v_mov_b32_e32 v7, v8
	v_lshl_add_u64 v[6:7], v[6:7], 2, s[8:9]
	v_mov_b32_e32 v1, 0
	v_lshl_add_u64 v[6:7], v[6:7], 0, v[0:1]
	flat_load_dword v1, v[6:7]
	v_add_u32_e32 v6, 0x1000, v4
	s_waitcnt vmcnt(0) lgkmcnt(0)
	ds_write_b32 v6, v1
.LBB144_5:
	s_or_b64 exec, exec, s[4:5]
	s_cmpk_eq_i32 s21, 0x84
	s_cselect_b64 s[4:5], -1, 0
	v_cmp_eq_u32_e32 vcc, v2, v5
	s_and_b64 s[8:9], vcc, s[4:5]
	s_and_saveexec_b64 s[4:5], s[8:9]
; %bb.6:
	v_mov_b32_e32 v1, 1.0
	ds_write_b32 v4, v1
; %bb.7:
	s_or_b64 exec, exec, s[4:5]
	s_cmpk_lg_i32 s20, 0x79
	s_cbranch_scc0 .LBB144_9
; %bb.8:
	v_cmp_lt_u32_e32 vcc, v5, v2
	s_and_b64 s[4:5], vcc, exec
	s_cbranch_execz .LBB144_10
	s_branch .LBB144_11
.LBB144_9:
	s_mov_b64 s[4:5], 0
.LBB144_10:
	v_cmp_gt_u32_e32 vcc, v5, v2
	s_andn2_b64 s[4:5], s[4:5], exec
	s_and_b64 s[8:9], vcc, exec
	s_or_b64 s[4:5], s[4:5], s[8:9]
.LBB144_11:
	s_and_saveexec_b64 s[8:9], s[4:5]
; %bb.12:
	v_mov_b32_e32 v1, 0
	ds_write_b32 v4, v1
; %bb.13:
	s_or_b64 exec, exec, s[8:9]
	s_waitcnt lgkmcnt(0)
	s_barrier
	s_and_saveexec_b64 s[4:5], s[2:3]
	s_cbranch_execz .LBB144_15
; %bb.14:
	ds_read2_b32 v[20:21], v0 offset1:32
	v_lshlrev_b32_e32 v3, 2, v3
	ds_read_b128 v[4:7], v3 offset:4096
	ds_read_b128 v[8:11], v3 offset:4112
	ds_read_b128 v[12:15], v3 offset:4128
	ds_read_b128 v[16:19], v3 offset:4144
	ds_read2_b32 v[22:23], v0 offset0:64 offset1:96
	ds_read2_b32 v[24:25], v0 offset0:128 offset1:160
	s_load_dwordx2 s[0:1], s[0:1], 0x60
	s_waitcnt lgkmcnt(0)
	v_fma_f32 v20, v20, v4, 0
	v_fmac_f32_e32 v20, v21, v5
	ds_read2_b32 v[4:5], v0 offset0:192 offset1:224
	v_fmac_f32_e32 v20, v22, v6
	v_add_u32_e32 v21, 0x400, v0
	v_fmac_f32_e32 v20, v23, v7
	ds_read2_b32 v[6:7], v21 offset1:32
	v_fmac_f32_e32 v20, v24, v8
	v_fmac_f32_e32 v20, v25, v9
	ds_read2_b32 v[8:9], v21 offset0:64 offset1:96
	s_waitcnt lgkmcnt(2)
	v_fmac_f32_e32 v20, v4, v10
	v_fmac_f32_e32 v20, v5, v11
	ds_read2_b32 v[4:5], v21 offset0:128 offset1:160
	s_waitcnt lgkmcnt(2)
	v_fmac_f32_e32 v20, v6, v12
	v_fmac_f32_e32 v20, v7, v13
	s_waitcnt lgkmcnt(1)
	v_fmac_f32_e32 v20, v8, v14
	v_fmac_f32_e32 v20, v9, v15
	ds_read2_b32 v[8:9], v21 offset0:192 offset1:224
	s_waitcnt lgkmcnt(1)
	v_fmac_f32_e32 v20, v4, v16
	v_add_u32_e32 v21, 0x800, v0
	v_fmac_f32_e32 v20, v5, v17
	ds_read2_b32 v[12:13], v21 offset1:32
	ds_read_b128 v[4:7], v3 offset:4160
	s_waitcnt lgkmcnt(2)
	v_fmac_f32_e32 v20, v8, v18
	v_fmac_f32_e32 v20, v9, v19
	ds_read2_b32 v[14:15], v21 offset0:64 offset1:96
	ds_read_b128 v[8:11], v3 offset:4176
	ds_read2_b32 v[16:17], v21 offset0:128 offset1:160
	s_waitcnt lgkmcnt(3)
	v_fmac_f32_e32 v20, v12, v4
	v_fmac_f32_e32 v20, v13, v5
	ds_read2_b32 v[4:5], v21 offset0:192 offset1:224
	s_waitcnt lgkmcnt(3)
	v_fmac_f32_e32 v20, v14, v6
	v_fmac_f32_e32 v20, v15, v7
	s_waitcnt lgkmcnt(1)
	v_pk_mul_f32 v[6:7], v[16:17], v[8:9]
	v_add_u32_e32 v16, 0xc00, v0
	v_add_f32_e32 v6, v20, v6
	v_add_f32_e32 v14, v6, v7
	s_waitcnt lgkmcnt(0)
	v_pk_mul_f32 v[8:9], v[4:5], v[10:11]
	ds_read2_b32 v[12:13], v16 offset1:32
	ds_read_b128 v[4:7], v3 offset:4192
	v_add_f32_e32 v8, v14, v8
	v_add_f32_e32 v17, v8, v9
	ds_read2_b32 v[14:15], v16 offset0:64 offset1:96
	ds_read_b128 v[8:11], v3 offset:4208
	s_lshl_b64 s[0:1], s[0:1], 2
	s_waitcnt lgkmcnt(2)
	v_pk_mul_f32 v[4:5], v[12:13], v[4:5]
	ds_read2_b32 v[12:13], v16 offset0:192 offset1:224
	v_add_f32_e32 v3, v17, v4
	v_add_f32_e32 v3, v3, v5
	ds_read2_b32 v[4:5], v16 offset0:128 offset1:160
	s_waitcnt lgkmcnt(3)
	v_pk_mul_f32 v[6:7], v[14:15], v[6:7]
	s_mul_i32 s2, s6, s11
	v_add_f32_e32 v3, v3, v6
	v_add_f32_e32 v3, v3, v7
	s_waitcnt lgkmcnt(0)
	v_pk_mul_f32 v[4:5], v[4:5], v[8:9]
	s_mul_hi_u32 s3, s6, s10
	v_add_f32_e32 v3, v3, v4
	s_add_u32 s5, s14, s0
	v_add_f32_e32 v3, v3, v5
	v_pk_mul_f32 v[4:5], v[12:13], v[10:11]
	s_mul_i32 s4, s7, s10
	s_addc_u32 s8, s15, s1
	s_add_i32 s0, s3, s2
	v_add_f32_e32 v3, v3, v4
	s_add_i32 s1, s0, s4
	s_mul_i32 s0, s6, s10
	v_add_f32_e32 v3, v3, v5
	v_mad_u64_u32 v[4:5], s[2:3], s6, v2, 0
	s_lshl_b64 s[0:1], s[0:1], 2
	v_mul_f32_e32 v7, s28, v3
	v_mov_b32_e32 v6, v5
	s_add_u32 s0, s5, s0
	v_mad_u64_u32 v[2:3], s[2:3], s7, v2, v[6:7]
	s_addc_u32 s1, s8, s1
	v_mov_b32_e32 v5, v2
	v_mov_b32_e32 v1, 0
	v_lshl_add_u64 v[2:3], v[4:5], 2, s[0:1]
	v_lshl_add_u64 v[0:1], v[2:3], 0, v[0:1]
	flat_store_dword v[0:1], v7
.LBB144_15:
	s_endpgm
	.section	.rodata,"a",@progbits
	.p2align	6, 0x0
	.amdhsa_kernel _ZL23rocblas_trmm_lNx_kernelILi32EfPKfKS1_KPfEv13rocblas_fill_17rocblas_diagonal_iiT1_lPT2_llS9_llPT3_lli
		.amdhsa_group_segment_fixed_size 8192
		.amdhsa_private_segment_fixed_size 0
		.amdhsa_kernarg_size 108
		.amdhsa_user_sgpr_count 2
		.amdhsa_user_sgpr_dispatch_ptr 0
		.amdhsa_user_sgpr_queue_ptr 0
		.amdhsa_user_sgpr_kernarg_segment_ptr 1
		.amdhsa_user_sgpr_dispatch_id 0
		.amdhsa_user_sgpr_kernarg_preload_length 0
		.amdhsa_user_sgpr_kernarg_preload_offset 0
		.amdhsa_user_sgpr_private_segment_size 0
		.amdhsa_uses_dynamic_stack 0
		.amdhsa_enable_private_segment 0
		.amdhsa_system_sgpr_workgroup_id_x 1
		.amdhsa_system_sgpr_workgroup_id_y 0
		.amdhsa_system_sgpr_workgroup_id_z 1
		.amdhsa_system_sgpr_workgroup_info 0
		.amdhsa_system_vgpr_workitem_id 1
		.amdhsa_next_free_vgpr 26
		.amdhsa_next_free_sgpr 32
		.amdhsa_accum_offset 28
		.amdhsa_reserve_vcc 1
		.amdhsa_float_round_mode_32 0
		.amdhsa_float_round_mode_16_64 0
		.amdhsa_float_denorm_mode_32 3
		.amdhsa_float_denorm_mode_16_64 3
		.amdhsa_dx10_clamp 1
		.amdhsa_ieee_mode 1
		.amdhsa_fp16_overflow 0
		.amdhsa_tg_split 0
		.amdhsa_exception_fp_ieee_invalid_op 0
		.amdhsa_exception_fp_denorm_src 0
		.amdhsa_exception_fp_ieee_div_zero 0
		.amdhsa_exception_fp_ieee_overflow 0
		.amdhsa_exception_fp_ieee_underflow 0
		.amdhsa_exception_fp_ieee_inexact 0
		.amdhsa_exception_int_div_zero 0
	.end_amdhsa_kernel
	.section	.text._ZL23rocblas_trmm_lNx_kernelILi32EfPKfKS1_KPfEv13rocblas_fill_17rocblas_diagonal_iiT1_lPT2_llS9_llPT3_lli,"axG",@progbits,_ZL23rocblas_trmm_lNx_kernelILi32EfPKfKS1_KPfEv13rocblas_fill_17rocblas_diagonal_iiT1_lPT2_llS9_llPT3_lli,comdat
.Lfunc_end144:
	.size	_ZL23rocblas_trmm_lNx_kernelILi32EfPKfKS1_KPfEv13rocblas_fill_17rocblas_diagonal_iiT1_lPT2_llS9_llPT3_lli, .Lfunc_end144-_ZL23rocblas_trmm_lNx_kernelILi32EfPKfKS1_KPfEv13rocblas_fill_17rocblas_diagonal_iiT1_lPT2_llS9_llPT3_lli
                                        ; -- End function
	.set _ZL23rocblas_trmm_lNx_kernelILi32EfPKfKS1_KPfEv13rocblas_fill_17rocblas_diagonal_iiT1_lPT2_llS9_llPT3_lli.num_vgpr, 26
	.set _ZL23rocblas_trmm_lNx_kernelILi32EfPKfKS1_KPfEv13rocblas_fill_17rocblas_diagonal_iiT1_lPT2_llS9_llPT3_lli.num_agpr, 0
	.set _ZL23rocblas_trmm_lNx_kernelILi32EfPKfKS1_KPfEv13rocblas_fill_17rocblas_diagonal_iiT1_lPT2_llS9_llPT3_lli.numbered_sgpr, 32
	.set _ZL23rocblas_trmm_lNx_kernelILi32EfPKfKS1_KPfEv13rocblas_fill_17rocblas_diagonal_iiT1_lPT2_llS9_llPT3_lli.num_named_barrier, 0
	.set _ZL23rocblas_trmm_lNx_kernelILi32EfPKfKS1_KPfEv13rocblas_fill_17rocblas_diagonal_iiT1_lPT2_llS9_llPT3_lli.private_seg_size, 0
	.set _ZL23rocblas_trmm_lNx_kernelILi32EfPKfKS1_KPfEv13rocblas_fill_17rocblas_diagonal_iiT1_lPT2_llS9_llPT3_lli.uses_vcc, 1
	.set _ZL23rocblas_trmm_lNx_kernelILi32EfPKfKS1_KPfEv13rocblas_fill_17rocblas_diagonal_iiT1_lPT2_llS9_llPT3_lli.uses_flat_scratch, 0
	.set _ZL23rocblas_trmm_lNx_kernelILi32EfPKfKS1_KPfEv13rocblas_fill_17rocblas_diagonal_iiT1_lPT2_llS9_llPT3_lli.has_dyn_sized_stack, 0
	.set _ZL23rocblas_trmm_lNx_kernelILi32EfPKfKS1_KPfEv13rocblas_fill_17rocblas_diagonal_iiT1_lPT2_llS9_llPT3_lli.has_recursion, 0
	.set _ZL23rocblas_trmm_lNx_kernelILi32EfPKfKS1_KPfEv13rocblas_fill_17rocblas_diagonal_iiT1_lPT2_llS9_llPT3_lli.has_indirect_call, 0
	.section	.AMDGPU.csdata,"",@progbits
; Kernel info:
; codeLenInByte = 1172
; TotalNumSgprs: 38
; NumVgprs: 26
; NumAgprs: 0
; TotalNumVgprs: 26
; ScratchSize: 0
; MemoryBound: 0
; FloatMode: 240
; IeeeMode: 1
; LDSByteSize: 8192 bytes/workgroup (compile time only)
; SGPRBlocks: 4
; VGPRBlocks: 3
; NumSGPRsForWavesPerEU: 38
; NumVGPRsForWavesPerEU: 26
; AccumOffset: 28
; Occupancy: 8
; WaveLimiterHint : 1
; COMPUTE_PGM_RSRC2:SCRATCH_EN: 0
; COMPUTE_PGM_RSRC2:USER_SGPR: 2
; COMPUTE_PGM_RSRC2:TRAP_HANDLER: 0
; COMPUTE_PGM_RSRC2:TGID_X_EN: 1
; COMPUTE_PGM_RSRC2:TGID_Y_EN: 0
; COMPUTE_PGM_RSRC2:TGID_Z_EN: 1
; COMPUTE_PGM_RSRC2:TIDIG_COMP_CNT: 1
; COMPUTE_PGM_RSRC3_GFX90A:ACCUM_OFFSET: 6
; COMPUTE_PGM_RSRC3_GFX90A:TG_SPLIT: 0
	.section	.text._ZL23rocblas_trmm_lNx_kernelILi32EffKPKfKPfEv13rocblas_fill_17rocblas_diagonal_iiT1_lPT2_llS9_llPT3_lli,"axG",@progbits,_ZL23rocblas_trmm_lNx_kernelILi32EffKPKfKPfEv13rocblas_fill_17rocblas_diagonal_iiT1_lPT2_llS9_llPT3_lli,comdat
	.globl	_ZL23rocblas_trmm_lNx_kernelILi32EffKPKfKPfEv13rocblas_fill_17rocblas_diagonal_iiT1_lPT2_llS9_llPT3_lli ; -- Begin function _ZL23rocblas_trmm_lNx_kernelILi32EffKPKfKPfEv13rocblas_fill_17rocblas_diagonal_iiT1_lPT2_llS9_llPT3_lli
	.p2align	8
	.type	_ZL23rocblas_trmm_lNx_kernelILi32EffKPKfKPfEv13rocblas_fill_17rocblas_diagonal_iiT1_lPT2_llS9_llPT3_lli,@function
_ZL23rocblas_trmm_lNx_kernelILi32EffKPKfKPfEv13rocblas_fill_17rocblas_diagonal_iiT1_lPT2_llS9_llPT3_lli: ; @_ZL23rocblas_trmm_lNx_kernelILi32EffKPKfKPfEv13rocblas_fill_17rocblas_diagonal_iiT1_lPT2_llS9_llPT3_lli
; %bb.0:
	s_load_dword s30, s[0:1], 0x10
	s_mov_b32 s5, 0
	s_waitcnt lgkmcnt(0)
	v_cmp_eq_f32_e64 s[6:7], s30, 0
	s_and_b64 vcc, exec, s[6:7]
	s_cbranch_vccnz .LBB145_15
; %bb.1:
	s_load_dwordx16 s[8:23], s[0:1], 0x20
	s_load_dwordx4 s[24:27], s[0:1], 0x0
	s_mov_b32 s4, s3
	s_lshl_b64 s[28:29], s[4:5], 3
	v_and_b32_e32 v5, 0x3ff, v0
	s_waitcnt lgkmcnt(0)
	s_add_u32 s4, s14, s28
	s_addc_u32 s5, s15, s29
	s_load_dwordx2 s[14:15], s[4:5], 0x0
	s_add_u32 s4, s20, s28
	s_addc_u32 s5, s21, s29
	s_load_dwordx2 s[6:7], s[4:5], 0x0
	v_bfe_u32 v2, v0, 10, 10
	v_lshlrev_b32_e32 v3, 5, v2
	v_cmp_gt_i32_e64 s[4:5], s26, v2
	v_cmp_gt_i32_e32 vcc, s26, v5
	v_add_lshl_u32 v4, v3, v5, 2
	v_mov_b32_e32 v1, 0
	s_and_b64 s[20:21], s[4:5], vcc
	v_lshlrev_b32_e32 v0, 2, v5
	ds_write2st64_b32 v4, v1, v1 offset1:16
	s_and_saveexec_b64 s[4:5], s[20:21]
	s_cbranch_execz .LBB145_3
; %bb.2:
	s_add_u32 s8, s8, s28
	s_addc_u32 s9, s9, s29
	s_load_dwordx2 s[8:9], s[8:9], 0x0
	v_mad_u64_u32 v[6:7], s[20:21], s10, v2, 0
	s_lshl_b64 s[12:13], s[12:13], 2
	v_mov_b32_e32 v8, v7
	s_waitcnt lgkmcnt(0)
	s_add_u32 s8, s8, s12
	v_mad_u64_u32 v[8:9], s[10:11], s11, v2, v[8:9]
	s_addc_u32 s9, s9, s13
	v_mov_b32_e32 v7, v8
	v_lshl_add_u64 v[6:7], v[6:7], 2, s[8:9]
	v_lshl_add_u64 v[6:7], v[6:7], 0, v[0:1]
	flat_load_dword v1, v[6:7]
	s_waitcnt vmcnt(0) lgkmcnt(0)
	ds_write_b32 v4, v1
.LBB145_3:
	s_or_b64 exec, exec, s[4:5]
	s_add_i32 s3, s27, -1
	s_ashr_i32 s4, s3, 31
	s_lshr_b32 s4, s4, 27
	s_add_i32 s3, s3, s4
	s_ashr_i32 s4, s3, 5
	s_andn2_b32 s3, s3, 31
	s_sub_i32 s3, s27, s3
	s_cmp_ge_i32 s2, s4
	s_cselect_b32 s3, s3, 32
	s_lshl_b32 s10, s2, 5
	v_cmp_gt_i32_e64 s[2:3], s3, v2
	s_ashr_i32 s11, s10, 31
	s_and_b64 s[2:3], vcc, s[2:3]
	s_and_saveexec_b64 s[4:5], s[2:3]
	s_cbranch_execz .LBB145_5
; %bb.4:
	s_lshl_b64 s[8:9], s[18:19], 2
	s_waitcnt lgkmcnt(0)
	s_add_u32 s12, s14, s8
	s_addc_u32 s13, s15, s9
	s_mul_i32 s8, s16, s11
	s_mul_hi_u32 s9, s16, s10
	s_add_i32 s8, s9, s8
	s_mul_i32 s9, s17, s10
	s_add_i32 s9, s8, s9
	s_mul_i32 s8, s16, s10
	s_lshl_b64 s[8:9], s[8:9], 2
	s_add_u32 s8, s12, s8
	s_addc_u32 s9, s13, s9
	v_mad_u64_u32 v[6:7], s[12:13], s16, v2, 0
	v_mov_b32_e32 v8, v7
	v_mad_u64_u32 v[8:9], s[12:13], s17, v2, v[8:9]
	v_mov_b32_e32 v7, v8
	v_lshl_add_u64 v[6:7], v[6:7], 2, s[8:9]
	v_mov_b32_e32 v1, 0
	v_lshl_add_u64 v[6:7], v[6:7], 0, v[0:1]
	flat_load_dword v1, v[6:7]
	v_add_u32_e32 v6, 0x1000, v4
	s_waitcnt vmcnt(0) lgkmcnt(0)
	ds_write_b32 v6, v1
.LBB145_5:
	s_or_b64 exec, exec, s[4:5]
	s_cmpk_eq_i32 s25, 0x84
	s_cselect_b64 s[4:5], -1, 0
	v_cmp_eq_u32_e32 vcc, v2, v5
	s_and_b64 s[8:9], vcc, s[4:5]
	s_and_saveexec_b64 s[4:5], s[8:9]
; %bb.6:
	v_mov_b32_e32 v1, 1.0
	ds_write_b32 v4, v1
; %bb.7:
	s_or_b64 exec, exec, s[4:5]
	s_cmpk_lg_i32 s24, 0x79
	s_cbranch_scc0 .LBB145_9
; %bb.8:
	v_cmp_lt_u32_e32 vcc, v5, v2
	s_and_b64 s[4:5], vcc, exec
	s_cbranch_execz .LBB145_10
	s_branch .LBB145_11
.LBB145_9:
	s_mov_b64 s[4:5], 0
.LBB145_10:
	v_cmp_gt_u32_e32 vcc, v5, v2
	s_andn2_b64 s[4:5], s[4:5], exec
	s_and_b64 s[8:9], vcc, exec
	s_or_b64 s[4:5], s[4:5], s[8:9]
.LBB145_11:
	s_and_saveexec_b64 s[8:9], s[4:5]
; %bb.12:
	v_mov_b32_e32 v1, 0
	ds_write_b32 v4, v1
; %bb.13:
	s_or_b64 exec, exec, s[8:9]
	s_waitcnt lgkmcnt(0)
	s_barrier
	s_and_saveexec_b64 s[4:5], s[2:3]
	s_cbranch_execz .LBB145_15
; %bb.14:
	ds_read2_b32 v[20:21], v0 offset1:32
	v_lshlrev_b32_e32 v3, 2, v3
	ds_read_b128 v[4:7], v3 offset:4096
	ds_read_b128 v[8:11], v3 offset:4112
	;; [unrolled: 1-line block ×4, first 2 shown]
	ds_read2_b32 v[22:23], v0 offset0:64 offset1:96
	ds_read2_b32 v[24:25], v0 offset0:128 offset1:160
	s_load_dwordx2 s[0:1], s[0:1], 0x60
	s_waitcnt lgkmcnt(0)
	v_fma_f32 v20, v20, v4, 0
	v_fmac_f32_e32 v20, v21, v5
	ds_read2_b32 v[4:5], v0 offset0:192 offset1:224
	v_fmac_f32_e32 v20, v22, v6
	v_add_u32_e32 v21, 0x400, v0
	v_fmac_f32_e32 v20, v23, v7
	ds_read2_b32 v[6:7], v21 offset1:32
	v_fmac_f32_e32 v20, v24, v8
	v_fmac_f32_e32 v20, v25, v9
	ds_read2_b32 v[8:9], v21 offset0:64 offset1:96
	s_waitcnt lgkmcnt(2)
	v_fmac_f32_e32 v20, v4, v10
	v_fmac_f32_e32 v20, v5, v11
	ds_read2_b32 v[4:5], v21 offset0:128 offset1:160
	s_waitcnt lgkmcnt(2)
	v_fmac_f32_e32 v20, v6, v12
	v_fmac_f32_e32 v20, v7, v13
	s_waitcnt lgkmcnt(1)
	v_fmac_f32_e32 v20, v8, v14
	v_fmac_f32_e32 v20, v9, v15
	ds_read2_b32 v[8:9], v21 offset0:192 offset1:224
	s_waitcnt lgkmcnt(1)
	v_fmac_f32_e32 v20, v4, v16
	v_add_u32_e32 v21, 0x800, v0
	v_fmac_f32_e32 v20, v5, v17
	ds_read2_b32 v[12:13], v21 offset1:32
	ds_read_b128 v[4:7], v3 offset:4160
	s_waitcnt lgkmcnt(2)
	v_fmac_f32_e32 v20, v8, v18
	v_fmac_f32_e32 v20, v9, v19
	ds_read2_b32 v[14:15], v21 offset0:64 offset1:96
	ds_read_b128 v[8:11], v3 offset:4176
	ds_read2_b32 v[16:17], v21 offset0:128 offset1:160
	s_waitcnt lgkmcnt(3)
	v_fmac_f32_e32 v20, v12, v4
	v_fmac_f32_e32 v20, v13, v5
	ds_read2_b32 v[4:5], v21 offset0:192 offset1:224
	s_waitcnt lgkmcnt(3)
	v_fmac_f32_e32 v20, v14, v6
	v_fmac_f32_e32 v20, v15, v7
	s_waitcnt lgkmcnt(1)
	v_pk_mul_f32 v[6:7], v[16:17], v[8:9]
	v_add_u32_e32 v16, 0xc00, v0
	v_add_f32_e32 v6, v20, v6
	v_add_f32_e32 v14, v6, v7
	s_waitcnt lgkmcnt(0)
	v_pk_mul_f32 v[8:9], v[4:5], v[10:11]
	ds_read2_b32 v[12:13], v16 offset1:32
	ds_read_b128 v[4:7], v3 offset:4192
	v_add_f32_e32 v8, v14, v8
	v_add_f32_e32 v17, v8, v9
	ds_read2_b32 v[14:15], v16 offset0:64 offset1:96
	ds_read_b128 v[8:11], v3 offset:4208
	s_lshl_b64 s[0:1], s[0:1], 2
	s_waitcnt lgkmcnt(2)
	v_pk_mul_f32 v[4:5], v[12:13], v[4:5]
	ds_read2_b32 v[12:13], v16 offset0:192 offset1:224
	v_add_f32_e32 v3, v17, v4
	v_add_f32_e32 v3, v3, v5
	ds_read2_b32 v[4:5], v16 offset0:128 offset1:160
	s_waitcnt lgkmcnt(3)
	v_pk_mul_f32 v[6:7], v[14:15], v[6:7]
	s_mul_i32 s2, s22, s11
	v_add_f32_e32 v3, v3, v6
	v_add_f32_e32 v3, v3, v7
	s_waitcnt lgkmcnt(0)
	v_pk_mul_f32 v[4:5], v[4:5], v[8:9]
	s_mul_hi_u32 s3, s22, s10
	v_add_f32_e32 v3, v3, v4
	s_add_u32 s5, s6, s0
	v_add_f32_e32 v3, v3, v5
	v_pk_mul_f32 v[4:5], v[12:13], v[10:11]
	s_mul_i32 s4, s23, s10
	s_addc_u32 s6, s7, s1
	s_add_i32 s0, s3, s2
	v_add_f32_e32 v3, v3, v4
	s_add_i32 s1, s0, s4
	s_mul_i32 s0, s22, s10
	v_add_f32_e32 v3, v3, v5
	v_mad_u64_u32 v[4:5], s[2:3], s22, v2, 0
	s_lshl_b64 s[0:1], s[0:1], 2
	v_mul_f32_e32 v7, s30, v3
	v_mov_b32_e32 v6, v5
	s_add_u32 s0, s5, s0
	v_mad_u64_u32 v[2:3], s[2:3], s23, v2, v[6:7]
	s_addc_u32 s1, s6, s1
	v_mov_b32_e32 v5, v2
	v_mov_b32_e32 v1, 0
	v_lshl_add_u64 v[2:3], v[4:5], 2, s[0:1]
	v_lshl_add_u64 v[0:1], v[2:3], 0, v[0:1]
	flat_store_dword v[0:1], v7
.LBB145_15:
	s_endpgm
	.section	.rodata,"a",@progbits
	.p2align	6, 0x0
	.amdhsa_kernel _ZL23rocblas_trmm_lNx_kernelILi32EffKPKfKPfEv13rocblas_fill_17rocblas_diagonal_iiT1_lPT2_llS9_llPT3_lli
		.amdhsa_group_segment_fixed_size 8192
		.amdhsa_private_segment_fixed_size 0
		.amdhsa_kernarg_size 108
		.amdhsa_user_sgpr_count 2
		.amdhsa_user_sgpr_dispatch_ptr 0
		.amdhsa_user_sgpr_queue_ptr 0
		.amdhsa_user_sgpr_kernarg_segment_ptr 1
		.amdhsa_user_sgpr_dispatch_id 0
		.amdhsa_user_sgpr_kernarg_preload_length 0
		.amdhsa_user_sgpr_kernarg_preload_offset 0
		.amdhsa_user_sgpr_private_segment_size 0
		.amdhsa_uses_dynamic_stack 0
		.amdhsa_enable_private_segment 0
		.amdhsa_system_sgpr_workgroup_id_x 1
		.amdhsa_system_sgpr_workgroup_id_y 0
		.amdhsa_system_sgpr_workgroup_id_z 1
		.amdhsa_system_sgpr_workgroup_info 0
		.amdhsa_system_vgpr_workitem_id 1
		.amdhsa_next_free_vgpr 26
		.amdhsa_next_free_sgpr 31
		.amdhsa_accum_offset 28
		.amdhsa_reserve_vcc 1
		.amdhsa_float_round_mode_32 0
		.amdhsa_float_round_mode_16_64 0
		.amdhsa_float_denorm_mode_32 3
		.amdhsa_float_denorm_mode_16_64 3
		.amdhsa_dx10_clamp 1
		.amdhsa_ieee_mode 1
		.amdhsa_fp16_overflow 0
		.amdhsa_tg_split 0
		.amdhsa_exception_fp_ieee_invalid_op 0
		.amdhsa_exception_fp_denorm_src 0
		.amdhsa_exception_fp_ieee_div_zero 0
		.amdhsa_exception_fp_ieee_overflow 0
		.amdhsa_exception_fp_ieee_underflow 0
		.amdhsa_exception_fp_ieee_inexact 0
		.amdhsa_exception_int_div_zero 0
	.end_amdhsa_kernel
	.section	.text._ZL23rocblas_trmm_lNx_kernelILi32EffKPKfKPfEv13rocblas_fill_17rocblas_diagonal_iiT1_lPT2_llS9_llPT3_lli,"axG",@progbits,_ZL23rocblas_trmm_lNx_kernelILi32EffKPKfKPfEv13rocblas_fill_17rocblas_diagonal_iiT1_lPT2_llS9_llPT3_lli,comdat
.Lfunc_end145:
	.size	_ZL23rocblas_trmm_lNx_kernelILi32EffKPKfKPfEv13rocblas_fill_17rocblas_diagonal_iiT1_lPT2_llS9_llPT3_lli, .Lfunc_end145-_ZL23rocblas_trmm_lNx_kernelILi32EffKPKfKPfEv13rocblas_fill_17rocblas_diagonal_iiT1_lPT2_llS9_llPT3_lli
                                        ; -- End function
	.set _ZL23rocblas_trmm_lNx_kernelILi32EffKPKfKPfEv13rocblas_fill_17rocblas_diagonal_iiT1_lPT2_llS9_llPT3_lli.num_vgpr, 26
	.set _ZL23rocblas_trmm_lNx_kernelILi32EffKPKfKPfEv13rocblas_fill_17rocblas_diagonal_iiT1_lPT2_llS9_llPT3_lli.num_agpr, 0
	.set _ZL23rocblas_trmm_lNx_kernelILi32EffKPKfKPfEv13rocblas_fill_17rocblas_diagonal_iiT1_lPT2_llS9_llPT3_lli.numbered_sgpr, 31
	.set _ZL23rocblas_trmm_lNx_kernelILi32EffKPKfKPfEv13rocblas_fill_17rocblas_diagonal_iiT1_lPT2_llS9_llPT3_lli.num_named_barrier, 0
	.set _ZL23rocblas_trmm_lNx_kernelILi32EffKPKfKPfEv13rocblas_fill_17rocblas_diagonal_iiT1_lPT2_llS9_llPT3_lli.private_seg_size, 0
	.set _ZL23rocblas_trmm_lNx_kernelILi32EffKPKfKPfEv13rocblas_fill_17rocblas_diagonal_iiT1_lPT2_llS9_llPT3_lli.uses_vcc, 1
	.set _ZL23rocblas_trmm_lNx_kernelILi32EffKPKfKPfEv13rocblas_fill_17rocblas_diagonal_iiT1_lPT2_llS9_llPT3_lli.uses_flat_scratch, 0
	.set _ZL23rocblas_trmm_lNx_kernelILi32EffKPKfKPfEv13rocblas_fill_17rocblas_diagonal_iiT1_lPT2_llS9_llPT3_lli.has_dyn_sized_stack, 0
	.set _ZL23rocblas_trmm_lNx_kernelILi32EffKPKfKPfEv13rocblas_fill_17rocblas_diagonal_iiT1_lPT2_llS9_llPT3_lli.has_recursion, 0
	.set _ZL23rocblas_trmm_lNx_kernelILi32EffKPKfKPfEv13rocblas_fill_17rocblas_diagonal_iiT1_lPT2_llS9_llPT3_lli.has_indirect_call, 0
	.section	.AMDGPU.csdata,"",@progbits
; Kernel info:
; codeLenInByte = 1132
; TotalNumSgprs: 37
; NumVgprs: 26
; NumAgprs: 0
; TotalNumVgprs: 26
; ScratchSize: 0
; MemoryBound: 0
; FloatMode: 240
; IeeeMode: 1
; LDSByteSize: 8192 bytes/workgroup (compile time only)
; SGPRBlocks: 4
; VGPRBlocks: 3
; NumSGPRsForWavesPerEU: 37
; NumVGPRsForWavesPerEU: 26
; AccumOffset: 28
; Occupancy: 8
; WaveLimiterHint : 1
; COMPUTE_PGM_RSRC2:SCRATCH_EN: 0
; COMPUTE_PGM_RSRC2:USER_SGPR: 2
; COMPUTE_PGM_RSRC2:TRAP_HANDLER: 0
; COMPUTE_PGM_RSRC2:TGID_X_EN: 1
; COMPUTE_PGM_RSRC2:TGID_Y_EN: 0
; COMPUTE_PGM_RSRC2:TGID_Z_EN: 1
; COMPUTE_PGM_RSRC2:TIDIG_COMP_CNT: 1
; COMPUTE_PGM_RSRC3_GFX90A:ACCUM_OFFSET: 6
; COMPUTE_PGM_RSRC3_GFX90A:TG_SPLIT: 0
	.section	.text._ZL23rocblas_trmm_lTx_kernelILi32ELb0EfPKfKS1_KPfEv13rocblas_fill_17rocblas_diagonal_iiT2_lPT3_llS9_llPT4_lli,"axG",@progbits,_ZL23rocblas_trmm_lTx_kernelILi32ELb0EfPKfKS1_KPfEv13rocblas_fill_17rocblas_diagonal_iiT2_lPT3_llS9_llPT4_lli,comdat
	.globl	_ZL23rocblas_trmm_lTx_kernelILi32ELb0EfPKfKS1_KPfEv13rocblas_fill_17rocblas_diagonal_iiT2_lPT3_llS9_llPT4_lli ; -- Begin function _ZL23rocblas_trmm_lTx_kernelILi32ELb0EfPKfKS1_KPfEv13rocblas_fill_17rocblas_diagonal_iiT2_lPT3_llS9_llPT4_lli
	.p2align	8
	.type	_ZL23rocblas_trmm_lTx_kernelILi32ELb0EfPKfKS1_KPfEv13rocblas_fill_17rocblas_diagonal_iiT2_lPT3_llS9_llPT4_lli,@function
_ZL23rocblas_trmm_lTx_kernelILi32ELb0EfPKfKS1_KPfEv13rocblas_fill_17rocblas_diagonal_iiT2_lPT3_llS9_llPT4_lli: ; @_ZL23rocblas_trmm_lTx_kernelILi32ELb0EfPKfKS1_KPfEv13rocblas_fill_17rocblas_diagonal_iiT2_lPT3_llS9_llPT4_lli
; %bb.0:
	s_load_dwordx16 s[4:19], s[0:1], 0x10
	s_mov_b32 s24, s3
	s_waitcnt lgkmcnt(0)
	s_mul_i32 s3, s7, s3
	s_mul_hi_u32 s7, s6, s24
	s_add_i32 s7, s7, s3
	s_mul_i32 s6, s6, s24
	s_lshl_b64 s[6:7], s[6:7], 2
	s_add_u32 s4, s4, s6
	s_addc_u32 s5, s5, s7
	s_load_dword s26, s[4:5], 0x0
	s_waitcnt lgkmcnt(0)
	v_cmp_eq_f32_e64 s[4:5], s26, 0
	s_and_b64 vcc, exec, s[4:5]
	s_cbranch_vccnz .LBB146_15
; %bb.1:
	s_mov_b32 s25, 0
	s_load_dwordx4 s[20:23], s[0:1], 0x0
	s_load_dwordx4 s[4:7], s[0:1], 0x50
	s_lshl_b64 s[28:29], s[24:25], 3
	s_add_u32 s8, s8, s28
	s_addc_u32 s9, s9, s29
	s_load_dwordx2 s[24:25], s[8:9], 0x0
	s_add_u32 s8, s14, s28
	s_addc_u32 s9, s15, s29
	s_waitcnt lgkmcnt(0)
	s_add_u32 s4, s4, s28
	s_addc_u32 s5, s5, s29
	s_load_dwordx2 s[14:15], s[8:9], 0x0
	v_and_b32_e32 v4, 0x3ff, v0
	s_load_dwordx2 s[8:9], s[4:5], 0x0
	v_bfe_u32 v2, v0, 10, 10
	v_lshlrev_b32_e32 v3, 5, v2
	v_cmp_gt_i32_e64 s[4:5], s22, v2
	v_cmp_gt_i32_e32 vcc, s22, v4
	v_add_lshl_u32 v5, v3, v4, 2
	v_mov_b32_e32 v1, 0
	s_and_b64 s[28:29], s[4:5], vcc
	v_lshlrev_b32_e32 v0, 2, v4
	ds_write2st64_b32 v5, v1, v1 offset1:16
	s_waitcnt lgkmcnt(0)
	s_barrier
	s_and_saveexec_b64 s[4:5], s[28:29]
	s_cbranch_execz .LBB146_3
; %bb.2:
	s_lshl_b64 s[12:13], s[12:13], 2
	s_add_u32 s12, s24, s12
	s_addc_u32 s13, s25, s13
	v_mad_u64_u32 v[6:7], s[24:25], s10, v2, 0
	v_mov_b32_e32 v8, v7
	v_mad_u64_u32 v[8:9], s[10:11], s11, v2, v[8:9]
	v_mov_b32_e32 v7, v8
	v_lshl_add_u64 v[6:7], v[6:7], 2, s[12:13]
	v_lshl_add_u64 v[6:7], v[6:7], 0, v[0:1]
	flat_load_dword v1, v[6:7]
	v_lshlrev_b32_e32 v6, 2, v2
	v_lshl_add_u32 v6, v4, 7, v6
	s_waitcnt vmcnt(0) lgkmcnt(0)
	ds_write_b32 v6, v1
.LBB146_3:
	s_or_b64 exec, exec, s[4:5]
	s_add_i32 s3, s23, -1
	s_ashr_i32 s4, s3, 31
	s_lshr_b32 s4, s4, 27
	s_add_i32 s3, s3, s4
	s_ashr_i32 s4, s3, 5
	s_andn2_b32 s3, s3, 31
	s_sub_i32 s3, s23, s3
	s_cmp_ge_i32 s2, s4
	s_cselect_b32 s3, s3, 32
	s_lshl_b32 s12, s2, 5
	v_cmp_gt_i32_e64 s[2:3], s3, v2
	s_ashr_i32 s13, s12, 31
	s_and_b64 s[2:3], vcc, s[2:3]
	s_and_saveexec_b64 s[4:5], s[2:3]
	s_cbranch_execz .LBB146_5
; %bb.4:
	s_lshl_b64 s[10:11], s[18:19], 2
	s_add_u32 s14, s14, s10
	s_addc_u32 s15, s15, s11
	s_mul_i32 s10, s16, s13
	s_mul_hi_u32 s11, s16, s12
	s_add_i32 s10, s11, s10
	s_mul_i32 s11, s17, s12
	s_add_i32 s11, s10, s11
	s_mul_i32 s10, s16, s12
	s_lshl_b64 s[10:11], s[10:11], 2
	s_add_u32 s10, s14, s10
	s_addc_u32 s11, s15, s11
	v_mad_u64_u32 v[6:7], s[14:15], s16, v2, 0
	v_mov_b32_e32 v8, v7
	v_mad_u64_u32 v[8:9], s[14:15], s17, v2, v[8:9]
	v_mov_b32_e32 v7, v8
	v_lshl_add_u64 v[6:7], v[6:7], 2, s[10:11]
	v_mov_b32_e32 v1, 0
	v_lshl_add_u64 v[6:7], v[6:7], 0, v[0:1]
	flat_load_dword v1, v[6:7]
	v_add_u32_e32 v6, 0x1000, v5
	s_waitcnt vmcnt(0) lgkmcnt(0)
	ds_write_b32 v6, v1
.LBB146_5:
	s_or_b64 exec, exec, s[4:5]
	s_cmpk_eq_i32 s21, 0x84
	s_cselect_b64 s[4:5], -1, 0
	v_cmp_eq_u32_e32 vcc, v2, v4
	s_and_b64 s[10:11], vcc, s[4:5]
	s_and_saveexec_b64 s[4:5], s[10:11]
; %bb.6:
	v_mov_b32_e32 v1, 1.0
	ds_write_b32 v5, v1
; %bb.7:
	s_or_b64 exec, exec, s[4:5]
	s_cmpk_lg_i32 s20, 0x7a
	s_waitcnt lgkmcnt(0)
	s_barrier
	s_cbranch_scc0 .LBB146_9
; %bb.8:
	v_cmp_lt_u32_e32 vcc, v4, v2
	s_and_b64 s[4:5], vcc, exec
	s_cbranch_execz .LBB146_10
	s_branch .LBB146_11
.LBB146_9:
	s_mov_b64 s[4:5], 0
.LBB146_10:
	v_cmp_gt_u32_e32 vcc, v4, v2
	s_andn2_b64 s[4:5], s[4:5], exec
	s_and_b64 s[10:11], vcc, exec
	s_or_b64 s[4:5], s[4:5], s[10:11]
.LBB146_11:
	s_and_saveexec_b64 s[10:11], s[4:5]
; %bb.12:
	v_mov_b32_e32 v1, 0
	ds_write_b32 v5, v1
; %bb.13:
	s_or_b64 exec, exec, s[10:11]
	s_waitcnt lgkmcnt(0)
	s_barrier
	s_and_saveexec_b64 s[4:5], s[2:3]
	s_cbranch_execz .LBB146_15
; %bb.14:
	ds_read2_b32 v[20:21], v0 offset1:32
	v_lshlrev_b32_e32 v3, 2, v3
	ds_read_b128 v[4:7], v3 offset:4096
	ds_read_b128 v[8:11], v3 offset:4112
	ds_read_b128 v[12:15], v3 offset:4128
	ds_read_b128 v[16:19], v3 offset:4144
	ds_read2_b32 v[22:23], v0 offset0:64 offset1:96
	ds_read2_b32 v[24:25], v0 offset0:128 offset1:160
	s_load_dwordx2 s[0:1], s[0:1], 0x60
	s_waitcnt lgkmcnt(0)
	v_fma_f32 v20, v20, v4, 0
	v_fmac_f32_e32 v20, v21, v5
	ds_read2_b32 v[4:5], v0 offset0:192 offset1:224
	v_fmac_f32_e32 v20, v22, v6
	v_add_u32_e32 v21, 0x400, v0
	v_fmac_f32_e32 v20, v23, v7
	ds_read2_b32 v[6:7], v21 offset1:32
	v_fmac_f32_e32 v20, v24, v8
	v_fmac_f32_e32 v20, v25, v9
	ds_read2_b32 v[8:9], v21 offset0:64 offset1:96
	s_waitcnt lgkmcnt(2)
	v_fmac_f32_e32 v20, v4, v10
	v_fmac_f32_e32 v20, v5, v11
	ds_read2_b32 v[4:5], v21 offset0:128 offset1:160
	s_waitcnt lgkmcnt(2)
	v_fmac_f32_e32 v20, v6, v12
	v_fmac_f32_e32 v20, v7, v13
	s_waitcnt lgkmcnt(1)
	v_fmac_f32_e32 v20, v8, v14
	v_fmac_f32_e32 v20, v9, v15
	ds_read2_b32 v[8:9], v21 offset0:192 offset1:224
	s_waitcnt lgkmcnt(1)
	v_fmac_f32_e32 v20, v4, v16
	v_add_u32_e32 v21, 0x800, v0
	v_fmac_f32_e32 v20, v5, v17
	ds_read2_b32 v[12:13], v21 offset1:32
	ds_read_b128 v[4:7], v3 offset:4160
	s_waitcnt lgkmcnt(2)
	v_fmac_f32_e32 v20, v8, v18
	v_fmac_f32_e32 v20, v9, v19
	ds_read2_b32 v[14:15], v21 offset0:64 offset1:96
	ds_read_b128 v[8:11], v3 offset:4176
	ds_read2_b32 v[16:17], v21 offset0:128 offset1:160
	s_waitcnt lgkmcnt(3)
	v_fmac_f32_e32 v20, v12, v4
	v_fmac_f32_e32 v20, v13, v5
	ds_read2_b32 v[4:5], v21 offset0:192 offset1:224
	s_waitcnt lgkmcnt(3)
	v_fmac_f32_e32 v20, v14, v6
	v_fmac_f32_e32 v20, v15, v7
	s_waitcnt lgkmcnt(1)
	v_pk_mul_f32 v[6:7], v[16:17], v[8:9]
	v_add_u32_e32 v16, 0xc00, v0
	v_add_f32_e32 v6, v20, v6
	v_add_f32_e32 v14, v6, v7
	s_waitcnt lgkmcnt(0)
	v_pk_mul_f32 v[8:9], v[4:5], v[10:11]
	ds_read2_b32 v[12:13], v16 offset1:32
	ds_read_b128 v[4:7], v3 offset:4192
	v_add_f32_e32 v8, v14, v8
	v_add_f32_e32 v17, v8, v9
	ds_read2_b32 v[14:15], v16 offset0:64 offset1:96
	ds_read_b128 v[8:11], v3 offset:4208
	s_lshl_b64 s[0:1], s[0:1], 2
	s_waitcnt lgkmcnt(2)
	v_pk_mul_f32 v[4:5], v[12:13], v[4:5]
	ds_read2_b32 v[12:13], v16 offset0:192 offset1:224
	v_add_f32_e32 v3, v17, v4
	v_add_f32_e32 v3, v3, v5
	ds_read2_b32 v[4:5], v16 offset0:128 offset1:160
	s_waitcnt lgkmcnt(3)
	v_pk_mul_f32 v[6:7], v[14:15], v[6:7]
	s_mul_i32 s2, s6, s13
	v_add_f32_e32 v3, v3, v6
	v_add_f32_e32 v3, v3, v7
	s_waitcnt lgkmcnt(0)
	v_pk_mul_f32 v[4:5], v[4:5], v[8:9]
	s_mul_hi_u32 s3, s6, s12
	v_add_f32_e32 v3, v3, v4
	s_add_u32 s5, s8, s0
	v_add_f32_e32 v3, v3, v5
	v_pk_mul_f32 v[4:5], v[12:13], v[10:11]
	s_mul_i32 s4, s7, s12
	s_addc_u32 s8, s9, s1
	s_add_i32 s0, s3, s2
	v_add_f32_e32 v3, v3, v4
	s_add_i32 s1, s0, s4
	s_mul_i32 s0, s6, s12
	v_add_f32_e32 v3, v3, v5
	v_mad_u64_u32 v[4:5], s[2:3], s6, v2, 0
	s_lshl_b64 s[0:1], s[0:1], 2
	v_mul_f32_e32 v7, s26, v3
	v_mov_b32_e32 v6, v5
	s_add_u32 s0, s5, s0
	v_mad_u64_u32 v[2:3], s[2:3], s7, v2, v[6:7]
	s_addc_u32 s1, s8, s1
	v_mov_b32_e32 v5, v2
	v_mov_b32_e32 v1, 0
	v_lshl_add_u64 v[2:3], v[4:5], 2, s[0:1]
	v_lshl_add_u64 v[0:1], v[2:3], 0, v[0:1]
	flat_store_dword v[0:1], v7
.LBB146_15:
	s_endpgm
	.section	.rodata,"a",@progbits
	.p2align	6, 0x0
	.amdhsa_kernel _ZL23rocblas_trmm_lTx_kernelILi32ELb0EfPKfKS1_KPfEv13rocblas_fill_17rocblas_diagonal_iiT2_lPT3_llS9_llPT4_lli
		.amdhsa_group_segment_fixed_size 8192
		.amdhsa_private_segment_fixed_size 0
		.amdhsa_kernarg_size 108
		.amdhsa_user_sgpr_count 2
		.amdhsa_user_sgpr_dispatch_ptr 0
		.amdhsa_user_sgpr_queue_ptr 0
		.amdhsa_user_sgpr_kernarg_segment_ptr 1
		.amdhsa_user_sgpr_dispatch_id 0
		.amdhsa_user_sgpr_kernarg_preload_length 0
		.amdhsa_user_sgpr_kernarg_preload_offset 0
		.amdhsa_user_sgpr_private_segment_size 0
		.amdhsa_uses_dynamic_stack 0
		.amdhsa_enable_private_segment 0
		.amdhsa_system_sgpr_workgroup_id_x 1
		.amdhsa_system_sgpr_workgroup_id_y 0
		.amdhsa_system_sgpr_workgroup_id_z 1
		.amdhsa_system_sgpr_workgroup_info 0
		.amdhsa_system_vgpr_workitem_id 1
		.amdhsa_next_free_vgpr 26
		.amdhsa_next_free_sgpr 30
		.amdhsa_accum_offset 28
		.amdhsa_reserve_vcc 1
		.amdhsa_float_round_mode_32 0
		.amdhsa_float_round_mode_16_64 0
		.amdhsa_float_denorm_mode_32 3
		.amdhsa_float_denorm_mode_16_64 3
		.amdhsa_dx10_clamp 1
		.amdhsa_ieee_mode 1
		.amdhsa_fp16_overflow 0
		.amdhsa_tg_split 0
		.amdhsa_exception_fp_ieee_invalid_op 0
		.amdhsa_exception_fp_denorm_src 0
		.amdhsa_exception_fp_ieee_div_zero 0
		.amdhsa_exception_fp_ieee_overflow 0
		.amdhsa_exception_fp_ieee_underflow 0
		.amdhsa_exception_fp_ieee_inexact 0
		.amdhsa_exception_int_div_zero 0
	.end_amdhsa_kernel
	.section	.text._ZL23rocblas_trmm_lTx_kernelILi32ELb0EfPKfKS1_KPfEv13rocblas_fill_17rocblas_diagonal_iiT2_lPT3_llS9_llPT4_lli,"axG",@progbits,_ZL23rocblas_trmm_lTx_kernelILi32ELb0EfPKfKS1_KPfEv13rocblas_fill_17rocblas_diagonal_iiT2_lPT3_llS9_llPT4_lli,comdat
.Lfunc_end146:
	.size	_ZL23rocblas_trmm_lTx_kernelILi32ELb0EfPKfKS1_KPfEv13rocblas_fill_17rocblas_diagonal_iiT2_lPT3_llS9_llPT4_lli, .Lfunc_end146-_ZL23rocblas_trmm_lTx_kernelILi32ELb0EfPKfKS1_KPfEv13rocblas_fill_17rocblas_diagonal_iiT2_lPT3_llS9_llPT4_lli
                                        ; -- End function
	.set _ZL23rocblas_trmm_lTx_kernelILi32ELb0EfPKfKS1_KPfEv13rocblas_fill_17rocblas_diagonal_iiT2_lPT3_llS9_llPT4_lli.num_vgpr, 26
	.set _ZL23rocblas_trmm_lTx_kernelILi32ELb0EfPKfKS1_KPfEv13rocblas_fill_17rocblas_diagonal_iiT2_lPT3_llS9_llPT4_lli.num_agpr, 0
	.set _ZL23rocblas_trmm_lTx_kernelILi32ELb0EfPKfKS1_KPfEv13rocblas_fill_17rocblas_diagonal_iiT2_lPT3_llS9_llPT4_lli.numbered_sgpr, 30
	.set _ZL23rocblas_trmm_lTx_kernelILi32ELb0EfPKfKS1_KPfEv13rocblas_fill_17rocblas_diagonal_iiT2_lPT3_llS9_llPT4_lli.num_named_barrier, 0
	.set _ZL23rocblas_trmm_lTx_kernelILi32ELb0EfPKfKS1_KPfEv13rocblas_fill_17rocblas_diagonal_iiT2_lPT3_llS9_llPT4_lli.private_seg_size, 0
	.set _ZL23rocblas_trmm_lTx_kernelILi32ELb0EfPKfKS1_KPfEv13rocblas_fill_17rocblas_diagonal_iiT2_lPT3_llS9_llPT4_lli.uses_vcc, 1
	.set _ZL23rocblas_trmm_lTx_kernelILi32ELb0EfPKfKS1_KPfEv13rocblas_fill_17rocblas_diagonal_iiT2_lPT3_llS9_llPT4_lli.uses_flat_scratch, 0
	.set _ZL23rocblas_trmm_lTx_kernelILi32ELb0EfPKfKS1_KPfEv13rocblas_fill_17rocblas_diagonal_iiT2_lPT3_llS9_llPT4_lli.has_dyn_sized_stack, 0
	.set _ZL23rocblas_trmm_lTx_kernelILi32ELb0EfPKfKS1_KPfEv13rocblas_fill_17rocblas_diagonal_iiT2_lPT3_llS9_llPT4_lli.has_recursion, 0
	.set _ZL23rocblas_trmm_lTx_kernelILi32ELb0EfPKfKS1_KPfEv13rocblas_fill_17rocblas_diagonal_iiT2_lPT3_llS9_llPT4_lli.has_indirect_call, 0
	.section	.AMDGPU.csdata,"",@progbits
; Kernel info:
; codeLenInByte = 1192
; TotalNumSgprs: 36
; NumVgprs: 26
; NumAgprs: 0
; TotalNumVgprs: 26
; ScratchSize: 0
; MemoryBound: 0
; FloatMode: 240
; IeeeMode: 1
; LDSByteSize: 8192 bytes/workgroup (compile time only)
; SGPRBlocks: 4
; VGPRBlocks: 3
; NumSGPRsForWavesPerEU: 36
; NumVGPRsForWavesPerEU: 26
; AccumOffset: 28
; Occupancy: 8
; WaveLimiterHint : 1
; COMPUTE_PGM_RSRC2:SCRATCH_EN: 0
; COMPUTE_PGM_RSRC2:USER_SGPR: 2
; COMPUTE_PGM_RSRC2:TRAP_HANDLER: 0
; COMPUTE_PGM_RSRC2:TGID_X_EN: 1
; COMPUTE_PGM_RSRC2:TGID_Y_EN: 0
; COMPUTE_PGM_RSRC2:TGID_Z_EN: 1
; COMPUTE_PGM_RSRC2:TIDIG_COMP_CNT: 1
; COMPUTE_PGM_RSRC3_GFX90A:ACCUM_OFFSET: 6
; COMPUTE_PGM_RSRC3_GFX90A:TG_SPLIT: 0
	.section	.text._ZL23rocblas_trmm_lTx_kernelILi32ELb0EffKPKfKPfEv13rocblas_fill_17rocblas_diagonal_iiT2_lPT3_llS9_llPT4_lli,"axG",@progbits,_ZL23rocblas_trmm_lTx_kernelILi32ELb0EffKPKfKPfEv13rocblas_fill_17rocblas_diagonal_iiT2_lPT3_llS9_llPT4_lli,comdat
	.globl	_ZL23rocblas_trmm_lTx_kernelILi32ELb0EffKPKfKPfEv13rocblas_fill_17rocblas_diagonal_iiT2_lPT3_llS9_llPT4_lli ; -- Begin function _ZL23rocblas_trmm_lTx_kernelILi32ELb0EffKPKfKPfEv13rocblas_fill_17rocblas_diagonal_iiT2_lPT3_llS9_llPT4_lli
	.p2align	8
	.type	_ZL23rocblas_trmm_lTx_kernelILi32ELb0EffKPKfKPfEv13rocblas_fill_17rocblas_diagonal_iiT2_lPT3_llS9_llPT4_lli,@function
_ZL23rocblas_trmm_lTx_kernelILi32ELb0EffKPKfKPfEv13rocblas_fill_17rocblas_diagonal_iiT2_lPT3_llS9_llPT4_lli: ; @_ZL23rocblas_trmm_lTx_kernelILi32ELb0EffKPKfKPfEv13rocblas_fill_17rocblas_diagonal_iiT2_lPT3_llS9_llPT4_lli
; %bb.0:
	s_load_dword s28, s[0:1], 0x10
	s_mov_b32 s25, 0
	s_waitcnt lgkmcnt(0)
	v_cmp_eq_f32_e64 s[4:5], s28, 0
	s_and_b64 vcc, exec, s[4:5]
	s_cbranch_vccnz .LBB147_15
; %bb.1:
	s_load_dwordx16 s[4:19], s[0:1], 0x20
	s_load_dwordx4 s[20:23], s[0:1], 0x0
	s_mov_b32 s24, s3
	s_lshl_b64 s[30:31], s[24:25], 3
	v_and_b32_e32 v4, 0x3ff, v0
	s_waitcnt lgkmcnt(0)
	s_add_u32 s4, s4, s30
	s_addc_u32 s5, s5, s31
	s_load_dwordx2 s[26:27], s[4:5], 0x0
	s_add_u32 s4, s10, s30
	s_addc_u32 s5, s11, s31
	s_load_dwordx2 s[24:25], s[4:5], 0x0
	;; [unrolled: 3-line block ×3, first 2 shown]
	v_bfe_u32 v2, v0, 10, 10
	v_lshlrev_b32_e32 v3, 5, v2
	v_cmp_gt_i32_e64 s[4:5], s22, v2
	v_cmp_gt_i32_e32 vcc, s22, v4
	v_add_lshl_u32 v5, v3, v4, 2
	v_mov_b32_e32 v1, 0
	s_and_b64 s[16:17], s[4:5], vcc
	v_lshlrev_b32_e32 v0, 2, v4
	ds_write2st64_b32 v5, v1, v1 offset1:16
	s_waitcnt lgkmcnt(0)
	s_barrier
	s_and_saveexec_b64 s[4:5], s[16:17]
	s_cbranch_execz .LBB147_3
; %bb.2:
	v_mad_u64_u32 v[6:7], s[16:17], s6, v2, 0
	s_lshl_b64 s[8:9], s[8:9], 2
	v_mov_b32_e32 v8, v7
	s_add_u32 s8, s26, s8
	v_mad_u64_u32 v[8:9], s[6:7], s7, v2, v[8:9]
	s_addc_u32 s9, s27, s9
	v_mov_b32_e32 v7, v8
	v_lshl_add_u64 v[6:7], v[6:7], 2, s[8:9]
	v_lshl_add_u64 v[6:7], v[6:7], 0, v[0:1]
	flat_load_dword v1, v[6:7]
	v_lshlrev_b32_e32 v6, 2, v2
	v_lshl_add_u32 v6, v4, 7, v6
	s_waitcnt vmcnt(0) lgkmcnt(0)
	ds_write_b32 v6, v1
.LBB147_3:
	s_or_b64 exec, exec, s[4:5]
	s_add_i32 s3, s23, -1
	s_ashr_i32 s4, s3, 31
	s_lshr_b32 s4, s4, 27
	s_add_i32 s3, s3, s4
	s_ashr_i32 s4, s3, 5
	s_andn2_b32 s3, s3, 31
	s_sub_i32 s3, s23, s3
	s_cmp_ge_i32 s2, s4
	s_cselect_b32 s3, s3, 32
	s_lshl_b32 s8, s2, 5
	v_cmp_gt_i32_e64 s[2:3], s3, v2
	s_ashr_i32 s9, s8, 31
	s_and_b64 s[2:3], vcc, s[2:3]
	s_and_saveexec_b64 s[4:5], s[2:3]
	s_cbranch_execz .LBB147_5
; %bb.4:
	s_lshl_b64 s[6:7], s[14:15], 2
	s_add_u32 s14, s24, s6
	s_addc_u32 s15, s25, s7
	s_mul_i32 s6, s12, s9
	s_mul_hi_u32 s7, s12, s8
	s_add_i32 s6, s7, s6
	s_mul_i32 s7, s13, s8
	s_add_i32 s7, s6, s7
	s_mul_i32 s6, s12, s8
	s_lshl_b64 s[6:7], s[6:7], 2
	s_add_u32 s6, s14, s6
	s_addc_u32 s7, s15, s7
	v_mad_u64_u32 v[6:7], s[14:15], s12, v2, 0
	v_mov_b32_e32 v8, v7
	v_mad_u64_u32 v[8:9], s[12:13], s13, v2, v[8:9]
	v_mov_b32_e32 v7, v8
	v_lshl_add_u64 v[6:7], v[6:7], 2, s[6:7]
	v_mov_b32_e32 v1, 0
	v_lshl_add_u64 v[6:7], v[6:7], 0, v[0:1]
	flat_load_dword v1, v[6:7]
	v_add_u32_e32 v6, 0x1000, v5
	s_waitcnt vmcnt(0) lgkmcnt(0)
	ds_write_b32 v6, v1
.LBB147_5:
	s_or_b64 exec, exec, s[4:5]
	s_cmpk_eq_i32 s21, 0x84
	s_cselect_b64 s[4:5], -1, 0
	v_cmp_eq_u32_e32 vcc, v2, v4
	s_and_b64 s[6:7], vcc, s[4:5]
	s_and_saveexec_b64 s[4:5], s[6:7]
; %bb.6:
	v_mov_b32_e32 v1, 1.0
	ds_write_b32 v5, v1
; %bb.7:
	s_or_b64 exec, exec, s[4:5]
	s_cmpk_lg_i32 s20, 0x7a
	s_waitcnt lgkmcnt(0)
	s_barrier
	s_cbranch_scc0 .LBB147_9
; %bb.8:
	v_cmp_lt_u32_e32 vcc, v4, v2
	s_and_b64 s[4:5], vcc, exec
	s_cbranch_execz .LBB147_10
	s_branch .LBB147_11
.LBB147_9:
	s_mov_b64 s[4:5], 0
.LBB147_10:
	v_cmp_gt_u32_e32 vcc, v4, v2
	s_andn2_b64 s[4:5], s[4:5], exec
	s_and_b64 s[6:7], vcc, exec
	s_or_b64 s[4:5], s[4:5], s[6:7]
.LBB147_11:
	s_and_saveexec_b64 s[6:7], s[4:5]
; %bb.12:
	v_mov_b32_e32 v1, 0
	ds_write_b32 v5, v1
; %bb.13:
	s_or_b64 exec, exec, s[6:7]
	s_waitcnt lgkmcnt(0)
	s_barrier
	s_and_saveexec_b64 s[4:5], s[2:3]
	s_cbranch_execz .LBB147_15
; %bb.14:
	ds_read2_b32 v[20:21], v0 offset1:32
	v_lshlrev_b32_e32 v3, 2, v3
	ds_read_b128 v[4:7], v3 offset:4096
	ds_read_b128 v[8:11], v3 offset:4112
	;; [unrolled: 1-line block ×4, first 2 shown]
	ds_read2_b32 v[22:23], v0 offset0:64 offset1:96
	ds_read2_b32 v[24:25], v0 offset0:128 offset1:160
	s_load_dwordx2 s[0:1], s[0:1], 0x60
	s_waitcnt lgkmcnt(0)
	v_fma_f32 v20, v20, v4, 0
	v_fmac_f32_e32 v20, v21, v5
	ds_read2_b32 v[4:5], v0 offset0:192 offset1:224
	v_fmac_f32_e32 v20, v22, v6
	v_add_u32_e32 v21, 0x400, v0
	v_fmac_f32_e32 v20, v23, v7
	ds_read2_b32 v[6:7], v21 offset1:32
	v_fmac_f32_e32 v20, v24, v8
	v_fmac_f32_e32 v20, v25, v9
	ds_read2_b32 v[8:9], v21 offset0:64 offset1:96
	s_waitcnt lgkmcnt(2)
	v_fmac_f32_e32 v20, v4, v10
	v_fmac_f32_e32 v20, v5, v11
	ds_read2_b32 v[4:5], v21 offset0:128 offset1:160
	s_waitcnt lgkmcnt(2)
	v_fmac_f32_e32 v20, v6, v12
	v_fmac_f32_e32 v20, v7, v13
	s_waitcnt lgkmcnt(1)
	v_fmac_f32_e32 v20, v8, v14
	v_fmac_f32_e32 v20, v9, v15
	ds_read2_b32 v[8:9], v21 offset0:192 offset1:224
	s_waitcnt lgkmcnt(1)
	v_fmac_f32_e32 v20, v4, v16
	v_add_u32_e32 v21, 0x800, v0
	v_fmac_f32_e32 v20, v5, v17
	ds_read2_b32 v[12:13], v21 offset1:32
	ds_read_b128 v[4:7], v3 offset:4160
	s_waitcnt lgkmcnt(2)
	v_fmac_f32_e32 v20, v8, v18
	v_fmac_f32_e32 v20, v9, v19
	ds_read2_b32 v[14:15], v21 offset0:64 offset1:96
	ds_read_b128 v[8:11], v3 offset:4176
	ds_read2_b32 v[16:17], v21 offset0:128 offset1:160
	s_waitcnt lgkmcnt(3)
	v_fmac_f32_e32 v20, v12, v4
	v_fmac_f32_e32 v20, v13, v5
	ds_read2_b32 v[4:5], v21 offset0:192 offset1:224
	s_waitcnt lgkmcnt(3)
	v_fmac_f32_e32 v20, v14, v6
	v_fmac_f32_e32 v20, v15, v7
	s_waitcnt lgkmcnt(1)
	v_pk_mul_f32 v[6:7], v[16:17], v[8:9]
	v_add_u32_e32 v16, 0xc00, v0
	v_add_f32_e32 v6, v20, v6
	v_add_f32_e32 v14, v6, v7
	s_waitcnt lgkmcnt(0)
	v_pk_mul_f32 v[8:9], v[4:5], v[10:11]
	ds_read2_b32 v[12:13], v16 offset1:32
	ds_read_b128 v[4:7], v3 offset:4192
	v_add_f32_e32 v8, v14, v8
	v_add_f32_e32 v17, v8, v9
	ds_read2_b32 v[14:15], v16 offset0:64 offset1:96
	ds_read_b128 v[8:11], v3 offset:4208
	s_lshl_b64 s[0:1], s[0:1], 2
	s_waitcnt lgkmcnt(2)
	v_pk_mul_f32 v[4:5], v[12:13], v[4:5]
	ds_read2_b32 v[12:13], v16 offset0:192 offset1:224
	v_add_f32_e32 v3, v17, v4
	v_add_f32_e32 v3, v3, v5
	ds_read2_b32 v[4:5], v16 offset0:128 offset1:160
	s_waitcnt lgkmcnt(3)
	v_pk_mul_f32 v[6:7], v[14:15], v[6:7]
	s_mul_i32 s2, s18, s9
	v_add_f32_e32 v3, v3, v6
	v_add_f32_e32 v3, v3, v7
	s_waitcnt lgkmcnt(0)
	v_pk_mul_f32 v[4:5], v[4:5], v[8:9]
	s_mul_hi_u32 s3, s18, s8
	v_add_f32_e32 v3, v3, v4
	s_add_u32 s5, s10, s0
	v_add_f32_e32 v3, v3, v5
	v_pk_mul_f32 v[4:5], v[12:13], v[10:11]
	s_mul_i32 s4, s19, s8
	s_addc_u32 s6, s11, s1
	s_add_i32 s0, s3, s2
	v_add_f32_e32 v3, v3, v4
	s_add_i32 s1, s0, s4
	s_mul_i32 s0, s18, s8
	v_add_f32_e32 v3, v3, v5
	v_mad_u64_u32 v[4:5], s[2:3], s18, v2, 0
	s_lshl_b64 s[0:1], s[0:1], 2
	v_mul_f32_e32 v7, s28, v3
	v_mov_b32_e32 v6, v5
	s_add_u32 s0, s5, s0
	v_mad_u64_u32 v[2:3], s[2:3], s19, v2, v[6:7]
	s_addc_u32 s1, s6, s1
	v_mov_b32_e32 v5, v2
	v_mov_b32_e32 v1, 0
	v_lshl_add_u64 v[2:3], v[4:5], 2, s[0:1]
	v_lshl_add_u64 v[0:1], v[2:3], 0, v[0:1]
	flat_store_dword v[0:1], v7
.LBB147_15:
	s_endpgm
	.section	.rodata,"a",@progbits
	.p2align	6, 0x0
	.amdhsa_kernel _ZL23rocblas_trmm_lTx_kernelILi32ELb0EffKPKfKPfEv13rocblas_fill_17rocblas_diagonal_iiT2_lPT3_llS9_llPT4_lli
		.amdhsa_group_segment_fixed_size 8192
		.amdhsa_private_segment_fixed_size 0
		.amdhsa_kernarg_size 108
		.amdhsa_user_sgpr_count 2
		.amdhsa_user_sgpr_dispatch_ptr 0
		.amdhsa_user_sgpr_queue_ptr 0
		.amdhsa_user_sgpr_kernarg_segment_ptr 1
		.amdhsa_user_sgpr_dispatch_id 0
		.amdhsa_user_sgpr_kernarg_preload_length 0
		.amdhsa_user_sgpr_kernarg_preload_offset 0
		.amdhsa_user_sgpr_private_segment_size 0
		.amdhsa_uses_dynamic_stack 0
		.amdhsa_enable_private_segment 0
		.amdhsa_system_sgpr_workgroup_id_x 1
		.amdhsa_system_sgpr_workgroup_id_y 0
		.amdhsa_system_sgpr_workgroup_id_z 1
		.amdhsa_system_sgpr_workgroup_info 0
		.amdhsa_system_vgpr_workitem_id 1
		.amdhsa_next_free_vgpr 26
		.amdhsa_next_free_sgpr 32
		.amdhsa_accum_offset 28
		.amdhsa_reserve_vcc 1
		.amdhsa_float_round_mode_32 0
		.amdhsa_float_round_mode_16_64 0
		.amdhsa_float_denorm_mode_32 3
		.amdhsa_float_denorm_mode_16_64 3
		.amdhsa_dx10_clamp 1
		.amdhsa_ieee_mode 1
		.amdhsa_fp16_overflow 0
		.amdhsa_tg_split 0
		.amdhsa_exception_fp_ieee_invalid_op 0
		.amdhsa_exception_fp_denorm_src 0
		.amdhsa_exception_fp_ieee_div_zero 0
		.amdhsa_exception_fp_ieee_overflow 0
		.amdhsa_exception_fp_ieee_underflow 0
		.amdhsa_exception_fp_ieee_inexact 0
		.amdhsa_exception_int_div_zero 0
	.end_amdhsa_kernel
	.section	.text._ZL23rocblas_trmm_lTx_kernelILi32ELb0EffKPKfKPfEv13rocblas_fill_17rocblas_diagonal_iiT2_lPT3_llS9_llPT4_lli,"axG",@progbits,_ZL23rocblas_trmm_lTx_kernelILi32ELb0EffKPKfKPfEv13rocblas_fill_17rocblas_diagonal_iiT2_lPT3_llS9_llPT4_lli,comdat
.Lfunc_end147:
	.size	_ZL23rocblas_trmm_lTx_kernelILi32ELb0EffKPKfKPfEv13rocblas_fill_17rocblas_diagonal_iiT2_lPT3_llS9_llPT4_lli, .Lfunc_end147-_ZL23rocblas_trmm_lTx_kernelILi32ELb0EffKPKfKPfEv13rocblas_fill_17rocblas_diagonal_iiT2_lPT3_llS9_llPT4_lli
                                        ; -- End function
	.set _ZL23rocblas_trmm_lTx_kernelILi32ELb0EffKPKfKPfEv13rocblas_fill_17rocblas_diagonal_iiT2_lPT3_llS9_llPT4_lli.num_vgpr, 26
	.set _ZL23rocblas_trmm_lTx_kernelILi32ELb0EffKPKfKPfEv13rocblas_fill_17rocblas_diagonal_iiT2_lPT3_llS9_llPT4_lli.num_agpr, 0
	.set _ZL23rocblas_trmm_lTx_kernelILi32ELb0EffKPKfKPfEv13rocblas_fill_17rocblas_diagonal_iiT2_lPT3_llS9_llPT4_lli.numbered_sgpr, 32
	.set _ZL23rocblas_trmm_lTx_kernelILi32ELb0EffKPKfKPfEv13rocblas_fill_17rocblas_diagonal_iiT2_lPT3_llS9_llPT4_lli.num_named_barrier, 0
	.set _ZL23rocblas_trmm_lTx_kernelILi32ELb0EffKPKfKPfEv13rocblas_fill_17rocblas_diagonal_iiT2_lPT3_llS9_llPT4_lli.private_seg_size, 0
	.set _ZL23rocblas_trmm_lTx_kernelILi32ELb0EffKPKfKPfEv13rocblas_fill_17rocblas_diagonal_iiT2_lPT3_llS9_llPT4_lli.uses_vcc, 1
	.set _ZL23rocblas_trmm_lTx_kernelILi32ELb0EffKPKfKPfEv13rocblas_fill_17rocblas_diagonal_iiT2_lPT3_llS9_llPT4_lli.uses_flat_scratch, 0
	.set _ZL23rocblas_trmm_lTx_kernelILi32ELb0EffKPKfKPfEv13rocblas_fill_17rocblas_diagonal_iiT2_lPT3_llS9_llPT4_lli.has_dyn_sized_stack, 0
	.set _ZL23rocblas_trmm_lTx_kernelILi32ELb0EffKPKfKPfEv13rocblas_fill_17rocblas_diagonal_iiT2_lPT3_llS9_llPT4_lli.has_recursion, 0
	.set _ZL23rocblas_trmm_lTx_kernelILi32ELb0EffKPKfKPfEv13rocblas_fill_17rocblas_diagonal_iiT2_lPT3_llS9_llPT4_lli.has_indirect_call, 0
	.section	.AMDGPU.csdata,"",@progbits
; Kernel info:
; codeLenInByte = 1152
; TotalNumSgprs: 38
; NumVgprs: 26
; NumAgprs: 0
; TotalNumVgprs: 26
; ScratchSize: 0
; MemoryBound: 0
; FloatMode: 240
; IeeeMode: 1
; LDSByteSize: 8192 bytes/workgroup (compile time only)
; SGPRBlocks: 4
; VGPRBlocks: 3
; NumSGPRsForWavesPerEU: 38
; NumVGPRsForWavesPerEU: 26
; AccumOffset: 28
; Occupancy: 8
; WaveLimiterHint : 1
; COMPUTE_PGM_RSRC2:SCRATCH_EN: 0
; COMPUTE_PGM_RSRC2:USER_SGPR: 2
; COMPUTE_PGM_RSRC2:TRAP_HANDLER: 0
; COMPUTE_PGM_RSRC2:TGID_X_EN: 1
; COMPUTE_PGM_RSRC2:TGID_Y_EN: 0
; COMPUTE_PGM_RSRC2:TGID_Z_EN: 1
; COMPUTE_PGM_RSRC2:TIDIG_COMP_CNT: 1
; COMPUTE_PGM_RSRC3_GFX90A:ACCUM_OFFSET: 6
; COMPUTE_PGM_RSRC3_GFX90A:TG_SPLIT: 0
	.section	.text._ZL23rocblas_trmm_lTx_kernelILi32ELb1EfPKfKS1_KPfEv13rocblas_fill_17rocblas_diagonal_iiT2_lPT3_llS9_llPT4_lli,"axG",@progbits,_ZL23rocblas_trmm_lTx_kernelILi32ELb1EfPKfKS1_KPfEv13rocblas_fill_17rocblas_diagonal_iiT2_lPT3_llS9_llPT4_lli,comdat
	.globl	_ZL23rocblas_trmm_lTx_kernelILi32ELb1EfPKfKS1_KPfEv13rocblas_fill_17rocblas_diagonal_iiT2_lPT3_llS9_llPT4_lli ; -- Begin function _ZL23rocblas_trmm_lTx_kernelILi32ELb1EfPKfKS1_KPfEv13rocblas_fill_17rocblas_diagonal_iiT2_lPT3_llS9_llPT4_lli
	.p2align	8
	.type	_ZL23rocblas_trmm_lTx_kernelILi32ELb1EfPKfKS1_KPfEv13rocblas_fill_17rocblas_diagonal_iiT2_lPT3_llS9_llPT4_lli,@function
_ZL23rocblas_trmm_lTx_kernelILi32ELb1EfPKfKS1_KPfEv13rocblas_fill_17rocblas_diagonal_iiT2_lPT3_llS9_llPT4_lli: ; @_ZL23rocblas_trmm_lTx_kernelILi32ELb1EfPKfKS1_KPfEv13rocblas_fill_17rocblas_diagonal_iiT2_lPT3_llS9_llPT4_lli
; %bb.0:
	s_load_dwordx16 s[4:19], s[0:1], 0x10
	s_mov_b32 s24, s3
	s_waitcnt lgkmcnt(0)
	s_mul_i32 s3, s7, s3
	s_mul_hi_u32 s7, s6, s24
	s_add_i32 s7, s7, s3
	s_mul_i32 s6, s6, s24
	s_lshl_b64 s[6:7], s[6:7], 2
	s_add_u32 s4, s4, s6
	s_addc_u32 s5, s5, s7
	s_load_dword s26, s[4:5], 0x0
	s_waitcnt lgkmcnt(0)
	v_cmp_eq_f32_e64 s[4:5], s26, 0
	s_and_b64 vcc, exec, s[4:5]
	s_cbranch_vccnz .LBB148_15
; %bb.1:
	s_mov_b32 s25, 0
	s_load_dwordx4 s[20:23], s[0:1], 0x0
	s_load_dwordx4 s[4:7], s[0:1], 0x50
	s_lshl_b64 s[28:29], s[24:25], 3
	s_add_u32 s8, s8, s28
	s_addc_u32 s9, s9, s29
	s_load_dwordx2 s[24:25], s[8:9], 0x0
	s_add_u32 s8, s14, s28
	s_addc_u32 s9, s15, s29
	s_waitcnt lgkmcnt(0)
	s_add_u32 s4, s4, s28
	s_addc_u32 s5, s5, s29
	s_load_dwordx2 s[14:15], s[8:9], 0x0
	v_and_b32_e32 v4, 0x3ff, v0
	s_load_dwordx2 s[8:9], s[4:5], 0x0
	v_bfe_u32 v2, v0, 10, 10
	v_lshlrev_b32_e32 v3, 5, v2
	v_cmp_gt_i32_e64 s[4:5], s22, v2
	v_cmp_gt_i32_e32 vcc, s22, v4
	v_add_lshl_u32 v5, v3, v4, 2
	v_mov_b32_e32 v1, 0
	s_and_b64 s[28:29], s[4:5], vcc
	v_lshlrev_b32_e32 v0, 2, v4
	ds_write2st64_b32 v5, v1, v1 offset1:16
	s_waitcnt lgkmcnt(0)
	s_barrier
	s_and_saveexec_b64 s[4:5], s[28:29]
	s_cbranch_execz .LBB148_3
; %bb.2:
	s_lshl_b64 s[12:13], s[12:13], 2
	s_add_u32 s12, s24, s12
	s_addc_u32 s13, s25, s13
	v_mad_u64_u32 v[6:7], s[24:25], s10, v2, 0
	v_mov_b32_e32 v8, v7
	v_mad_u64_u32 v[8:9], s[10:11], s11, v2, v[8:9]
	v_mov_b32_e32 v7, v8
	v_lshl_add_u64 v[6:7], v[6:7], 2, s[12:13]
	v_lshl_add_u64 v[6:7], v[6:7], 0, v[0:1]
	flat_load_dword v1, v[6:7]
	v_lshlrev_b32_e32 v6, 2, v2
	v_lshl_add_u32 v6, v4, 7, v6
	s_waitcnt vmcnt(0) lgkmcnt(0)
	ds_write_b32 v6, v1
.LBB148_3:
	s_or_b64 exec, exec, s[4:5]
	s_add_i32 s3, s23, -1
	s_ashr_i32 s4, s3, 31
	s_lshr_b32 s4, s4, 27
	s_add_i32 s3, s3, s4
	s_ashr_i32 s4, s3, 5
	s_andn2_b32 s3, s3, 31
	s_sub_i32 s3, s23, s3
	s_cmp_ge_i32 s2, s4
	s_cselect_b32 s3, s3, 32
	s_lshl_b32 s12, s2, 5
	v_cmp_gt_i32_e64 s[2:3], s3, v2
	s_ashr_i32 s13, s12, 31
	s_and_b64 s[2:3], vcc, s[2:3]
	s_and_saveexec_b64 s[4:5], s[2:3]
	s_cbranch_execz .LBB148_5
; %bb.4:
	s_lshl_b64 s[10:11], s[18:19], 2
	s_add_u32 s14, s14, s10
	s_addc_u32 s15, s15, s11
	s_mul_i32 s10, s16, s13
	s_mul_hi_u32 s11, s16, s12
	s_add_i32 s10, s11, s10
	s_mul_i32 s11, s17, s12
	s_add_i32 s11, s10, s11
	s_mul_i32 s10, s16, s12
	s_lshl_b64 s[10:11], s[10:11], 2
	s_add_u32 s10, s14, s10
	s_addc_u32 s11, s15, s11
	v_mad_u64_u32 v[6:7], s[14:15], s16, v2, 0
	v_mov_b32_e32 v8, v7
	v_mad_u64_u32 v[8:9], s[14:15], s17, v2, v[8:9]
	v_mov_b32_e32 v7, v8
	v_lshl_add_u64 v[6:7], v[6:7], 2, s[10:11]
	v_mov_b32_e32 v1, 0
	v_lshl_add_u64 v[6:7], v[6:7], 0, v[0:1]
	flat_load_dword v1, v[6:7]
	v_add_u32_e32 v6, 0x1000, v5
	s_waitcnt vmcnt(0) lgkmcnt(0)
	ds_write_b32 v6, v1
.LBB148_5:
	s_or_b64 exec, exec, s[4:5]
	s_cmpk_eq_i32 s21, 0x84
	s_cselect_b64 s[4:5], -1, 0
	v_cmp_eq_u32_e32 vcc, v2, v4
	s_and_b64 s[10:11], vcc, s[4:5]
	s_and_saveexec_b64 s[4:5], s[10:11]
; %bb.6:
	v_mov_b32_e32 v1, 1.0
	ds_write_b32 v5, v1
; %bb.7:
	s_or_b64 exec, exec, s[4:5]
	s_cmpk_lg_i32 s20, 0x7a
	s_waitcnt lgkmcnt(0)
	s_barrier
	s_cbranch_scc0 .LBB148_9
; %bb.8:
	v_cmp_lt_u32_e32 vcc, v4, v2
	s_and_b64 s[4:5], vcc, exec
	s_cbranch_execz .LBB148_10
	s_branch .LBB148_11
.LBB148_9:
	s_mov_b64 s[4:5], 0
.LBB148_10:
	v_cmp_gt_u32_e32 vcc, v4, v2
	s_andn2_b64 s[4:5], s[4:5], exec
	s_and_b64 s[10:11], vcc, exec
	s_or_b64 s[4:5], s[4:5], s[10:11]
.LBB148_11:
	s_and_saveexec_b64 s[10:11], s[4:5]
; %bb.12:
	v_mov_b32_e32 v1, 0
	ds_write_b32 v5, v1
; %bb.13:
	s_or_b64 exec, exec, s[10:11]
	s_waitcnt lgkmcnt(0)
	s_barrier
	s_and_saveexec_b64 s[4:5], s[2:3]
	s_cbranch_execz .LBB148_15
; %bb.14:
	ds_read2_b32 v[20:21], v0 offset1:32
	v_lshlrev_b32_e32 v3, 2, v3
	ds_read_b128 v[4:7], v3 offset:4096
	ds_read_b128 v[8:11], v3 offset:4112
	;; [unrolled: 1-line block ×4, first 2 shown]
	ds_read2_b32 v[22:23], v0 offset0:64 offset1:96
	ds_read2_b32 v[24:25], v0 offset0:128 offset1:160
	s_load_dwordx2 s[0:1], s[0:1], 0x60
	s_waitcnt lgkmcnt(0)
	v_fma_f32 v20, v20, v4, 0
	v_fmac_f32_e32 v20, v21, v5
	ds_read2_b32 v[4:5], v0 offset0:192 offset1:224
	v_fmac_f32_e32 v20, v22, v6
	v_add_u32_e32 v21, 0x400, v0
	v_fmac_f32_e32 v20, v23, v7
	ds_read2_b32 v[6:7], v21 offset1:32
	v_fmac_f32_e32 v20, v24, v8
	v_fmac_f32_e32 v20, v25, v9
	ds_read2_b32 v[8:9], v21 offset0:64 offset1:96
	s_waitcnt lgkmcnt(2)
	v_fmac_f32_e32 v20, v4, v10
	v_fmac_f32_e32 v20, v5, v11
	ds_read2_b32 v[4:5], v21 offset0:128 offset1:160
	s_waitcnt lgkmcnt(2)
	v_fmac_f32_e32 v20, v6, v12
	v_fmac_f32_e32 v20, v7, v13
	s_waitcnt lgkmcnt(1)
	v_fmac_f32_e32 v20, v8, v14
	v_fmac_f32_e32 v20, v9, v15
	ds_read2_b32 v[8:9], v21 offset0:192 offset1:224
	s_waitcnt lgkmcnt(1)
	v_fmac_f32_e32 v20, v4, v16
	v_add_u32_e32 v21, 0x800, v0
	v_fmac_f32_e32 v20, v5, v17
	ds_read2_b32 v[12:13], v21 offset1:32
	ds_read_b128 v[4:7], v3 offset:4160
	s_waitcnt lgkmcnt(2)
	v_fmac_f32_e32 v20, v8, v18
	v_fmac_f32_e32 v20, v9, v19
	ds_read2_b32 v[14:15], v21 offset0:64 offset1:96
	ds_read_b128 v[8:11], v3 offset:4176
	ds_read2_b32 v[16:17], v21 offset0:128 offset1:160
	s_waitcnt lgkmcnt(3)
	v_fmac_f32_e32 v20, v12, v4
	v_fmac_f32_e32 v20, v13, v5
	ds_read2_b32 v[4:5], v21 offset0:192 offset1:224
	s_waitcnt lgkmcnt(3)
	v_fmac_f32_e32 v20, v14, v6
	v_fmac_f32_e32 v20, v15, v7
	s_waitcnt lgkmcnt(1)
	v_pk_mul_f32 v[6:7], v[16:17], v[8:9]
	v_add_u32_e32 v16, 0xc00, v0
	v_add_f32_e32 v6, v20, v6
	v_add_f32_e32 v14, v6, v7
	s_waitcnt lgkmcnt(0)
	v_pk_mul_f32 v[8:9], v[4:5], v[10:11]
	ds_read2_b32 v[12:13], v16 offset1:32
	ds_read_b128 v[4:7], v3 offset:4192
	v_add_f32_e32 v8, v14, v8
	v_add_f32_e32 v17, v8, v9
	ds_read2_b32 v[14:15], v16 offset0:64 offset1:96
	ds_read_b128 v[8:11], v3 offset:4208
	s_lshl_b64 s[0:1], s[0:1], 2
	s_waitcnt lgkmcnt(2)
	v_pk_mul_f32 v[4:5], v[12:13], v[4:5]
	ds_read2_b32 v[12:13], v16 offset0:192 offset1:224
	v_add_f32_e32 v3, v17, v4
	v_add_f32_e32 v3, v3, v5
	ds_read2_b32 v[4:5], v16 offset0:128 offset1:160
	s_waitcnt lgkmcnt(3)
	v_pk_mul_f32 v[6:7], v[14:15], v[6:7]
	s_mul_i32 s2, s6, s13
	v_add_f32_e32 v3, v3, v6
	v_add_f32_e32 v3, v3, v7
	s_waitcnt lgkmcnt(0)
	v_pk_mul_f32 v[4:5], v[4:5], v[8:9]
	s_mul_hi_u32 s3, s6, s12
	v_add_f32_e32 v3, v3, v4
	s_add_u32 s5, s8, s0
	v_add_f32_e32 v3, v3, v5
	v_pk_mul_f32 v[4:5], v[12:13], v[10:11]
	s_mul_i32 s4, s7, s12
	s_addc_u32 s8, s9, s1
	s_add_i32 s0, s3, s2
	v_add_f32_e32 v3, v3, v4
	s_add_i32 s1, s0, s4
	s_mul_i32 s0, s6, s12
	v_add_f32_e32 v3, v3, v5
	v_mad_u64_u32 v[4:5], s[2:3], s6, v2, 0
	s_lshl_b64 s[0:1], s[0:1], 2
	v_mul_f32_e32 v7, s26, v3
	v_mov_b32_e32 v6, v5
	s_add_u32 s0, s5, s0
	v_mad_u64_u32 v[2:3], s[2:3], s7, v2, v[6:7]
	s_addc_u32 s1, s8, s1
	v_mov_b32_e32 v5, v2
	v_mov_b32_e32 v1, 0
	v_lshl_add_u64 v[2:3], v[4:5], 2, s[0:1]
	v_lshl_add_u64 v[0:1], v[2:3], 0, v[0:1]
	flat_store_dword v[0:1], v7
.LBB148_15:
	s_endpgm
	.section	.rodata,"a",@progbits
	.p2align	6, 0x0
	.amdhsa_kernel _ZL23rocblas_trmm_lTx_kernelILi32ELb1EfPKfKS1_KPfEv13rocblas_fill_17rocblas_diagonal_iiT2_lPT3_llS9_llPT4_lli
		.amdhsa_group_segment_fixed_size 8192
		.amdhsa_private_segment_fixed_size 0
		.amdhsa_kernarg_size 108
		.amdhsa_user_sgpr_count 2
		.amdhsa_user_sgpr_dispatch_ptr 0
		.amdhsa_user_sgpr_queue_ptr 0
		.amdhsa_user_sgpr_kernarg_segment_ptr 1
		.amdhsa_user_sgpr_dispatch_id 0
		.amdhsa_user_sgpr_kernarg_preload_length 0
		.amdhsa_user_sgpr_kernarg_preload_offset 0
		.amdhsa_user_sgpr_private_segment_size 0
		.amdhsa_uses_dynamic_stack 0
		.amdhsa_enable_private_segment 0
		.amdhsa_system_sgpr_workgroup_id_x 1
		.amdhsa_system_sgpr_workgroup_id_y 0
		.amdhsa_system_sgpr_workgroup_id_z 1
		.amdhsa_system_sgpr_workgroup_info 0
		.amdhsa_system_vgpr_workitem_id 1
		.amdhsa_next_free_vgpr 26
		.amdhsa_next_free_sgpr 30
		.amdhsa_accum_offset 28
		.amdhsa_reserve_vcc 1
		.amdhsa_float_round_mode_32 0
		.amdhsa_float_round_mode_16_64 0
		.amdhsa_float_denorm_mode_32 3
		.amdhsa_float_denorm_mode_16_64 3
		.amdhsa_dx10_clamp 1
		.amdhsa_ieee_mode 1
		.amdhsa_fp16_overflow 0
		.amdhsa_tg_split 0
		.amdhsa_exception_fp_ieee_invalid_op 0
		.amdhsa_exception_fp_denorm_src 0
		.amdhsa_exception_fp_ieee_div_zero 0
		.amdhsa_exception_fp_ieee_overflow 0
		.amdhsa_exception_fp_ieee_underflow 0
		.amdhsa_exception_fp_ieee_inexact 0
		.amdhsa_exception_int_div_zero 0
	.end_amdhsa_kernel
	.section	.text._ZL23rocblas_trmm_lTx_kernelILi32ELb1EfPKfKS1_KPfEv13rocblas_fill_17rocblas_diagonal_iiT2_lPT3_llS9_llPT4_lli,"axG",@progbits,_ZL23rocblas_trmm_lTx_kernelILi32ELb1EfPKfKS1_KPfEv13rocblas_fill_17rocblas_diagonal_iiT2_lPT3_llS9_llPT4_lli,comdat
.Lfunc_end148:
	.size	_ZL23rocblas_trmm_lTx_kernelILi32ELb1EfPKfKS1_KPfEv13rocblas_fill_17rocblas_diagonal_iiT2_lPT3_llS9_llPT4_lli, .Lfunc_end148-_ZL23rocblas_trmm_lTx_kernelILi32ELb1EfPKfKS1_KPfEv13rocblas_fill_17rocblas_diagonal_iiT2_lPT3_llS9_llPT4_lli
                                        ; -- End function
	.set _ZL23rocblas_trmm_lTx_kernelILi32ELb1EfPKfKS1_KPfEv13rocblas_fill_17rocblas_diagonal_iiT2_lPT3_llS9_llPT4_lli.num_vgpr, 26
	.set _ZL23rocblas_trmm_lTx_kernelILi32ELb1EfPKfKS1_KPfEv13rocblas_fill_17rocblas_diagonal_iiT2_lPT3_llS9_llPT4_lli.num_agpr, 0
	.set _ZL23rocblas_trmm_lTx_kernelILi32ELb1EfPKfKS1_KPfEv13rocblas_fill_17rocblas_diagonal_iiT2_lPT3_llS9_llPT4_lli.numbered_sgpr, 30
	.set _ZL23rocblas_trmm_lTx_kernelILi32ELb1EfPKfKS1_KPfEv13rocblas_fill_17rocblas_diagonal_iiT2_lPT3_llS9_llPT4_lli.num_named_barrier, 0
	.set _ZL23rocblas_trmm_lTx_kernelILi32ELb1EfPKfKS1_KPfEv13rocblas_fill_17rocblas_diagonal_iiT2_lPT3_llS9_llPT4_lli.private_seg_size, 0
	.set _ZL23rocblas_trmm_lTx_kernelILi32ELb1EfPKfKS1_KPfEv13rocblas_fill_17rocblas_diagonal_iiT2_lPT3_llS9_llPT4_lli.uses_vcc, 1
	.set _ZL23rocblas_trmm_lTx_kernelILi32ELb1EfPKfKS1_KPfEv13rocblas_fill_17rocblas_diagonal_iiT2_lPT3_llS9_llPT4_lli.uses_flat_scratch, 0
	.set _ZL23rocblas_trmm_lTx_kernelILi32ELb1EfPKfKS1_KPfEv13rocblas_fill_17rocblas_diagonal_iiT2_lPT3_llS9_llPT4_lli.has_dyn_sized_stack, 0
	.set _ZL23rocblas_trmm_lTx_kernelILi32ELb1EfPKfKS1_KPfEv13rocblas_fill_17rocblas_diagonal_iiT2_lPT3_llS9_llPT4_lli.has_recursion, 0
	.set _ZL23rocblas_trmm_lTx_kernelILi32ELb1EfPKfKS1_KPfEv13rocblas_fill_17rocblas_diagonal_iiT2_lPT3_llS9_llPT4_lli.has_indirect_call, 0
	.section	.AMDGPU.csdata,"",@progbits
; Kernel info:
; codeLenInByte = 1192
; TotalNumSgprs: 36
; NumVgprs: 26
; NumAgprs: 0
; TotalNumVgprs: 26
; ScratchSize: 0
; MemoryBound: 0
; FloatMode: 240
; IeeeMode: 1
; LDSByteSize: 8192 bytes/workgroup (compile time only)
; SGPRBlocks: 4
; VGPRBlocks: 3
; NumSGPRsForWavesPerEU: 36
; NumVGPRsForWavesPerEU: 26
; AccumOffset: 28
; Occupancy: 8
; WaveLimiterHint : 1
; COMPUTE_PGM_RSRC2:SCRATCH_EN: 0
; COMPUTE_PGM_RSRC2:USER_SGPR: 2
; COMPUTE_PGM_RSRC2:TRAP_HANDLER: 0
; COMPUTE_PGM_RSRC2:TGID_X_EN: 1
; COMPUTE_PGM_RSRC2:TGID_Y_EN: 0
; COMPUTE_PGM_RSRC2:TGID_Z_EN: 1
; COMPUTE_PGM_RSRC2:TIDIG_COMP_CNT: 1
; COMPUTE_PGM_RSRC3_GFX90A:ACCUM_OFFSET: 6
; COMPUTE_PGM_RSRC3_GFX90A:TG_SPLIT: 0
	.section	.text._ZL23rocblas_trmm_lTx_kernelILi32ELb1EffKPKfKPfEv13rocblas_fill_17rocblas_diagonal_iiT2_lPT3_llS9_llPT4_lli,"axG",@progbits,_ZL23rocblas_trmm_lTx_kernelILi32ELb1EffKPKfKPfEv13rocblas_fill_17rocblas_diagonal_iiT2_lPT3_llS9_llPT4_lli,comdat
	.globl	_ZL23rocblas_trmm_lTx_kernelILi32ELb1EffKPKfKPfEv13rocblas_fill_17rocblas_diagonal_iiT2_lPT3_llS9_llPT4_lli ; -- Begin function _ZL23rocblas_trmm_lTx_kernelILi32ELb1EffKPKfKPfEv13rocblas_fill_17rocblas_diagonal_iiT2_lPT3_llS9_llPT4_lli
	.p2align	8
	.type	_ZL23rocblas_trmm_lTx_kernelILi32ELb1EffKPKfKPfEv13rocblas_fill_17rocblas_diagonal_iiT2_lPT3_llS9_llPT4_lli,@function
_ZL23rocblas_trmm_lTx_kernelILi32ELb1EffKPKfKPfEv13rocblas_fill_17rocblas_diagonal_iiT2_lPT3_llS9_llPT4_lli: ; @_ZL23rocblas_trmm_lTx_kernelILi32ELb1EffKPKfKPfEv13rocblas_fill_17rocblas_diagonal_iiT2_lPT3_llS9_llPT4_lli
; %bb.0:
	s_load_dword s28, s[0:1], 0x10
	s_mov_b32 s25, 0
	s_waitcnt lgkmcnt(0)
	v_cmp_eq_f32_e64 s[4:5], s28, 0
	s_and_b64 vcc, exec, s[4:5]
	s_cbranch_vccnz .LBB149_15
; %bb.1:
	s_load_dwordx16 s[4:19], s[0:1], 0x20
	s_load_dwordx4 s[20:23], s[0:1], 0x0
	s_mov_b32 s24, s3
	s_lshl_b64 s[30:31], s[24:25], 3
	v_and_b32_e32 v4, 0x3ff, v0
	s_waitcnt lgkmcnt(0)
	s_add_u32 s4, s4, s30
	s_addc_u32 s5, s5, s31
	s_load_dwordx2 s[26:27], s[4:5], 0x0
	s_add_u32 s4, s10, s30
	s_addc_u32 s5, s11, s31
	s_load_dwordx2 s[24:25], s[4:5], 0x0
	;; [unrolled: 3-line block ×3, first 2 shown]
	v_bfe_u32 v2, v0, 10, 10
	v_lshlrev_b32_e32 v3, 5, v2
	v_cmp_gt_i32_e64 s[4:5], s22, v2
	v_cmp_gt_i32_e32 vcc, s22, v4
	v_add_lshl_u32 v5, v3, v4, 2
	v_mov_b32_e32 v1, 0
	s_and_b64 s[16:17], s[4:5], vcc
	v_lshlrev_b32_e32 v0, 2, v4
	ds_write2st64_b32 v5, v1, v1 offset1:16
	s_waitcnt lgkmcnt(0)
	s_barrier
	s_and_saveexec_b64 s[4:5], s[16:17]
	s_cbranch_execz .LBB149_3
; %bb.2:
	v_mad_u64_u32 v[6:7], s[16:17], s6, v2, 0
	s_lshl_b64 s[8:9], s[8:9], 2
	v_mov_b32_e32 v8, v7
	s_add_u32 s8, s26, s8
	v_mad_u64_u32 v[8:9], s[6:7], s7, v2, v[8:9]
	s_addc_u32 s9, s27, s9
	v_mov_b32_e32 v7, v8
	v_lshl_add_u64 v[6:7], v[6:7], 2, s[8:9]
	v_lshl_add_u64 v[6:7], v[6:7], 0, v[0:1]
	flat_load_dword v1, v[6:7]
	v_lshlrev_b32_e32 v6, 2, v2
	v_lshl_add_u32 v6, v4, 7, v6
	s_waitcnt vmcnt(0) lgkmcnt(0)
	ds_write_b32 v6, v1
.LBB149_3:
	s_or_b64 exec, exec, s[4:5]
	s_add_i32 s3, s23, -1
	s_ashr_i32 s4, s3, 31
	s_lshr_b32 s4, s4, 27
	s_add_i32 s3, s3, s4
	s_ashr_i32 s4, s3, 5
	s_andn2_b32 s3, s3, 31
	s_sub_i32 s3, s23, s3
	s_cmp_ge_i32 s2, s4
	s_cselect_b32 s3, s3, 32
	s_lshl_b32 s8, s2, 5
	v_cmp_gt_i32_e64 s[2:3], s3, v2
	s_ashr_i32 s9, s8, 31
	s_and_b64 s[2:3], vcc, s[2:3]
	s_and_saveexec_b64 s[4:5], s[2:3]
	s_cbranch_execz .LBB149_5
; %bb.4:
	s_lshl_b64 s[6:7], s[14:15], 2
	s_add_u32 s14, s24, s6
	s_addc_u32 s15, s25, s7
	s_mul_i32 s6, s12, s9
	s_mul_hi_u32 s7, s12, s8
	s_add_i32 s6, s7, s6
	s_mul_i32 s7, s13, s8
	s_add_i32 s7, s6, s7
	s_mul_i32 s6, s12, s8
	s_lshl_b64 s[6:7], s[6:7], 2
	s_add_u32 s6, s14, s6
	s_addc_u32 s7, s15, s7
	v_mad_u64_u32 v[6:7], s[14:15], s12, v2, 0
	v_mov_b32_e32 v8, v7
	v_mad_u64_u32 v[8:9], s[12:13], s13, v2, v[8:9]
	v_mov_b32_e32 v7, v8
	v_lshl_add_u64 v[6:7], v[6:7], 2, s[6:7]
	v_mov_b32_e32 v1, 0
	v_lshl_add_u64 v[6:7], v[6:7], 0, v[0:1]
	flat_load_dword v1, v[6:7]
	v_add_u32_e32 v6, 0x1000, v5
	s_waitcnt vmcnt(0) lgkmcnt(0)
	ds_write_b32 v6, v1
.LBB149_5:
	s_or_b64 exec, exec, s[4:5]
	s_cmpk_eq_i32 s21, 0x84
	s_cselect_b64 s[4:5], -1, 0
	v_cmp_eq_u32_e32 vcc, v2, v4
	s_and_b64 s[6:7], vcc, s[4:5]
	s_and_saveexec_b64 s[4:5], s[6:7]
; %bb.6:
	v_mov_b32_e32 v1, 1.0
	ds_write_b32 v5, v1
; %bb.7:
	s_or_b64 exec, exec, s[4:5]
	s_cmpk_lg_i32 s20, 0x7a
	s_waitcnt lgkmcnt(0)
	s_barrier
	s_cbranch_scc0 .LBB149_9
; %bb.8:
	v_cmp_lt_u32_e32 vcc, v4, v2
	s_and_b64 s[4:5], vcc, exec
	s_cbranch_execz .LBB149_10
	s_branch .LBB149_11
.LBB149_9:
	s_mov_b64 s[4:5], 0
.LBB149_10:
	v_cmp_gt_u32_e32 vcc, v4, v2
	s_andn2_b64 s[4:5], s[4:5], exec
	s_and_b64 s[6:7], vcc, exec
	s_or_b64 s[4:5], s[4:5], s[6:7]
.LBB149_11:
	s_and_saveexec_b64 s[6:7], s[4:5]
; %bb.12:
	v_mov_b32_e32 v1, 0
	ds_write_b32 v5, v1
; %bb.13:
	s_or_b64 exec, exec, s[6:7]
	s_waitcnt lgkmcnt(0)
	s_barrier
	s_and_saveexec_b64 s[4:5], s[2:3]
	s_cbranch_execz .LBB149_15
; %bb.14:
	ds_read2_b32 v[20:21], v0 offset1:32
	v_lshlrev_b32_e32 v3, 2, v3
	ds_read_b128 v[4:7], v3 offset:4096
	ds_read_b128 v[8:11], v3 offset:4112
	;; [unrolled: 1-line block ×4, first 2 shown]
	ds_read2_b32 v[22:23], v0 offset0:64 offset1:96
	ds_read2_b32 v[24:25], v0 offset0:128 offset1:160
	s_load_dwordx2 s[0:1], s[0:1], 0x60
	s_waitcnt lgkmcnt(0)
	v_fma_f32 v20, v20, v4, 0
	v_fmac_f32_e32 v20, v21, v5
	ds_read2_b32 v[4:5], v0 offset0:192 offset1:224
	v_fmac_f32_e32 v20, v22, v6
	v_add_u32_e32 v21, 0x400, v0
	v_fmac_f32_e32 v20, v23, v7
	ds_read2_b32 v[6:7], v21 offset1:32
	v_fmac_f32_e32 v20, v24, v8
	v_fmac_f32_e32 v20, v25, v9
	ds_read2_b32 v[8:9], v21 offset0:64 offset1:96
	s_waitcnt lgkmcnt(2)
	v_fmac_f32_e32 v20, v4, v10
	v_fmac_f32_e32 v20, v5, v11
	ds_read2_b32 v[4:5], v21 offset0:128 offset1:160
	s_waitcnt lgkmcnt(2)
	v_fmac_f32_e32 v20, v6, v12
	v_fmac_f32_e32 v20, v7, v13
	s_waitcnt lgkmcnt(1)
	v_fmac_f32_e32 v20, v8, v14
	v_fmac_f32_e32 v20, v9, v15
	ds_read2_b32 v[8:9], v21 offset0:192 offset1:224
	s_waitcnt lgkmcnt(1)
	v_fmac_f32_e32 v20, v4, v16
	v_add_u32_e32 v21, 0x800, v0
	v_fmac_f32_e32 v20, v5, v17
	ds_read2_b32 v[12:13], v21 offset1:32
	ds_read_b128 v[4:7], v3 offset:4160
	s_waitcnt lgkmcnt(2)
	v_fmac_f32_e32 v20, v8, v18
	v_fmac_f32_e32 v20, v9, v19
	ds_read2_b32 v[14:15], v21 offset0:64 offset1:96
	ds_read_b128 v[8:11], v3 offset:4176
	ds_read2_b32 v[16:17], v21 offset0:128 offset1:160
	s_waitcnt lgkmcnt(3)
	v_fmac_f32_e32 v20, v12, v4
	v_fmac_f32_e32 v20, v13, v5
	ds_read2_b32 v[4:5], v21 offset0:192 offset1:224
	s_waitcnt lgkmcnt(3)
	v_fmac_f32_e32 v20, v14, v6
	v_fmac_f32_e32 v20, v15, v7
	s_waitcnt lgkmcnt(1)
	v_pk_mul_f32 v[6:7], v[16:17], v[8:9]
	v_add_u32_e32 v16, 0xc00, v0
	v_add_f32_e32 v6, v20, v6
	v_add_f32_e32 v14, v6, v7
	s_waitcnt lgkmcnt(0)
	v_pk_mul_f32 v[8:9], v[4:5], v[10:11]
	ds_read2_b32 v[12:13], v16 offset1:32
	ds_read_b128 v[4:7], v3 offset:4192
	v_add_f32_e32 v8, v14, v8
	v_add_f32_e32 v17, v8, v9
	ds_read2_b32 v[14:15], v16 offset0:64 offset1:96
	ds_read_b128 v[8:11], v3 offset:4208
	s_lshl_b64 s[0:1], s[0:1], 2
	s_waitcnt lgkmcnt(2)
	v_pk_mul_f32 v[4:5], v[12:13], v[4:5]
	ds_read2_b32 v[12:13], v16 offset0:192 offset1:224
	v_add_f32_e32 v3, v17, v4
	v_add_f32_e32 v3, v3, v5
	ds_read2_b32 v[4:5], v16 offset0:128 offset1:160
	s_waitcnt lgkmcnt(3)
	v_pk_mul_f32 v[6:7], v[14:15], v[6:7]
	s_mul_i32 s2, s18, s9
	v_add_f32_e32 v3, v3, v6
	v_add_f32_e32 v3, v3, v7
	s_waitcnt lgkmcnt(0)
	v_pk_mul_f32 v[4:5], v[4:5], v[8:9]
	s_mul_hi_u32 s3, s18, s8
	v_add_f32_e32 v3, v3, v4
	s_add_u32 s5, s10, s0
	v_add_f32_e32 v3, v3, v5
	v_pk_mul_f32 v[4:5], v[12:13], v[10:11]
	s_mul_i32 s4, s19, s8
	s_addc_u32 s6, s11, s1
	s_add_i32 s0, s3, s2
	v_add_f32_e32 v3, v3, v4
	s_add_i32 s1, s0, s4
	s_mul_i32 s0, s18, s8
	v_add_f32_e32 v3, v3, v5
	v_mad_u64_u32 v[4:5], s[2:3], s18, v2, 0
	s_lshl_b64 s[0:1], s[0:1], 2
	v_mul_f32_e32 v7, s28, v3
	v_mov_b32_e32 v6, v5
	s_add_u32 s0, s5, s0
	v_mad_u64_u32 v[2:3], s[2:3], s19, v2, v[6:7]
	s_addc_u32 s1, s6, s1
	v_mov_b32_e32 v5, v2
	v_mov_b32_e32 v1, 0
	v_lshl_add_u64 v[2:3], v[4:5], 2, s[0:1]
	v_lshl_add_u64 v[0:1], v[2:3], 0, v[0:1]
	flat_store_dword v[0:1], v7
.LBB149_15:
	s_endpgm
	.section	.rodata,"a",@progbits
	.p2align	6, 0x0
	.amdhsa_kernel _ZL23rocblas_trmm_lTx_kernelILi32ELb1EffKPKfKPfEv13rocblas_fill_17rocblas_diagonal_iiT2_lPT3_llS9_llPT4_lli
		.amdhsa_group_segment_fixed_size 8192
		.amdhsa_private_segment_fixed_size 0
		.amdhsa_kernarg_size 108
		.amdhsa_user_sgpr_count 2
		.amdhsa_user_sgpr_dispatch_ptr 0
		.amdhsa_user_sgpr_queue_ptr 0
		.amdhsa_user_sgpr_kernarg_segment_ptr 1
		.amdhsa_user_sgpr_dispatch_id 0
		.amdhsa_user_sgpr_kernarg_preload_length 0
		.amdhsa_user_sgpr_kernarg_preload_offset 0
		.amdhsa_user_sgpr_private_segment_size 0
		.amdhsa_uses_dynamic_stack 0
		.amdhsa_enable_private_segment 0
		.amdhsa_system_sgpr_workgroup_id_x 1
		.amdhsa_system_sgpr_workgroup_id_y 0
		.amdhsa_system_sgpr_workgroup_id_z 1
		.amdhsa_system_sgpr_workgroup_info 0
		.amdhsa_system_vgpr_workitem_id 1
		.amdhsa_next_free_vgpr 26
		.amdhsa_next_free_sgpr 32
		.amdhsa_accum_offset 28
		.amdhsa_reserve_vcc 1
		.amdhsa_float_round_mode_32 0
		.amdhsa_float_round_mode_16_64 0
		.amdhsa_float_denorm_mode_32 3
		.amdhsa_float_denorm_mode_16_64 3
		.amdhsa_dx10_clamp 1
		.amdhsa_ieee_mode 1
		.amdhsa_fp16_overflow 0
		.amdhsa_tg_split 0
		.amdhsa_exception_fp_ieee_invalid_op 0
		.amdhsa_exception_fp_denorm_src 0
		.amdhsa_exception_fp_ieee_div_zero 0
		.amdhsa_exception_fp_ieee_overflow 0
		.amdhsa_exception_fp_ieee_underflow 0
		.amdhsa_exception_fp_ieee_inexact 0
		.amdhsa_exception_int_div_zero 0
	.end_amdhsa_kernel
	.section	.text._ZL23rocblas_trmm_lTx_kernelILi32ELb1EffKPKfKPfEv13rocblas_fill_17rocblas_diagonal_iiT2_lPT3_llS9_llPT4_lli,"axG",@progbits,_ZL23rocblas_trmm_lTx_kernelILi32ELb1EffKPKfKPfEv13rocblas_fill_17rocblas_diagonal_iiT2_lPT3_llS9_llPT4_lli,comdat
.Lfunc_end149:
	.size	_ZL23rocblas_trmm_lTx_kernelILi32ELb1EffKPKfKPfEv13rocblas_fill_17rocblas_diagonal_iiT2_lPT3_llS9_llPT4_lli, .Lfunc_end149-_ZL23rocblas_trmm_lTx_kernelILi32ELb1EffKPKfKPfEv13rocblas_fill_17rocblas_diagonal_iiT2_lPT3_llS9_llPT4_lli
                                        ; -- End function
	.set _ZL23rocblas_trmm_lTx_kernelILi32ELb1EffKPKfKPfEv13rocblas_fill_17rocblas_diagonal_iiT2_lPT3_llS9_llPT4_lli.num_vgpr, 26
	.set _ZL23rocblas_trmm_lTx_kernelILi32ELb1EffKPKfKPfEv13rocblas_fill_17rocblas_diagonal_iiT2_lPT3_llS9_llPT4_lli.num_agpr, 0
	.set _ZL23rocblas_trmm_lTx_kernelILi32ELb1EffKPKfKPfEv13rocblas_fill_17rocblas_diagonal_iiT2_lPT3_llS9_llPT4_lli.numbered_sgpr, 32
	.set _ZL23rocblas_trmm_lTx_kernelILi32ELb1EffKPKfKPfEv13rocblas_fill_17rocblas_diagonal_iiT2_lPT3_llS9_llPT4_lli.num_named_barrier, 0
	.set _ZL23rocblas_trmm_lTx_kernelILi32ELb1EffKPKfKPfEv13rocblas_fill_17rocblas_diagonal_iiT2_lPT3_llS9_llPT4_lli.private_seg_size, 0
	.set _ZL23rocblas_trmm_lTx_kernelILi32ELb1EffKPKfKPfEv13rocblas_fill_17rocblas_diagonal_iiT2_lPT3_llS9_llPT4_lli.uses_vcc, 1
	.set _ZL23rocblas_trmm_lTx_kernelILi32ELb1EffKPKfKPfEv13rocblas_fill_17rocblas_diagonal_iiT2_lPT3_llS9_llPT4_lli.uses_flat_scratch, 0
	.set _ZL23rocblas_trmm_lTx_kernelILi32ELb1EffKPKfKPfEv13rocblas_fill_17rocblas_diagonal_iiT2_lPT3_llS9_llPT4_lli.has_dyn_sized_stack, 0
	.set _ZL23rocblas_trmm_lTx_kernelILi32ELb1EffKPKfKPfEv13rocblas_fill_17rocblas_diagonal_iiT2_lPT3_llS9_llPT4_lli.has_recursion, 0
	.set _ZL23rocblas_trmm_lTx_kernelILi32ELb1EffKPKfKPfEv13rocblas_fill_17rocblas_diagonal_iiT2_lPT3_llS9_llPT4_lli.has_indirect_call, 0
	.section	.AMDGPU.csdata,"",@progbits
; Kernel info:
; codeLenInByte = 1152
; TotalNumSgprs: 38
; NumVgprs: 26
; NumAgprs: 0
; TotalNumVgprs: 26
; ScratchSize: 0
; MemoryBound: 0
; FloatMode: 240
; IeeeMode: 1
; LDSByteSize: 8192 bytes/workgroup (compile time only)
; SGPRBlocks: 4
; VGPRBlocks: 3
; NumSGPRsForWavesPerEU: 38
; NumVGPRsForWavesPerEU: 26
; AccumOffset: 28
; Occupancy: 8
; WaveLimiterHint : 1
; COMPUTE_PGM_RSRC2:SCRATCH_EN: 0
; COMPUTE_PGM_RSRC2:USER_SGPR: 2
; COMPUTE_PGM_RSRC2:TRAP_HANDLER: 0
; COMPUTE_PGM_RSRC2:TGID_X_EN: 1
; COMPUTE_PGM_RSRC2:TGID_Y_EN: 0
; COMPUTE_PGM_RSRC2:TGID_Z_EN: 1
; COMPUTE_PGM_RSRC2:TIDIG_COMP_CNT: 1
; COMPUTE_PGM_RSRC3_GFX90A:ACCUM_OFFSET: 6
; COMPUTE_PGM_RSRC3_GFX90A:TG_SPLIT: 0
	.section	.text._ZL23rocblas_trmm_rNx_kernelILi32EfPKfKS1_KPfEv13rocblas_fill_17rocblas_diagonal_iiT1_lPT2_llS9_llPT3_lli,"axG",@progbits,_ZL23rocblas_trmm_rNx_kernelILi32EfPKfKS1_KPfEv13rocblas_fill_17rocblas_diagonal_iiT1_lPT2_llS9_llPT3_lli,comdat
	.globl	_ZL23rocblas_trmm_rNx_kernelILi32EfPKfKS1_KPfEv13rocblas_fill_17rocblas_diagonal_iiT1_lPT2_llS9_llPT3_lli ; -- Begin function _ZL23rocblas_trmm_rNx_kernelILi32EfPKfKS1_KPfEv13rocblas_fill_17rocblas_diagonal_iiT1_lPT2_llS9_llPT3_lli
	.p2align	8
	.type	_ZL23rocblas_trmm_rNx_kernelILi32EfPKfKS1_KPfEv13rocblas_fill_17rocblas_diagonal_iiT1_lPT2_llS9_llPT3_lli,@function
_ZL23rocblas_trmm_rNx_kernelILi32EfPKfKS1_KPfEv13rocblas_fill_17rocblas_diagonal_iiT1_lPT2_llS9_llPT3_lli: ; @_ZL23rocblas_trmm_rNx_kernelILi32EfPKfKS1_KPfEv13rocblas_fill_17rocblas_diagonal_iiT1_lPT2_llS9_llPT3_lli
; %bb.0:
	s_load_dwordx16 s[4:19], s[0:1], 0x10
	s_mov_b32 s24, s3
	s_waitcnt lgkmcnt(0)
	s_mul_i32 s3, s7, s3
	s_mul_hi_u32 s7, s6, s24
	s_add_i32 s7, s7, s3
	s_mul_i32 s6, s6, s24
	s_lshl_b64 s[6:7], s[6:7], 2
	s_add_u32 s4, s4, s6
	s_addc_u32 s5, s5, s7
	s_load_dword s28, s[4:5], 0x0
	s_waitcnt lgkmcnt(0)
	v_cmp_eq_f32_e64 s[4:5], s28, 0
	s_and_b64 vcc, exec, s[4:5]
	s_cbranch_vccnz .LBB150_15
; %bb.1:
	s_load_dwordx4 s[20:23], s[0:1], 0x0
	s_load_dwordx4 s[4:7], s[0:1], 0x50
	s_mov_b32 s25, 0
	s_lshl_b64 s[26:27], s[24:25], 3
	s_add_u32 s14, s14, s26
	s_addc_u32 s15, s15, s27
	s_waitcnt lgkmcnt(0)
	s_add_u32 s4, s4, s26
	s_addc_u32 s5, s5, s27
	s_load_dwordx2 s[24:25], s[14:15], 0x0
	v_and_b32_e32 v5, 0x3ff, v0
	s_load_dwordx2 s[14:15], s[4:5], 0x0
	v_bfe_u32 v2, v0, 10, 10
	v_lshlrev_b32_e32 v3, 5, v2
	v_cmp_gt_i32_e32 vcc, s23, v2
	v_cmp_gt_i32_e64 s[4:5], s23, v5
	v_add_lshl_u32 v4, v3, v5, 2
	v_mov_b32_e32 v1, 0
	s_and_b64 s[30:31], vcc, s[4:5]
	v_lshlrev_b32_e32 v0, 2, v5
	ds_write2st64_b32 v4, v1, v1 offset1:16
	s_and_saveexec_b64 s[4:5], s[30:31]
	s_cbranch_execz .LBB150_3
; %bb.2:
	s_add_u32 s8, s8, s26
	s_addc_u32 s9, s9, s27
	s_load_dwordx2 s[8:9], s[8:9], 0x0
	v_mad_u64_u32 v[6:7], s[26:27], s10, v2, 0
	s_lshl_b64 s[12:13], s[12:13], 2
	v_mov_b32_e32 v8, v7
	s_waitcnt lgkmcnt(0)
	s_add_u32 s8, s8, s12
	v_mad_u64_u32 v[8:9], s[10:11], s11, v2, v[8:9]
	s_addc_u32 s9, s9, s13
	v_mov_b32_e32 v7, v8
	v_lshl_add_u64 v[6:7], v[6:7], 2, s[8:9]
	v_lshl_add_u64 v[6:7], v[6:7], 0, v[0:1]
	flat_load_dword v1, v[6:7]
	s_waitcnt vmcnt(0) lgkmcnt(0)
	ds_write_b32 v4, v1
.LBB150_3:
	s_or_b64 exec, exec, s[4:5]
	s_add_i32 s3, s22, -1
	s_ashr_i32 s4, s3, 31
	s_lshr_b32 s4, s4, 27
	s_add_i32 s3, s3, s4
	s_ashr_i32 s4, s3, 5
	s_andn2_b32 s3, s3, 31
	s_sub_i32 s3, s22, s3
	s_cmp_ge_i32 s2, s4
	s_cselect_b32 s3, s3, 32
	s_lshl_b32 s4, s2, 5
	v_cmp_gt_i32_e64 s[2:3], s3, v5
	s_ashr_i32 s5, s4, 31
	s_and_b64 s[2:3], vcc, s[2:3]
	s_and_saveexec_b64 s[8:9], s[2:3]
	s_cbranch_execz .LBB150_5
; %bb.4:
	s_lshl_b64 s[10:11], s[18:19], 2
	s_waitcnt lgkmcnt(0)
	s_add_u32 s12, s24, s10
	s_addc_u32 s13, s25, s11
	s_lshl_b64 s[10:11], s[4:5], 2
	s_add_u32 s10, s12, s10
	s_addc_u32 s11, s13, s11
	v_mad_u64_u32 v[6:7], s[12:13], s16, v2, 0
	v_mov_b32_e32 v8, v7
	v_mad_u64_u32 v[8:9], s[12:13], s17, v2, v[8:9]
	v_mov_b32_e32 v7, v8
	v_lshl_add_u64 v[6:7], v[6:7], 2, s[10:11]
	v_mov_b32_e32 v1, 0
	v_lshl_add_u64 v[6:7], v[6:7], 0, v[0:1]
	flat_load_dword v1, v[6:7]
	v_add_u32_e32 v6, 0x1000, v4
	s_waitcnt vmcnt(0) lgkmcnt(0)
	ds_write_b32 v6, v1
.LBB150_5:
	s_or_b64 exec, exec, s[8:9]
	s_cmpk_eq_i32 s21, 0x84
	s_cselect_b64 s[8:9], -1, 0
	v_cmp_eq_u32_e32 vcc, v2, v5
	s_and_b64 s[10:11], vcc, s[8:9]
	s_and_saveexec_b64 s[8:9], s[10:11]
; %bb.6:
	v_mov_b32_e32 v1, 1.0
	ds_write_b32 v4, v1
; %bb.7:
	s_or_b64 exec, exec, s[8:9]
	s_cmpk_lg_i32 s20, 0x79
	s_cbranch_scc0 .LBB150_9
; %bb.8:
	v_cmp_lt_u32_e32 vcc, v5, v2
	s_and_b64 s[8:9], vcc, exec
	s_cbranch_execz .LBB150_10
	s_branch .LBB150_11
.LBB150_9:
	s_mov_b64 s[8:9], 0
.LBB150_10:
	v_cmp_gt_u32_e32 vcc, v5, v2
	s_andn2_b64 s[8:9], s[8:9], exec
	s_and_b64 s[10:11], vcc, exec
	s_or_b64 s[8:9], s[8:9], s[10:11]
.LBB150_11:
	s_and_saveexec_b64 s[10:11], s[8:9]
; %bb.12:
	v_mov_b32_e32 v1, 0
	ds_write_b32 v4, v1
; %bb.13:
	s_or_b64 exec, exec, s[10:11]
	s_waitcnt lgkmcnt(0)
	s_barrier
	s_and_saveexec_b64 s[8:9], s[2:3]
	s_cbranch_execz .LBB150_15
; %bb.14:
	v_add_u32_e32 v26, 0x1000, v0
	ds_read2_b32 v[20:21], v26 offset1:32
	v_lshlrev_b32_e32 v3, 2, v3
	ds_read_b128 v[4:7], v3
	ds_read_b128 v[8:11], v3 offset:16
	ds_read_b128 v[12:15], v3 offset:32
	;; [unrolled: 1-line block ×3, first 2 shown]
	ds_read2_b32 v[22:23], v26 offset0:64 offset1:96
	ds_read2_b32 v[24:25], v26 offset0:128 offset1:160
	s_load_dwordx2 s[0:1], s[0:1], 0x60
	s_waitcnt lgkmcnt(0)
	v_fma_f32 v20, v20, v4, 0
	v_fmac_f32_e32 v20, v21, v5
	ds_read2_b32 v[4:5], v26 offset0:192 offset1:224
	v_fmac_f32_e32 v20, v22, v6
	v_add_u32_e32 v21, 0x1400, v0
	v_fmac_f32_e32 v20, v23, v7
	ds_read2_b32 v[6:7], v21 offset1:32
	v_fmac_f32_e32 v20, v24, v8
	v_fmac_f32_e32 v20, v25, v9
	ds_read2_b32 v[8:9], v21 offset0:64 offset1:96
	s_waitcnt lgkmcnt(2)
	v_fmac_f32_e32 v20, v4, v10
	v_fmac_f32_e32 v20, v5, v11
	ds_read2_b32 v[4:5], v21 offset0:128 offset1:160
	s_waitcnt lgkmcnt(2)
	v_fmac_f32_e32 v20, v6, v12
	v_fmac_f32_e32 v20, v7, v13
	s_waitcnt lgkmcnt(1)
	v_fmac_f32_e32 v20, v8, v14
	v_fmac_f32_e32 v20, v9, v15
	ds_read2_b32 v[8:9], v21 offset0:192 offset1:224
	s_waitcnt lgkmcnt(1)
	v_fmac_f32_e32 v20, v4, v16
	v_add_u32_e32 v21, 0x1800, v0
	v_fmac_f32_e32 v20, v5, v17
	ds_read2_b32 v[12:13], v21 offset1:32
	ds_read_b128 v[4:7], v3 offset:64
	s_waitcnt lgkmcnt(2)
	v_fmac_f32_e32 v20, v8, v18
	v_fmac_f32_e32 v20, v9, v19
	ds_read2_b32 v[14:15], v21 offset0:64 offset1:96
	ds_read_b128 v[8:11], v3 offset:80
	ds_read2_b32 v[16:17], v21 offset0:128 offset1:160
	s_waitcnt lgkmcnt(3)
	v_fmac_f32_e32 v20, v12, v4
	v_fmac_f32_e32 v20, v13, v5
	ds_read2_b32 v[4:5], v21 offset0:192 offset1:224
	s_waitcnt lgkmcnt(3)
	v_fmac_f32_e32 v20, v14, v6
	v_fmac_f32_e32 v20, v15, v7
	s_waitcnt lgkmcnt(1)
	v_pk_mul_f32 v[6:7], v[16:17], v[8:9]
	v_add_u32_e32 v16, 0x1c00, v0
	v_add_f32_e32 v6, v20, v6
	v_add_f32_e32 v14, v6, v7
	s_waitcnt lgkmcnt(0)
	v_pk_mul_f32 v[8:9], v[4:5], v[10:11]
	ds_read2_b32 v[12:13], v16 offset1:32
	ds_read_b128 v[4:7], v3 offset:96
	v_add_f32_e32 v8, v14, v8
	v_add_f32_e32 v17, v8, v9
	ds_read2_b32 v[14:15], v16 offset0:64 offset1:96
	ds_read_b128 v[8:11], v3 offset:112
	s_lshl_b64 s[0:1], s[0:1], 2
	s_waitcnt lgkmcnt(2)
	v_pk_mul_f32 v[4:5], v[12:13], v[4:5]
	ds_read2_b32 v[12:13], v16 offset0:192 offset1:224
	v_add_f32_e32 v3, v17, v4
	v_add_f32_e32 v3, v3, v5
	ds_read2_b32 v[4:5], v16 offset0:128 offset1:160
	s_waitcnt lgkmcnt(3)
	v_pk_mul_f32 v[6:7], v[14:15], v[6:7]
	s_add_u32 s2, s14, s0
	v_add_f32_e32 v3, v3, v6
	v_add_f32_e32 v3, v3, v7
	s_waitcnt lgkmcnt(0)
	v_pk_mul_f32 v[4:5], v[4:5], v[8:9]
	s_addc_u32 s3, s15, s1
	v_add_f32_e32 v3, v3, v4
	s_lshl_b64 s[0:1], s[4:5], 2
	v_add_f32_e32 v3, v3, v5
	v_pk_mul_f32 v[4:5], v[12:13], v[10:11]
	s_add_u32 s0, s2, s0
	v_add_f32_e32 v3, v3, v4
	s_addc_u32 s1, s3, s1
	v_add_f32_e32 v3, v3, v5
	v_mad_u64_u32 v[4:5], s[2:3], s6, v2, 0
	v_mul_f32_e32 v7, s28, v3
	v_mov_b32_e32 v6, v5
	v_mad_u64_u32 v[2:3], s[2:3], s7, v2, v[6:7]
	v_mov_b32_e32 v5, v2
	v_mov_b32_e32 v1, 0
	v_lshl_add_u64 v[2:3], v[4:5], 2, s[0:1]
	v_lshl_add_u64 v[0:1], v[2:3], 0, v[0:1]
	flat_store_dword v[0:1], v7
.LBB150_15:
	s_endpgm
	.section	.rodata,"a",@progbits
	.p2align	6, 0x0
	.amdhsa_kernel _ZL23rocblas_trmm_rNx_kernelILi32EfPKfKS1_KPfEv13rocblas_fill_17rocblas_diagonal_iiT1_lPT2_llS9_llPT3_lli
		.amdhsa_group_segment_fixed_size 8192
		.amdhsa_private_segment_fixed_size 0
		.amdhsa_kernarg_size 108
		.amdhsa_user_sgpr_count 2
		.amdhsa_user_sgpr_dispatch_ptr 0
		.amdhsa_user_sgpr_queue_ptr 0
		.amdhsa_user_sgpr_kernarg_segment_ptr 1
		.amdhsa_user_sgpr_dispatch_id 0
		.amdhsa_user_sgpr_kernarg_preload_length 0
		.amdhsa_user_sgpr_kernarg_preload_offset 0
		.amdhsa_user_sgpr_private_segment_size 0
		.amdhsa_uses_dynamic_stack 0
		.amdhsa_enable_private_segment 0
		.amdhsa_system_sgpr_workgroup_id_x 1
		.amdhsa_system_sgpr_workgroup_id_y 0
		.amdhsa_system_sgpr_workgroup_id_z 1
		.amdhsa_system_sgpr_workgroup_info 0
		.amdhsa_system_vgpr_workitem_id 1
		.amdhsa_next_free_vgpr 27
		.amdhsa_next_free_sgpr 32
		.amdhsa_accum_offset 28
		.amdhsa_reserve_vcc 1
		.amdhsa_float_round_mode_32 0
		.amdhsa_float_round_mode_16_64 0
		.amdhsa_float_denorm_mode_32 3
		.amdhsa_float_denorm_mode_16_64 3
		.amdhsa_dx10_clamp 1
		.amdhsa_ieee_mode 1
		.amdhsa_fp16_overflow 0
		.amdhsa_tg_split 0
		.amdhsa_exception_fp_ieee_invalid_op 0
		.amdhsa_exception_fp_denorm_src 0
		.amdhsa_exception_fp_ieee_div_zero 0
		.amdhsa_exception_fp_ieee_overflow 0
		.amdhsa_exception_fp_ieee_underflow 0
		.amdhsa_exception_fp_ieee_inexact 0
		.amdhsa_exception_int_div_zero 0
	.end_amdhsa_kernel
	.section	.text._ZL23rocblas_trmm_rNx_kernelILi32EfPKfKS1_KPfEv13rocblas_fill_17rocblas_diagonal_iiT1_lPT2_llS9_llPT3_lli,"axG",@progbits,_ZL23rocblas_trmm_rNx_kernelILi32EfPKfKS1_KPfEv13rocblas_fill_17rocblas_diagonal_iiT1_lPT2_llS9_llPT3_lli,comdat
.Lfunc_end150:
	.size	_ZL23rocblas_trmm_rNx_kernelILi32EfPKfKS1_KPfEv13rocblas_fill_17rocblas_diagonal_iiT1_lPT2_llS9_llPT3_lli, .Lfunc_end150-_ZL23rocblas_trmm_rNx_kernelILi32EfPKfKS1_KPfEv13rocblas_fill_17rocblas_diagonal_iiT1_lPT2_llS9_llPT3_lli
                                        ; -- End function
	.set _ZL23rocblas_trmm_rNx_kernelILi32EfPKfKS1_KPfEv13rocblas_fill_17rocblas_diagonal_iiT1_lPT2_llS9_llPT3_lli.num_vgpr, 27
	.set _ZL23rocblas_trmm_rNx_kernelILi32EfPKfKS1_KPfEv13rocblas_fill_17rocblas_diagonal_iiT1_lPT2_llS9_llPT3_lli.num_agpr, 0
	.set _ZL23rocblas_trmm_rNx_kernelILi32EfPKfKS1_KPfEv13rocblas_fill_17rocblas_diagonal_iiT1_lPT2_llS9_llPT3_lli.numbered_sgpr, 32
	.set _ZL23rocblas_trmm_rNx_kernelILi32EfPKfKS1_KPfEv13rocblas_fill_17rocblas_diagonal_iiT1_lPT2_llS9_llPT3_lli.num_named_barrier, 0
	.set _ZL23rocblas_trmm_rNx_kernelILi32EfPKfKS1_KPfEv13rocblas_fill_17rocblas_diagonal_iiT1_lPT2_llS9_llPT3_lli.private_seg_size, 0
	.set _ZL23rocblas_trmm_rNx_kernelILi32EfPKfKS1_KPfEv13rocblas_fill_17rocblas_diagonal_iiT1_lPT2_llS9_llPT3_lli.uses_vcc, 1
	.set _ZL23rocblas_trmm_rNx_kernelILi32EfPKfKS1_KPfEv13rocblas_fill_17rocblas_diagonal_iiT1_lPT2_llS9_llPT3_lli.uses_flat_scratch, 0
	.set _ZL23rocblas_trmm_rNx_kernelILi32EfPKfKS1_KPfEv13rocblas_fill_17rocblas_diagonal_iiT1_lPT2_llS9_llPT3_lli.has_dyn_sized_stack, 0
	.set _ZL23rocblas_trmm_rNx_kernelILi32EfPKfKS1_KPfEv13rocblas_fill_17rocblas_diagonal_iiT1_lPT2_llS9_llPT3_lli.has_recursion, 0
	.set _ZL23rocblas_trmm_rNx_kernelILi32EfPKfKS1_KPfEv13rocblas_fill_17rocblas_diagonal_iiT1_lPT2_llS9_llPT3_lli.has_indirect_call, 0
	.section	.AMDGPU.csdata,"",@progbits
; Kernel info:
; codeLenInByte = 1132
; TotalNumSgprs: 38
; NumVgprs: 27
; NumAgprs: 0
; TotalNumVgprs: 27
; ScratchSize: 0
; MemoryBound: 0
; FloatMode: 240
; IeeeMode: 1
; LDSByteSize: 8192 bytes/workgroup (compile time only)
; SGPRBlocks: 4
; VGPRBlocks: 3
; NumSGPRsForWavesPerEU: 38
; NumVGPRsForWavesPerEU: 27
; AccumOffset: 28
; Occupancy: 8
; WaveLimiterHint : 1
; COMPUTE_PGM_RSRC2:SCRATCH_EN: 0
; COMPUTE_PGM_RSRC2:USER_SGPR: 2
; COMPUTE_PGM_RSRC2:TRAP_HANDLER: 0
; COMPUTE_PGM_RSRC2:TGID_X_EN: 1
; COMPUTE_PGM_RSRC2:TGID_Y_EN: 0
; COMPUTE_PGM_RSRC2:TGID_Z_EN: 1
; COMPUTE_PGM_RSRC2:TIDIG_COMP_CNT: 1
; COMPUTE_PGM_RSRC3_GFX90A:ACCUM_OFFSET: 6
; COMPUTE_PGM_RSRC3_GFX90A:TG_SPLIT: 0
	.section	.text._ZL23rocblas_trmm_rNx_kernelILi32EffKPKfKPfEv13rocblas_fill_17rocblas_diagonal_iiT1_lPT2_llS9_llPT3_lli,"axG",@progbits,_ZL23rocblas_trmm_rNx_kernelILi32EffKPKfKPfEv13rocblas_fill_17rocblas_diagonal_iiT1_lPT2_llS9_llPT3_lli,comdat
	.globl	_ZL23rocblas_trmm_rNx_kernelILi32EffKPKfKPfEv13rocblas_fill_17rocblas_diagonal_iiT1_lPT2_llS9_llPT3_lli ; -- Begin function _ZL23rocblas_trmm_rNx_kernelILi32EffKPKfKPfEv13rocblas_fill_17rocblas_diagonal_iiT1_lPT2_llS9_llPT3_lli
	.p2align	8
	.type	_ZL23rocblas_trmm_rNx_kernelILi32EffKPKfKPfEv13rocblas_fill_17rocblas_diagonal_iiT1_lPT2_llS9_llPT3_lli,@function
_ZL23rocblas_trmm_rNx_kernelILi32EffKPKfKPfEv13rocblas_fill_17rocblas_diagonal_iiT1_lPT2_llS9_llPT3_lli: ; @_ZL23rocblas_trmm_rNx_kernelILi32EffKPKfKPfEv13rocblas_fill_17rocblas_diagonal_iiT1_lPT2_llS9_llPT3_lli
; %bb.0:
	s_load_dword s30, s[0:1], 0x10
	s_mov_b32 s5, 0
	s_waitcnt lgkmcnt(0)
	v_cmp_eq_f32_e64 s[6:7], s30, 0
	s_and_b64 vcc, exec, s[6:7]
	s_cbranch_vccnz .LBB151_15
; %bb.1:
	s_load_dwordx16 s[8:23], s[0:1], 0x20
	s_load_dwordx4 s[24:27], s[0:1], 0x0
	s_mov_b32 s4, s3
	s_lshl_b64 s[28:29], s[4:5], 3
	v_and_b32_e32 v5, 0x3ff, v0
	s_waitcnt lgkmcnt(0)
	s_add_u32 s4, s14, s28
	s_addc_u32 s5, s15, s29
	s_load_dwordx2 s[14:15], s[4:5], 0x0
	s_add_u32 s4, s20, s28
	s_addc_u32 s5, s21, s29
	s_load_dwordx2 s[6:7], s[4:5], 0x0
	v_bfe_u32 v2, v0, 10, 10
	v_lshlrev_b32_e32 v3, 5, v2
	v_cmp_gt_i32_e32 vcc, s27, v2
	v_cmp_gt_i32_e64 s[4:5], s27, v5
	v_add_lshl_u32 v4, v3, v5, 2
	v_mov_b32_e32 v1, 0
	s_and_b64 s[20:21], vcc, s[4:5]
	v_lshlrev_b32_e32 v0, 2, v5
	ds_write2st64_b32 v4, v1, v1 offset1:16
	s_and_saveexec_b64 s[4:5], s[20:21]
	s_cbranch_execz .LBB151_3
; %bb.2:
	s_add_u32 s8, s8, s28
	s_addc_u32 s9, s9, s29
	s_load_dwordx2 s[8:9], s[8:9], 0x0
	v_mad_u64_u32 v[6:7], s[20:21], s10, v2, 0
	s_lshl_b64 s[12:13], s[12:13], 2
	v_mov_b32_e32 v8, v7
	s_waitcnt lgkmcnt(0)
	s_add_u32 s8, s8, s12
	v_mad_u64_u32 v[8:9], s[10:11], s11, v2, v[8:9]
	s_addc_u32 s9, s9, s13
	v_mov_b32_e32 v7, v8
	v_lshl_add_u64 v[6:7], v[6:7], 2, s[8:9]
	v_lshl_add_u64 v[6:7], v[6:7], 0, v[0:1]
	flat_load_dword v1, v[6:7]
	s_waitcnt vmcnt(0) lgkmcnt(0)
	ds_write_b32 v4, v1
.LBB151_3:
	s_or_b64 exec, exec, s[4:5]
	s_add_i32 s3, s26, -1
	s_ashr_i32 s4, s3, 31
	s_lshr_b32 s4, s4, 27
	s_add_i32 s3, s3, s4
	s_ashr_i32 s4, s3, 5
	s_andn2_b32 s3, s3, 31
	s_sub_i32 s3, s26, s3
	s_cmp_ge_i32 s2, s4
	s_cselect_b32 s3, s3, 32
	s_lshl_b32 s4, s2, 5
	v_cmp_gt_i32_e64 s[2:3], s3, v5
	s_ashr_i32 s5, s4, 31
	s_and_b64 s[2:3], vcc, s[2:3]
	s_and_saveexec_b64 s[8:9], s[2:3]
	s_cbranch_execz .LBB151_5
; %bb.4:
	s_lshl_b64 s[10:11], s[18:19], 2
	s_waitcnt lgkmcnt(0)
	s_add_u32 s12, s14, s10
	s_addc_u32 s13, s15, s11
	s_lshl_b64 s[10:11], s[4:5], 2
	s_add_u32 s10, s12, s10
	s_addc_u32 s11, s13, s11
	v_mad_u64_u32 v[6:7], s[12:13], s16, v2, 0
	v_mov_b32_e32 v8, v7
	v_mad_u64_u32 v[8:9], s[12:13], s17, v2, v[8:9]
	v_mov_b32_e32 v7, v8
	v_lshl_add_u64 v[6:7], v[6:7], 2, s[10:11]
	v_mov_b32_e32 v1, 0
	v_lshl_add_u64 v[6:7], v[6:7], 0, v[0:1]
	flat_load_dword v1, v[6:7]
	v_add_u32_e32 v6, 0x1000, v4
	s_waitcnt vmcnt(0) lgkmcnt(0)
	ds_write_b32 v6, v1
.LBB151_5:
	s_or_b64 exec, exec, s[8:9]
	s_cmpk_eq_i32 s25, 0x84
	s_cselect_b64 s[8:9], -1, 0
	v_cmp_eq_u32_e32 vcc, v2, v5
	s_and_b64 s[10:11], vcc, s[8:9]
	s_and_saveexec_b64 s[8:9], s[10:11]
; %bb.6:
	v_mov_b32_e32 v1, 1.0
	ds_write_b32 v4, v1
; %bb.7:
	s_or_b64 exec, exec, s[8:9]
	s_cmpk_lg_i32 s24, 0x79
	s_cbranch_scc0 .LBB151_9
; %bb.8:
	v_cmp_lt_u32_e32 vcc, v5, v2
	s_and_b64 s[8:9], vcc, exec
	s_cbranch_execz .LBB151_10
	s_branch .LBB151_11
.LBB151_9:
	s_mov_b64 s[8:9], 0
.LBB151_10:
	v_cmp_gt_u32_e32 vcc, v5, v2
	s_andn2_b64 s[8:9], s[8:9], exec
	s_and_b64 s[10:11], vcc, exec
	s_or_b64 s[8:9], s[8:9], s[10:11]
.LBB151_11:
	s_and_saveexec_b64 s[10:11], s[8:9]
; %bb.12:
	v_mov_b32_e32 v1, 0
	ds_write_b32 v4, v1
; %bb.13:
	s_or_b64 exec, exec, s[10:11]
	s_waitcnt lgkmcnt(0)
	s_barrier
	s_and_saveexec_b64 s[8:9], s[2:3]
	s_cbranch_execz .LBB151_15
; %bb.14:
	v_add_u32_e32 v26, 0x1000, v0
	ds_read2_b32 v[20:21], v26 offset1:32
	v_lshlrev_b32_e32 v3, 2, v3
	ds_read_b128 v[4:7], v3
	ds_read_b128 v[8:11], v3 offset:16
	ds_read_b128 v[12:15], v3 offset:32
	ds_read_b128 v[16:19], v3 offset:48
	ds_read2_b32 v[22:23], v26 offset0:64 offset1:96
	ds_read2_b32 v[24:25], v26 offset0:128 offset1:160
	s_load_dwordx2 s[0:1], s[0:1], 0x60
	s_waitcnt lgkmcnt(0)
	v_fma_f32 v20, v20, v4, 0
	v_fmac_f32_e32 v20, v21, v5
	ds_read2_b32 v[4:5], v26 offset0:192 offset1:224
	v_fmac_f32_e32 v20, v22, v6
	v_add_u32_e32 v21, 0x1400, v0
	v_fmac_f32_e32 v20, v23, v7
	ds_read2_b32 v[6:7], v21 offset1:32
	v_fmac_f32_e32 v20, v24, v8
	v_fmac_f32_e32 v20, v25, v9
	ds_read2_b32 v[8:9], v21 offset0:64 offset1:96
	s_waitcnt lgkmcnt(2)
	v_fmac_f32_e32 v20, v4, v10
	v_fmac_f32_e32 v20, v5, v11
	ds_read2_b32 v[4:5], v21 offset0:128 offset1:160
	s_waitcnt lgkmcnt(2)
	v_fmac_f32_e32 v20, v6, v12
	v_fmac_f32_e32 v20, v7, v13
	s_waitcnt lgkmcnt(1)
	v_fmac_f32_e32 v20, v8, v14
	v_fmac_f32_e32 v20, v9, v15
	ds_read2_b32 v[8:9], v21 offset0:192 offset1:224
	s_waitcnt lgkmcnt(1)
	v_fmac_f32_e32 v20, v4, v16
	v_add_u32_e32 v21, 0x1800, v0
	v_fmac_f32_e32 v20, v5, v17
	ds_read2_b32 v[12:13], v21 offset1:32
	ds_read_b128 v[4:7], v3 offset:64
	s_waitcnt lgkmcnt(2)
	v_fmac_f32_e32 v20, v8, v18
	v_fmac_f32_e32 v20, v9, v19
	ds_read2_b32 v[14:15], v21 offset0:64 offset1:96
	ds_read_b128 v[8:11], v3 offset:80
	ds_read2_b32 v[16:17], v21 offset0:128 offset1:160
	s_waitcnt lgkmcnt(3)
	v_fmac_f32_e32 v20, v12, v4
	v_fmac_f32_e32 v20, v13, v5
	ds_read2_b32 v[4:5], v21 offset0:192 offset1:224
	s_waitcnt lgkmcnt(3)
	v_fmac_f32_e32 v20, v14, v6
	v_fmac_f32_e32 v20, v15, v7
	s_waitcnt lgkmcnt(1)
	v_pk_mul_f32 v[6:7], v[16:17], v[8:9]
	v_add_u32_e32 v16, 0x1c00, v0
	v_add_f32_e32 v6, v20, v6
	v_add_f32_e32 v14, v6, v7
	s_waitcnt lgkmcnt(0)
	v_pk_mul_f32 v[8:9], v[4:5], v[10:11]
	ds_read2_b32 v[12:13], v16 offset1:32
	ds_read_b128 v[4:7], v3 offset:96
	v_add_f32_e32 v8, v14, v8
	v_add_f32_e32 v17, v8, v9
	ds_read2_b32 v[14:15], v16 offset0:64 offset1:96
	ds_read_b128 v[8:11], v3 offset:112
	s_lshl_b64 s[0:1], s[0:1], 2
	s_waitcnt lgkmcnt(2)
	v_pk_mul_f32 v[4:5], v[12:13], v[4:5]
	ds_read2_b32 v[12:13], v16 offset0:192 offset1:224
	v_add_f32_e32 v3, v17, v4
	v_add_f32_e32 v3, v3, v5
	ds_read2_b32 v[4:5], v16 offset0:128 offset1:160
	s_waitcnt lgkmcnt(3)
	v_pk_mul_f32 v[6:7], v[14:15], v[6:7]
	s_add_u32 s2, s6, s0
	v_add_f32_e32 v3, v3, v6
	v_add_f32_e32 v3, v3, v7
	s_waitcnt lgkmcnt(0)
	v_pk_mul_f32 v[4:5], v[4:5], v[8:9]
	s_addc_u32 s3, s7, s1
	v_add_f32_e32 v3, v3, v4
	s_lshl_b64 s[0:1], s[4:5], 2
	v_add_f32_e32 v3, v3, v5
	v_pk_mul_f32 v[4:5], v[12:13], v[10:11]
	s_add_u32 s0, s2, s0
	v_add_f32_e32 v3, v3, v4
	s_addc_u32 s1, s3, s1
	v_add_f32_e32 v3, v3, v5
	v_mad_u64_u32 v[4:5], s[2:3], s22, v2, 0
	v_mul_f32_e32 v7, s30, v3
	v_mov_b32_e32 v6, v5
	v_mad_u64_u32 v[2:3], s[2:3], s23, v2, v[6:7]
	v_mov_b32_e32 v5, v2
	v_mov_b32_e32 v1, 0
	v_lshl_add_u64 v[2:3], v[4:5], 2, s[0:1]
	v_lshl_add_u64 v[0:1], v[2:3], 0, v[0:1]
	flat_store_dword v[0:1], v7
.LBB151_15:
	s_endpgm
	.section	.rodata,"a",@progbits
	.p2align	6, 0x0
	.amdhsa_kernel _ZL23rocblas_trmm_rNx_kernelILi32EffKPKfKPfEv13rocblas_fill_17rocblas_diagonal_iiT1_lPT2_llS9_llPT3_lli
		.amdhsa_group_segment_fixed_size 8192
		.amdhsa_private_segment_fixed_size 0
		.amdhsa_kernarg_size 108
		.amdhsa_user_sgpr_count 2
		.amdhsa_user_sgpr_dispatch_ptr 0
		.amdhsa_user_sgpr_queue_ptr 0
		.amdhsa_user_sgpr_kernarg_segment_ptr 1
		.amdhsa_user_sgpr_dispatch_id 0
		.amdhsa_user_sgpr_kernarg_preload_length 0
		.amdhsa_user_sgpr_kernarg_preload_offset 0
		.amdhsa_user_sgpr_private_segment_size 0
		.amdhsa_uses_dynamic_stack 0
		.amdhsa_enable_private_segment 0
		.amdhsa_system_sgpr_workgroup_id_x 1
		.amdhsa_system_sgpr_workgroup_id_y 0
		.amdhsa_system_sgpr_workgroup_id_z 1
		.amdhsa_system_sgpr_workgroup_info 0
		.amdhsa_system_vgpr_workitem_id 1
		.amdhsa_next_free_vgpr 27
		.amdhsa_next_free_sgpr 31
		.amdhsa_accum_offset 28
		.amdhsa_reserve_vcc 1
		.amdhsa_float_round_mode_32 0
		.amdhsa_float_round_mode_16_64 0
		.amdhsa_float_denorm_mode_32 3
		.amdhsa_float_denorm_mode_16_64 3
		.amdhsa_dx10_clamp 1
		.amdhsa_ieee_mode 1
		.amdhsa_fp16_overflow 0
		.amdhsa_tg_split 0
		.amdhsa_exception_fp_ieee_invalid_op 0
		.amdhsa_exception_fp_denorm_src 0
		.amdhsa_exception_fp_ieee_div_zero 0
		.amdhsa_exception_fp_ieee_overflow 0
		.amdhsa_exception_fp_ieee_underflow 0
		.amdhsa_exception_fp_ieee_inexact 0
		.amdhsa_exception_int_div_zero 0
	.end_amdhsa_kernel
	.section	.text._ZL23rocblas_trmm_rNx_kernelILi32EffKPKfKPfEv13rocblas_fill_17rocblas_diagonal_iiT1_lPT2_llS9_llPT3_lli,"axG",@progbits,_ZL23rocblas_trmm_rNx_kernelILi32EffKPKfKPfEv13rocblas_fill_17rocblas_diagonal_iiT1_lPT2_llS9_llPT3_lli,comdat
.Lfunc_end151:
	.size	_ZL23rocblas_trmm_rNx_kernelILi32EffKPKfKPfEv13rocblas_fill_17rocblas_diagonal_iiT1_lPT2_llS9_llPT3_lli, .Lfunc_end151-_ZL23rocblas_trmm_rNx_kernelILi32EffKPKfKPfEv13rocblas_fill_17rocblas_diagonal_iiT1_lPT2_llS9_llPT3_lli
                                        ; -- End function
	.set _ZL23rocblas_trmm_rNx_kernelILi32EffKPKfKPfEv13rocblas_fill_17rocblas_diagonal_iiT1_lPT2_llS9_llPT3_lli.num_vgpr, 27
	.set _ZL23rocblas_trmm_rNx_kernelILi32EffKPKfKPfEv13rocblas_fill_17rocblas_diagonal_iiT1_lPT2_llS9_llPT3_lli.num_agpr, 0
	.set _ZL23rocblas_trmm_rNx_kernelILi32EffKPKfKPfEv13rocblas_fill_17rocblas_diagonal_iiT1_lPT2_llS9_llPT3_lli.numbered_sgpr, 31
	.set _ZL23rocblas_trmm_rNx_kernelILi32EffKPKfKPfEv13rocblas_fill_17rocblas_diagonal_iiT1_lPT2_llS9_llPT3_lli.num_named_barrier, 0
	.set _ZL23rocblas_trmm_rNx_kernelILi32EffKPKfKPfEv13rocblas_fill_17rocblas_diagonal_iiT1_lPT2_llS9_llPT3_lli.private_seg_size, 0
	.set _ZL23rocblas_trmm_rNx_kernelILi32EffKPKfKPfEv13rocblas_fill_17rocblas_diagonal_iiT1_lPT2_llS9_llPT3_lli.uses_vcc, 1
	.set _ZL23rocblas_trmm_rNx_kernelILi32EffKPKfKPfEv13rocblas_fill_17rocblas_diagonal_iiT1_lPT2_llS9_llPT3_lli.uses_flat_scratch, 0
	.set _ZL23rocblas_trmm_rNx_kernelILi32EffKPKfKPfEv13rocblas_fill_17rocblas_diagonal_iiT1_lPT2_llS9_llPT3_lli.has_dyn_sized_stack, 0
	.set _ZL23rocblas_trmm_rNx_kernelILi32EffKPKfKPfEv13rocblas_fill_17rocblas_diagonal_iiT1_lPT2_llS9_llPT3_lli.has_recursion, 0
	.set _ZL23rocblas_trmm_rNx_kernelILi32EffKPKfKPfEv13rocblas_fill_17rocblas_diagonal_iiT1_lPT2_llS9_llPT3_lli.has_indirect_call, 0
	.section	.AMDGPU.csdata,"",@progbits
; Kernel info:
; codeLenInByte = 1092
; TotalNumSgprs: 37
; NumVgprs: 27
; NumAgprs: 0
; TotalNumVgprs: 27
; ScratchSize: 0
; MemoryBound: 0
; FloatMode: 240
; IeeeMode: 1
; LDSByteSize: 8192 bytes/workgroup (compile time only)
; SGPRBlocks: 4
; VGPRBlocks: 3
; NumSGPRsForWavesPerEU: 37
; NumVGPRsForWavesPerEU: 27
; AccumOffset: 28
; Occupancy: 8
; WaveLimiterHint : 1
; COMPUTE_PGM_RSRC2:SCRATCH_EN: 0
; COMPUTE_PGM_RSRC2:USER_SGPR: 2
; COMPUTE_PGM_RSRC2:TRAP_HANDLER: 0
; COMPUTE_PGM_RSRC2:TGID_X_EN: 1
; COMPUTE_PGM_RSRC2:TGID_Y_EN: 0
; COMPUTE_PGM_RSRC2:TGID_Z_EN: 1
; COMPUTE_PGM_RSRC2:TIDIG_COMP_CNT: 1
; COMPUTE_PGM_RSRC3_GFX90A:ACCUM_OFFSET: 6
; COMPUTE_PGM_RSRC3_GFX90A:TG_SPLIT: 0
	.section	.text._ZL23rocblas_trmm_rTx_kernelILi32ELb0EfPKfKS1_KPfEv13rocblas_fill_17rocblas_diagonal_iiT2_lPT3_llS9_llPT4_lli,"axG",@progbits,_ZL23rocblas_trmm_rTx_kernelILi32ELb0EfPKfKS1_KPfEv13rocblas_fill_17rocblas_diagonal_iiT2_lPT3_llS9_llPT4_lli,comdat
	.globl	_ZL23rocblas_trmm_rTx_kernelILi32ELb0EfPKfKS1_KPfEv13rocblas_fill_17rocblas_diagonal_iiT2_lPT3_llS9_llPT4_lli ; -- Begin function _ZL23rocblas_trmm_rTx_kernelILi32ELb0EfPKfKS1_KPfEv13rocblas_fill_17rocblas_diagonal_iiT2_lPT3_llS9_llPT4_lli
	.p2align	8
	.type	_ZL23rocblas_trmm_rTx_kernelILi32ELb0EfPKfKS1_KPfEv13rocblas_fill_17rocblas_diagonal_iiT2_lPT3_llS9_llPT4_lli,@function
_ZL23rocblas_trmm_rTx_kernelILi32ELb0EfPKfKS1_KPfEv13rocblas_fill_17rocblas_diagonal_iiT2_lPT3_llS9_llPT4_lli: ; @_ZL23rocblas_trmm_rTx_kernelILi32ELb0EfPKfKS1_KPfEv13rocblas_fill_17rocblas_diagonal_iiT2_lPT3_llS9_llPT4_lli
; %bb.0:
	s_load_dwordx16 s[4:19], s[0:1], 0x10
	s_mov_b32 s24, s3
	s_waitcnt lgkmcnt(0)
	s_mul_i32 s3, s7, s3
	s_mul_hi_u32 s7, s6, s24
	s_add_i32 s7, s7, s3
	s_mul_i32 s6, s6, s24
	s_lshl_b64 s[6:7], s[6:7], 2
	s_add_u32 s4, s4, s6
	s_addc_u32 s5, s5, s7
	s_load_dword s28, s[4:5], 0x0
	s_waitcnt lgkmcnt(0)
	v_cmp_eq_f32_e64 s[4:5], s28, 0
	s_and_b64 vcc, exec, s[4:5]
	s_cbranch_vccnz .LBB152_15
; %bb.1:
	s_load_dwordx4 s[20:23], s[0:1], 0x0
	s_load_dwordx4 s[4:7], s[0:1], 0x50
	s_mov_b32 s25, 0
	s_lshl_b64 s[26:27], s[24:25], 3
	s_add_u32 s14, s14, s26
	s_addc_u32 s15, s15, s27
	s_waitcnt lgkmcnt(0)
	s_add_u32 s4, s4, s26
	s_addc_u32 s5, s5, s27
	s_load_dwordx2 s[24:25], s[14:15], 0x0
	v_and_b32_e32 v4, 0x3ff, v0
	s_load_dwordx2 s[14:15], s[4:5], 0x0
	v_bfe_u32 v2, v0, 10, 10
	v_lshlrev_b32_e32 v0, 5, v2
	v_cmp_gt_i32_e32 vcc, s23, v2
	v_cmp_gt_i32_e64 s[4:5], s23, v4
	v_add_lshl_u32 v3, v0, v4, 2
	v_mov_b32_e32 v1, 0
	s_and_b64 s[30:31], vcc, s[4:5]
	v_lshlrev_b32_e32 v0, 2, v4
	ds_write2st64_b32 v3, v1, v1 offset1:16
	s_and_saveexec_b64 s[4:5], s[30:31]
	s_cbranch_execz .LBB152_3
; %bb.2:
	s_add_u32 s8, s8, s26
	s_addc_u32 s9, s9, s27
	s_load_dwordx2 s[8:9], s[8:9], 0x0
	v_mad_u64_u32 v[6:7], s[26:27], s10, v2, 0
	s_lshl_b64 s[12:13], s[12:13], 2
	v_mov_b32_e32 v8, v7
	s_waitcnt lgkmcnt(0)
	s_add_u32 s8, s8, s12
	v_mad_u64_u32 v[8:9], s[10:11], s11, v2, v[8:9]
	s_addc_u32 s9, s9, s13
	v_mov_b32_e32 v7, v8
	v_lshl_add_u64 v[6:7], v[6:7], 2, s[8:9]
	v_lshl_add_u64 v[6:7], v[6:7], 0, v[0:1]
	flat_load_dword v1, v[6:7]
	s_waitcnt vmcnt(0) lgkmcnt(0)
	ds_write_b32 v3, v1
.LBB152_3:
	s_or_b64 exec, exec, s[4:5]
	s_add_i32 s3, s22, -1
	s_ashr_i32 s4, s3, 31
	s_lshr_b32 s4, s4, 27
	s_add_i32 s3, s3, s4
	s_ashr_i32 s4, s3, 5
	s_andn2_b32 s3, s3, 31
	s_sub_i32 s3, s22, s3
	s_cmp_ge_i32 s2, s4
	s_cselect_b32 s3, s3, 32
	s_lshl_b32 s4, s2, 5
	v_cmp_gt_i32_e64 s[2:3], s3, v4
	s_ashr_i32 s5, s4, 31
	s_and_b64 s[2:3], vcc, s[2:3]
	s_and_saveexec_b64 s[8:9], s[2:3]
	s_cbranch_execz .LBB152_5
; %bb.4:
	s_lshl_b64 s[10:11], s[18:19], 2
	s_waitcnt lgkmcnt(0)
	s_add_u32 s12, s24, s10
	s_addc_u32 s13, s25, s11
	s_lshl_b64 s[10:11], s[4:5], 2
	s_add_u32 s10, s12, s10
	s_addc_u32 s11, s13, s11
	v_mad_u64_u32 v[6:7], s[12:13], s16, v2, 0
	v_mov_b32_e32 v8, v7
	v_mad_u64_u32 v[8:9], s[12:13], s17, v2, v[8:9]
	v_mov_b32_e32 v7, v8
	v_lshl_add_u64 v[6:7], v[6:7], 2, s[10:11]
	v_mov_b32_e32 v1, 0
	v_lshl_add_u64 v[6:7], v[6:7], 0, v[0:1]
	flat_load_dword v1, v[6:7]
	v_add_u32_e32 v5, 0x1000, v3
	s_waitcnt vmcnt(0) lgkmcnt(0)
	ds_write_b32 v5, v1
.LBB152_5:
	s_or_b64 exec, exec, s[8:9]
	s_cmpk_eq_i32 s21, 0x84
	s_cselect_b64 s[8:9], -1, 0
	v_cmp_eq_u32_e32 vcc, v2, v4
	s_and_b64 s[10:11], vcc, s[8:9]
	s_and_saveexec_b64 s[8:9], s[10:11]
; %bb.6:
	v_mov_b32_e32 v1, 1.0
	ds_write_b32 v3, v1
; %bb.7:
	s_or_b64 exec, exec, s[8:9]
	s_cmpk_lg_i32 s20, 0x79
	s_cbranch_scc0 .LBB152_9
; %bb.8:
	v_cmp_lt_u32_e32 vcc, v4, v2
	s_and_b64 s[8:9], vcc, exec
	s_cbranch_execz .LBB152_10
	s_branch .LBB152_11
.LBB152_9:
	s_mov_b64 s[8:9], 0
.LBB152_10:
	v_cmp_gt_u32_e32 vcc, v4, v2
	s_andn2_b64 s[8:9], s[8:9], exec
	s_and_b64 s[10:11], vcc, exec
	s_or_b64 s[8:9], s[8:9], s[10:11]
.LBB152_11:
	s_and_saveexec_b64 s[10:11], s[8:9]
; %bb.12:
	v_mov_b32_e32 v1, 0
	ds_write_b32 v3, v1
; %bb.13:
	s_or_b64 exec, exec, s[10:11]
	s_waitcnt lgkmcnt(0)
	s_barrier
	s_and_saveexec_b64 s[8:9], s[2:3]
	s_cbranch_execz .LBB152_15
; %bb.14:
	v_add_u32_e32 v3, 0x1000, v0
	v_lshlrev_b32_e32 v16, 2, v2
	ds_read2_b32 v[4:5], v3 offset1:32
	ds_read2_b32 v[6:7], v16 offset1:32
	v_add_u32_e32 v18, 0x400, v16
	s_load_dwordx2 s[0:1], s[0:1], 0x60
	v_mov_b32_e32 v1, 0
	s_waitcnt lgkmcnt(0)
	v_fma_f32 v17, v4, v6, 0
	v_fmac_f32_e32 v17, v5, v7
	ds_read2_b32 v[4:5], v3 offset0:64 offset1:96
	ds_read2_b32 v[6:7], v16 offset0:64 offset1:96
	ds_read2_b32 v[8:9], v3 offset0:128 offset1:160
	ds_read2_b32 v[10:11], v16 offset0:128 offset1:160
	ds_read2_b32 v[12:13], v3 offset0:192 offset1:224
	ds_read2_b32 v[14:15], v16 offset0:192 offset1:224
	s_waitcnt lgkmcnt(4)
	v_fmac_f32_e32 v17, v4, v6
	v_add_u32_e32 v3, 0x1400, v0
	v_fmac_f32_e32 v17, v5, v7
	ds_read2_b32 v[4:5], v3 offset1:32
	s_waitcnt lgkmcnt(3)
	v_fmac_f32_e32 v17, v8, v10
	v_fmac_f32_e32 v17, v9, v11
	s_waitcnt lgkmcnt(1)
	v_fmac_f32_e32 v17, v12, v14
	v_fmac_f32_e32 v17, v13, v15
	ds_read2_b32 v[6:7], v18 offset1:32
	ds_read2_b32 v[8:9], v3 offset0:64 offset1:96
	ds_read2_b32 v[10:11], v18 offset0:64 offset1:96
	;; [unrolled: 1-line block ×4, first 2 shown]
	s_waitcnt lgkmcnt(4)
	v_fmac_f32_e32 v17, v4, v6
	v_fmac_f32_e32 v17, v5, v7
	s_waitcnt lgkmcnt(2)
	v_fmac_f32_e32 v17, v8, v10
	v_fmac_f32_e32 v17, v9, v11
	ds_read2_b32 v[4:5], v3 offset0:192 offset1:224
	ds_read2_b32 v[6:7], v18 offset0:192 offset1:224
	s_waitcnt lgkmcnt(2)
	v_fmac_f32_e32 v17, v12, v14
	v_add_u32_e32 v3, 0x1800, v0
	v_add_u32_e32 v14, 0x800, v16
	ds_read2_b32 v[8:9], v3 offset1:32
	ds_read2_b32 v[10:11], v14 offset1:32
	v_fmac_f32_e32 v17, v13, v15
	s_waitcnt lgkmcnt(2)
	v_fmac_f32_e32 v17, v4, v6
	v_fmac_f32_e32 v17, v5, v7
	ds_read2_b32 v[4:5], v3 offset0:64 offset1:96
	ds_read2_b32 v[6:7], v14 offset0:64 offset1:96
	s_waitcnt lgkmcnt(2)
	v_fmac_f32_e32 v17, v8, v10
	v_fmac_f32_e32 v17, v9, v11
	ds_read2_b32 v[8:9], v3 offset0:128 offset1:160
	ds_read2_b32 v[10:11], v14 offset0:128 offset1:160
	ds_read2_b32 v[12:13], v3 offset0:192 offset1:224
	ds_read2_b32 v[14:15], v14 offset0:192 offset1:224
	s_waitcnt lgkmcnt(4)
	v_fmac_f32_e32 v17, v4, v6
	v_fmac_f32_e32 v17, v5, v7
	s_lshl_b64 s[0:1], s[0:1], 2
	s_waitcnt lgkmcnt(2)
	v_pk_mul_f32 v[4:5], v[8:9], v[10:11]
	s_add_u32 s2, s14, s0
	v_add_f32_e32 v3, v17, v4
	v_add_f32_e32 v3, v3, v5
	s_waitcnt lgkmcnt(0)
	v_pk_mul_f32 v[4:5], v[12:13], v[14:15]
	v_add_u32_e32 v14, 0x1c00, v0
	v_add_u32_e32 v15, 0xc00, v16
	ds_read2_b32 v[6:7], v14 offset1:32
	ds_read2_b32 v[8:9], v15 offset1:32
	ds_read2_b32 v[10:11], v14 offset0:64 offset1:96
	ds_read2_b32 v[12:13], v15 offset0:64 offset1:96
	v_add_f32_e32 v3, v3, v4
	v_add_f32_e32 v3, v3, v5
	s_addc_u32 s3, s15, s1
	s_waitcnt lgkmcnt(2)
	v_pk_mul_f32 v[4:5], v[6:7], v[8:9]
	ds_read2_b32 v[6:7], v14 offset0:128 offset1:160
	ds_read2_b32 v[8:9], v15 offset0:128 offset1:160
	v_add_f32_e32 v3, v3, v4
	v_add_f32_e32 v3, v3, v5
	s_waitcnt lgkmcnt(2)
	v_pk_mul_f32 v[4:5], v[10:11], v[12:13]
	ds_read2_b32 v[10:11], v14 offset0:192 offset1:224
	ds_read2_b32 v[12:13], v15 offset0:192 offset1:224
	v_add_f32_e32 v3, v3, v4
	v_add_f32_e32 v3, v3, v5
	s_waitcnt lgkmcnt(2)
	v_pk_mul_f32 v[4:5], v[6:7], v[8:9]
	s_lshl_b64 s[0:1], s[4:5], 2
	v_add_f32_e32 v3, v3, v4
	v_add_f32_e32 v3, v3, v5
	s_waitcnt lgkmcnt(0)
	v_pk_mul_f32 v[4:5], v[10:11], v[12:13]
	s_add_u32 s0, s2, s0
	v_add_f32_e32 v3, v3, v4
	s_addc_u32 s1, s3, s1
	v_add_f32_e32 v3, v3, v5
	v_mad_u64_u32 v[4:5], s[2:3], s6, v2, 0
	v_mul_f32_e32 v7, s28, v3
	v_mov_b32_e32 v6, v5
	v_mad_u64_u32 v[2:3], s[2:3], s7, v2, v[6:7]
	v_mov_b32_e32 v5, v2
	v_lshl_add_u64 v[2:3], v[4:5], 2, s[0:1]
	v_lshl_add_u64 v[0:1], v[2:3], 0, v[0:1]
	flat_store_dword v[0:1], v7
.LBB152_15:
	s_endpgm
	.section	.rodata,"a",@progbits
	.p2align	6, 0x0
	.amdhsa_kernel _ZL23rocblas_trmm_rTx_kernelILi32ELb0EfPKfKS1_KPfEv13rocblas_fill_17rocblas_diagonal_iiT2_lPT3_llS9_llPT4_lli
		.amdhsa_group_segment_fixed_size 8192
		.amdhsa_private_segment_fixed_size 0
		.amdhsa_kernarg_size 108
		.amdhsa_user_sgpr_count 2
		.amdhsa_user_sgpr_dispatch_ptr 0
		.amdhsa_user_sgpr_queue_ptr 0
		.amdhsa_user_sgpr_kernarg_segment_ptr 1
		.amdhsa_user_sgpr_dispatch_id 0
		.amdhsa_user_sgpr_kernarg_preload_length 0
		.amdhsa_user_sgpr_kernarg_preload_offset 0
		.amdhsa_user_sgpr_private_segment_size 0
		.amdhsa_uses_dynamic_stack 0
		.amdhsa_enable_private_segment 0
		.amdhsa_system_sgpr_workgroup_id_x 1
		.amdhsa_system_sgpr_workgroup_id_y 0
		.amdhsa_system_sgpr_workgroup_id_z 1
		.amdhsa_system_sgpr_workgroup_info 0
		.amdhsa_system_vgpr_workitem_id 1
		.amdhsa_next_free_vgpr 19
		.amdhsa_next_free_sgpr 32
		.amdhsa_accum_offset 20
		.amdhsa_reserve_vcc 1
		.amdhsa_float_round_mode_32 0
		.amdhsa_float_round_mode_16_64 0
		.amdhsa_float_denorm_mode_32 3
		.amdhsa_float_denorm_mode_16_64 3
		.amdhsa_dx10_clamp 1
		.amdhsa_ieee_mode 1
		.amdhsa_fp16_overflow 0
		.amdhsa_tg_split 0
		.amdhsa_exception_fp_ieee_invalid_op 0
		.amdhsa_exception_fp_denorm_src 0
		.amdhsa_exception_fp_ieee_div_zero 0
		.amdhsa_exception_fp_ieee_overflow 0
		.amdhsa_exception_fp_ieee_underflow 0
		.amdhsa_exception_fp_ieee_inexact 0
		.amdhsa_exception_int_div_zero 0
	.end_amdhsa_kernel
	.section	.text._ZL23rocblas_trmm_rTx_kernelILi32ELb0EfPKfKS1_KPfEv13rocblas_fill_17rocblas_diagonal_iiT2_lPT3_llS9_llPT4_lli,"axG",@progbits,_ZL23rocblas_trmm_rTx_kernelILi32ELb0EfPKfKS1_KPfEv13rocblas_fill_17rocblas_diagonal_iiT2_lPT3_llS9_llPT4_lli,comdat
.Lfunc_end152:
	.size	_ZL23rocblas_trmm_rTx_kernelILi32ELb0EfPKfKS1_KPfEv13rocblas_fill_17rocblas_diagonal_iiT2_lPT3_llS9_llPT4_lli, .Lfunc_end152-_ZL23rocblas_trmm_rTx_kernelILi32ELb0EfPKfKS1_KPfEv13rocblas_fill_17rocblas_diagonal_iiT2_lPT3_llS9_llPT4_lli
                                        ; -- End function
	.set _ZL23rocblas_trmm_rTx_kernelILi32ELb0EfPKfKS1_KPfEv13rocblas_fill_17rocblas_diagonal_iiT2_lPT3_llS9_llPT4_lli.num_vgpr, 19
	.set _ZL23rocblas_trmm_rTx_kernelILi32ELb0EfPKfKS1_KPfEv13rocblas_fill_17rocblas_diagonal_iiT2_lPT3_llS9_llPT4_lli.num_agpr, 0
	.set _ZL23rocblas_trmm_rTx_kernelILi32ELb0EfPKfKS1_KPfEv13rocblas_fill_17rocblas_diagonal_iiT2_lPT3_llS9_llPT4_lli.numbered_sgpr, 32
	.set _ZL23rocblas_trmm_rTx_kernelILi32ELb0EfPKfKS1_KPfEv13rocblas_fill_17rocblas_diagonal_iiT2_lPT3_llS9_llPT4_lli.num_named_barrier, 0
	.set _ZL23rocblas_trmm_rTx_kernelILi32ELb0EfPKfKS1_KPfEv13rocblas_fill_17rocblas_diagonal_iiT2_lPT3_llS9_llPT4_lli.private_seg_size, 0
	.set _ZL23rocblas_trmm_rTx_kernelILi32ELb0EfPKfKS1_KPfEv13rocblas_fill_17rocblas_diagonal_iiT2_lPT3_llS9_llPT4_lli.uses_vcc, 1
	.set _ZL23rocblas_trmm_rTx_kernelILi32ELb0EfPKfKS1_KPfEv13rocblas_fill_17rocblas_diagonal_iiT2_lPT3_llS9_llPT4_lli.uses_flat_scratch, 0
	.set _ZL23rocblas_trmm_rTx_kernelILi32ELb0EfPKfKS1_KPfEv13rocblas_fill_17rocblas_diagonal_iiT2_lPT3_llS9_llPT4_lli.has_dyn_sized_stack, 0
	.set _ZL23rocblas_trmm_rTx_kernelILi32ELb0EfPKfKS1_KPfEv13rocblas_fill_17rocblas_diagonal_iiT2_lPT3_llS9_llPT4_lli.has_recursion, 0
	.set _ZL23rocblas_trmm_rTx_kernelILi32ELb0EfPKfKS1_KPfEv13rocblas_fill_17rocblas_diagonal_iiT2_lPT3_llS9_llPT4_lli.has_indirect_call, 0
	.section	.AMDGPU.csdata,"",@progbits
; Kernel info:
; codeLenInByte = 1232
; TotalNumSgprs: 38
; NumVgprs: 19
; NumAgprs: 0
; TotalNumVgprs: 19
; ScratchSize: 0
; MemoryBound: 0
; FloatMode: 240
; IeeeMode: 1
; LDSByteSize: 8192 bytes/workgroup (compile time only)
; SGPRBlocks: 4
; VGPRBlocks: 2
; NumSGPRsForWavesPerEU: 38
; NumVGPRsForWavesPerEU: 19
; AccumOffset: 20
; Occupancy: 8
; WaveLimiterHint : 1
; COMPUTE_PGM_RSRC2:SCRATCH_EN: 0
; COMPUTE_PGM_RSRC2:USER_SGPR: 2
; COMPUTE_PGM_RSRC2:TRAP_HANDLER: 0
; COMPUTE_PGM_RSRC2:TGID_X_EN: 1
; COMPUTE_PGM_RSRC2:TGID_Y_EN: 0
; COMPUTE_PGM_RSRC2:TGID_Z_EN: 1
; COMPUTE_PGM_RSRC2:TIDIG_COMP_CNT: 1
; COMPUTE_PGM_RSRC3_GFX90A:ACCUM_OFFSET: 4
; COMPUTE_PGM_RSRC3_GFX90A:TG_SPLIT: 0
	.section	.text._ZL23rocblas_trmm_rTx_kernelILi32ELb0EffKPKfKPfEv13rocblas_fill_17rocblas_diagonal_iiT2_lPT3_llS9_llPT4_lli,"axG",@progbits,_ZL23rocblas_trmm_rTx_kernelILi32ELb0EffKPKfKPfEv13rocblas_fill_17rocblas_diagonal_iiT2_lPT3_llS9_llPT4_lli,comdat
	.globl	_ZL23rocblas_trmm_rTx_kernelILi32ELb0EffKPKfKPfEv13rocblas_fill_17rocblas_diagonal_iiT2_lPT3_llS9_llPT4_lli ; -- Begin function _ZL23rocblas_trmm_rTx_kernelILi32ELb0EffKPKfKPfEv13rocblas_fill_17rocblas_diagonal_iiT2_lPT3_llS9_llPT4_lli
	.p2align	8
	.type	_ZL23rocblas_trmm_rTx_kernelILi32ELb0EffKPKfKPfEv13rocblas_fill_17rocblas_diagonal_iiT2_lPT3_llS9_llPT4_lli,@function
_ZL23rocblas_trmm_rTx_kernelILi32ELb0EffKPKfKPfEv13rocblas_fill_17rocblas_diagonal_iiT2_lPT3_llS9_llPT4_lli: ; @_ZL23rocblas_trmm_rTx_kernelILi32ELb0EffKPKfKPfEv13rocblas_fill_17rocblas_diagonal_iiT2_lPT3_llS9_llPT4_lli
; %bb.0:
	s_load_dword s30, s[0:1], 0x10
	s_mov_b32 s5, 0
	s_waitcnt lgkmcnt(0)
	v_cmp_eq_f32_e64 s[6:7], s30, 0
	s_and_b64 vcc, exec, s[6:7]
	s_cbranch_vccnz .LBB153_15
; %bb.1:
	s_load_dwordx16 s[8:23], s[0:1], 0x20
	s_load_dwordx4 s[24:27], s[0:1], 0x0
	s_mov_b32 s4, s3
	s_lshl_b64 s[28:29], s[4:5], 3
	v_and_b32_e32 v4, 0x3ff, v0
	s_waitcnt lgkmcnt(0)
	s_add_u32 s4, s14, s28
	s_addc_u32 s5, s15, s29
	s_load_dwordx2 s[14:15], s[4:5], 0x0
	s_add_u32 s4, s20, s28
	s_addc_u32 s5, s21, s29
	s_load_dwordx2 s[6:7], s[4:5], 0x0
	v_bfe_u32 v2, v0, 10, 10
	v_lshlrev_b32_e32 v0, 5, v2
	v_cmp_gt_i32_e32 vcc, s27, v2
	v_cmp_gt_i32_e64 s[4:5], s27, v4
	v_add_lshl_u32 v3, v0, v4, 2
	v_mov_b32_e32 v1, 0
	s_and_b64 s[20:21], vcc, s[4:5]
	v_lshlrev_b32_e32 v0, 2, v4
	ds_write2st64_b32 v3, v1, v1 offset1:16
	s_and_saveexec_b64 s[4:5], s[20:21]
	s_cbranch_execz .LBB153_3
; %bb.2:
	s_add_u32 s8, s8, s28
	s_addc_u32 s9, s9, s29
	s_load_dwordx2 s[8:9], s[8:9], 0x0
	v_mad_u64_u32 v[6:7], s[20:21], s10, v2, 0
	s_lshl_b64 s[12:13], s[12:13], 2
	v_mov_b32_e32 v8, v7
	s_waitcnt lgkmcnt(0)
	s_add_u32 s8, s8, s12
	v_mad_u64_u32 v[8:9], s[10:11], s11, v2, v[8:9]
	s_addc_u32 s9, s9, s13
	v_mov_b32_e32 v7, v8
	v_lshl_add_u64 v[6:7], v[6:7], 2, s[8:9]
	v_lshl_add_u64 v[6:7], v[6:7], 0, v[0:1]
	flat_load_dword v1, v[6:7]
	s_waitcnt vmcnt(0) lgkmcnt(0)
	ds_write_b32 v3, v1
.LBB153_3:
	s_or_b64 exec, exec, s[4:5]
	s_add_i32 s3, s26, -1
	s_ashr_i32 s4, s3, 31
	s_lshr_b32 s4, s4, 27
	s_add_i32 s3, s3, s4
	s_ashr_i32 s4, s3, 5
	s_andn2_b32 s3, s3, 31
	s_sub_i32 s3, s26, s3
	s_cmp_ge_i32 s2, s4
	s_cselect_b32 s3, s3, 32
	s_lshl_b32 s4, s2, 5
	v_cmp_gt_i32_e64 s[2:3], s3, v4
	s_ashr_i32 s5, s4, 31
	s_and_b64 s[2:3], vcc, s[2:3]
	s_and_saveexec_b64 s[8:9], s[2:3]
	s_cbranch_execz .LBB153_5
; %bb.4:
	s_lshl_b64 s[10:11], s[18:19], 2
	s_waitcnt lgkmcnt(0)
	s_add_u32 s12, s14, s10
	s_addc_u32 s13, s15, s11
	s_lshl_b64 s[10:11], s[4:5], 2
	s_add_u32 s10, s12, s10
	s_addc_u32 s11, s13, s11
	v_mad_u64_u32 v[6:7], s[12:13], s16, v2, 0
	v_mov_b32_e32 v8, v7
	v_mad_u64_u32 v[8:9], s[12:13], s17, v2, v[8:9]
	v_mov_b32_e32 v7, v8
	v_lshl_add_u64 v[6:7], v[6:7], 2, s[10:11]
	v_mov_b32_e32 v1, 0
	v_lshl_add_u64 v[6:7], v[6:7], 0, v[0:1]
	flat_load_dword v1, v[6:7]
	v_add_u32_e32 v5, 0x1000, v3
	s_waitcnt vmcnt(0) lgkmcnt(0)
	ds_write_b32 v5, v1
.LBB153_5:
	s_or_b64 exec, exec, s[8:9]
	s_cmpk_eq_i32 s25, 0x84
	s_cselect_b64 s[8:9], -1, 0
	v_cmp_eq_u32_e32 vcc, v2, v4
	s_and_b64 s[10:11], vcc, s[8:9]
	s_and_saveexec_b64 s[8:9], s[10:11]
; %bb.6:
	v_mov_b32_e32 v1, 1.0
	ds_write_b32 v3, v1
; %bb.7:
	s_or_b64 exec, exec, s[8:9]
	s_cmpk_lg_i32 s24, 0x79
	s_cbranch_scc0 .LBB153_9
; %bb.8:
	v_cmp_lt_u32_e32 vcc, v4, v2
	s_and_b64 s[8:9], vcc, exec
	s_cbranch_execz .LBB153_10
	s_branch .LBB153_11
.LBB153_9:
	s_mov_b64 s[8:9], 0
.LBB153_10:
	v_cmp_gt_u32_e32 vcc, v4, v2
	s_andn2_b64 s[8:9], s[8:9], exec
	s_and_b64 s[10:11], vcc, exec
	s_or_b64 s[8:9], s[8:9], s[10:11]
.LBB153_11:
	s_and_saveexec_b64 s[10:11], s[8:9]
; %bb.12:
	v_mov_b32_e32 v1, 0
	ds_write_b32 v3, v1
; %bb.13:
	s_or_b64 exec, exec, s[10:11]
	s_waitcnt lgkmcnt(0)
	s_barrier
	s_and_saveexec_b64 s[8:9], s[2:3]
	s_cbranch_execz .LBB153_15
; %bb.14:
	v_add_u32_e32 v3, 0x1000, v0
	v_lshlrev_b32_e32 v16, 2, v2
	ds_read2_b32 v[4:5], v3 offset1:32
	ds_read2_b32 v[6:7], v16 offset1:32
	v_add_u32_e32 v18, 0x400, v16
	s_load_dwordx2 s[0:1], s[0:1], 0x60
	v_mov_b32_e32 v1, 0
	s_waitcnt lgkmcnt(0)
	v_fma_f32 v17, v4, v6, 0
	v_fmac_f32_e32 v17, v5, v7
	ds_read2_b32 v[4:5], v3 offset0:64 offset1:96
	ds_read2_b32 v[6:7], v16 offset0:64 offset1:96
	;; [unrolled: 1-line block ×6, first 2 shown]
	s_waitcnt lgkmcnt(4)
	v_fmac_f32_e32 v17, v4, v6
	v_add_u32_e32 v3, 0x1400, v0
	v_fmac_f32_e32 v17, v5, v7
	ds_read2_b32 v[4:5], v3 offset1:32
	s_waitcnt lgkmcnt(3)
	v_fmac_f32_e32 v17, v8, v10
	v_fmac_f32_e32 v17, v9, v11
	s_waitcnt lgkmcnt(1)
	v_fmac_f32_e32 v17, v12, v14
	v_fmac_f32_e32 v17, v13, v15
	ds_read2_b32 v[6:7], v18 offset1:32
	ds_read2_b32 v[8:9], v3 offset0:64 offset1:96
	ds_read2_b32 v[10:11], v18 offset0:64 offset1:96
	;; [unrolled: 1-line block ×4, first 2 shown]
	s_waitcnt lgkmcnt(4)
	v_fmac_f32_e32 v17, v4, v6
	v_fmac_f32_e32 v17, v5, v7
	s_waitcnt lgkmcnt(2)
	v_fmac_f32_e32 v17, v8, v10
	v_fmac_f32_e32 v17, v9, v11
	ds_read2_b32 v[4:5], v3 offset0:192 offset1:224
	ds_read2_b32 v[6:7], v18 offset0:192 offset1:224
	s_waitcnt lgkmcnt(2)
	v_fmac_f32_e32 v17, v12, v14
	v_add_u32_e32 v3, 0x1800, v0
	v_add_u32_e32 v14, 0x800, v16
	ds_read2_b32 v[8:9], v3 offset1:32
	ds_read2_b32 v[10:11], v14 offset1:32
	v_fmac_f32_e32 v17, v13, v15
	s_waitcnt lgkmcnt(2)
	v_fmac_f32_e32 v17, v4, v6
	v_fmac_f32_e32 v17, v5, v7
	ds_read2_b32 v[4:5], v3 offset0:64 offset1:96
	ds_read2_b32 v[6:7], v14 offset0:64 offset1:96
	s_waitcnt lgkmcnt(2)
	v_fmac_f32_e32 v17, v8, v10
	v_fmac_f32_e32 v17, v9, v11
	ds_read2_b32 v[8:9], v3 offset0:128 offset1:160
	ds_read2_b32 v[10:11], v14 offset0:128 offset1:160
	;; [unrolled: 1-line block ×4, first 2 shown]
	s_waitcnt lgkmcnt(4)
	v_fmac_f32_e32 v17, v4, v6
	v_fmac_f32_e32 v17, v5, v7
	s_lshl_b64 s[0:1], s[0:1], 2
	s_waitcnt lgkmcnt(2)
	v_pk_mul_f32 v[4:5], v[8:9], v[10:11]
	s_add_u32 s2, s6, s0
	v_add_f32_e32 v3, v17, v4
	v_add_f32_e32 v3, v3, v5
	s_waitcnt lgkmcnt(0)
	v_pk_mul_f32 v[4:5], v[12:13], v[14:15]
	v_add_u32_e32 v14, 0x1c00, v0
	v_add_u32_e32 v15, 0xc00, v16
	ds_read2_b32 v[6:7], v14 offset1:32
	ds_read2_b32 v[8:9], v15 offset1:32
	ds_read2_b32 v[10:11], v14 offset0:64 offset1:96
	ds_read2_b32 v[12:13], v15 offset0:64 offset1:96
	v_add_f32_e32 v3, v3, v4
	v_add_f32_e32 v3, v3, v5
	s_addc_u32 s3, s7, s1
	s_waitcnt lgkmcnt(2)
	v_pk_mul_f32 v[4:5], v[6:7], v[8:9]
	ds_read2_b32 v[6:7], v14 offset0:128 offset1:160
	ds_read2_b32 v[8:9], v15 offset0:128 offset1:160
	v_add_f32_e32 v3, v3, v4
	v_add_f32_e32 v3, v3, v5
	s_waitcnt lgkmcnt(2)
	v_pk_mul_f32 v[4:5], v[10:11], v[12:13]
	ds_read2_b32 v[10:11], v14 offset0:192 offset1:224
	ds_read2_b32 v[12:13], v15 offset0:192 offset1:224
	v_add_f32_e32 v3, v3, v4
	v_add_f32_e32 v3, v3, v5
	s_waitcnt lgkmcnt(2)
	v_pk_mul_f32 v[4:5], v[6:7], v[8:9]
	s_lshl_b64 s[0:1], s[4:5], 2
	v_add_f32_e32 v3, v3, v4
	v_add_f32_e32 v3, v3, v5
	s_waitcnt lgkmcnt(0)
	v_pk_mul_f32 v[4:5], v[10:11], v[12:13]
	s_add_u32 s0, s2, s0
	v_add_f32_e32 v3, v3, v4
	s_addc_u32 s1, s3, s1
	v_add_f32_e32 v3, v3, v5
	v_mad_u64_u32 v[4:5], s[2:3], s22, v2, 0
	v_mul_f32_e32 v7, s30, v3
	v_mov_b32_e32 v6, v5
	v_mad_u64_u32 v[2:3], s[2:3], s23, v2, v[6:7]
	v_mov_b32_e32 v5, v2
	v_lshl_add_u64 v[2:3], v[4:5], 2, s[0:1]
	v_lshl_add_u64 v[0:1], v[2:3], 0, v[0:1]
	flat_store_dword v[0:1], v7
.LBB153_15:
	s_endpgm
	.section	.rodata,"a",@progbits
	.p2align	6, 0x0
	.amdhsa_kernel _ZL23rocblas_trmm_rTx_kernelILi32ELb0EffKPKfKPfEv13rocblas_fill_17rocblas_diagonal_iiT2_lPT3_llS9_llPT4_lli
		.amdhsa_group_segment_fixed_size 8192
		.amdhsa_private_segment_fixed_size 0
		.amdhsa_kernarg_size 108
		.amdhsa_user_sgpr_count 2
		.amdhsa_user_sgpr_dispatch_ptr 0
		.amdhsa_user_sgpr_queue_ptr 0
		.amdhsa_user_sgpr_kernarg_segment_ptr 1
		.amdhsa_user_sgpr_dispatch_id 0
		.amdhsa_user_sgpr_kernarg_preload_length 0
		.amdhsa_user_sgpr_kernarg_preload_offset 0
		.amdhsa_user_sgpr_private_segment_size 0
		.amdhsa_uses_dynamic_stack 0
		.amdhsa_enable_private_segment 0
		.amdhsa_system_sgpr_workgroup_id_x 1
		.amdhsa_system_sgpr_workgroup_id_y 0
		.amdhsa_system_sgpr_workgroup_id_z 1
		.amdhsa_system_sgpr_workgroup_info 0
		.amdhsa_system_vgpr_workitem_id 1
		.amdhsa_next_free_vgpr 19
		.amdhsa_next_free_sgpr 31
		.amdhsa_accum_offset 20
		.amdhsa_reserve_vcc 1
		.amdhsa_float_round_mode_32 0
		.amdhsa_float_round_mode_16_64 0
		.amdhsa_float_denorm_mode_32 3
		.amdhsa_float_denorm_mode_16_64 3
		.amdhsa_dx10_clamp 1
		.amdhsa_ieee_mode 1
		.amdhsa_fp16_overflow 0
		.amdhsa_tg_split 0
		.amdhsa_exception_fp_ieee_invalid_op 0
		.amdhsa_exception_fp_denorm_src 0
		.amdhsa_exception_fp_ieee_div_zero 0
		.amdhsa_exception_fp_ieee_overflow 0
		.amdhsa_exception_fp_ieee_underflow 0
		.amdhsa_exception_fp_ieee_inexact 0
		.amdhsa_exception_int_div_zero 0
	.end_amdhsa_kernel
	.section	.text._ZL23rocblas_trmm_rTx_kernelILi32ELb0EffKPKfKPfEv13rocblas_fill_17rocblas_diagonal_iiT2_lPT3_llS9_llPT4_lli,"axG",@progbits,_ZL23rocblas_trmm_rTx_kernelILi32ELb0EffKPKfKPfEv13rocblas_fill_17rocblas_diagonal_iiT2_lPT3_llS9_llPT4_lli,comdat
.Lfunc_end153:
	.size	_ZL23rocblas_trmm_rTx_kernelILi32ELb0EffKPKfKPfEv13rocblas_fill_17rocblas_diagonal_iiT2_lPT3_llS9_llPT4_lli, .Lfunc_end153-_ZL23rocblas_trmm_rTx_kernelILi32ELb0EffKPKfKPfEv13rocblas_fill_17rocblas_diagonal_iiT2_lPT3_llS9_llPT4_lli
                                        ; -- End function
	.set _ZL23rocblas_trmm_rTx_kernelILi32ELb0EffKPKfKPfEv13rocblas_fill_17rocblas_diagonal_iiT2_lPT3_llS9_llPT4_lli.num_vgpr, 19
	.set _ZL23rocblas_trmm_rTx_kernelILi32ELb0EffKPKfKPfEv13rocblas_fill_17rocblas_diagonal_iiT2_lPT3_llS9_llPT4_lli.num_agpr, 0
	.set _ZL23rocblas_trmm_rTx_kernelILi32ELb0EffKPKfKPfEv13rocblas_fill_17rocblas_diagonal_iiT2_lPT3_llS9_llPT4_lli.numbered_sgpr, 31
	.set _ZL23rocblas_trmm_rTx_kernelILi32ELb0EffKPKfKPfEv13rocblas_fill_17rocblas_diagonal_iiT2_lPT3_llS9_llPT4_lli.num_named_barrier, 0
	.set _ZL23rocblas_trmm_rTx_kernelILi32ELb0EffKPKfKPfEv13rocblas_fill_17rocblas_diagonal_iiT2_lPT3_llS9_llPT4_lli.private_seg_size, 0
	.set _ZL23rocblas_trmm_rTx_kernelILi32ELb0EffKPKfKPfEv13rocblas_fill_17rocblas_diagonal_iiT2_lPT3_llS9_llPT4_lli.uses_vcc, 1
	.set _ZL23rocblas_trmm_rTx_kernelILi32ELb0EffKPKfKPfEv13rocblas_fill_17rocblas_diagonal_iiT2_lPT3_llS9_llPT4_lli.uses_flat_scratch, 0
	.set _ZL23rocblas_trmm_rTx_kernelILi32ELb0EffKPKfKPfEv13rocblas_fill_17rocblas_diagonal_iiT2_lPT3_llS9_llPT4_lli.has_dyn_sized_stack, 0
	.set _ZL23rocblas_trmm_rTx_kernelILi32ELb0EffKPKfKPfEv13rocblas_fill_17rocblas_diagonal_iiT2_lPT3_llS9_llPT4_lli.has_recursion, 0
	.set _ZL23rocblas_trmm_rTx_kernelILi32ELb0EffKPKfKPfEv13rocblas_fill_17rocblas_diagonal_iiT2_lPT3_llS9_llPT4_lli.has_indirect_call, 0
	.section	.AMDGPU.csdata,"",@progbits
; Kernel info:
; codeLenInByte = 1192
; TotalNumSgprs: 37
; NumVgprs: 19
; NumAgprs: 0
; TotalNumVgprs: 19
; ScratchSize: 0
; MemoryBound: 0
; FloatMode: 240
; IeeeMode: 1
; LDSByteSize: 8192 bytes/workgroup (compile time only)
; SGPRBlocks: 4
; VGPRBlocks: 2
; NumSGPRsForWavesPerEU: 37
; NumVGPRsForWavesPerEU: 19
; AccumOffset: 20
; Occupancy: 8
; WaveLimiterHint : 1
; COMPUTE_PGM_RSRC2:SCRATCH_EN: 0
; COMPUTE_PGM_RSRC2:USER_SGPR: 2
; COMPUTE_PGM_RSRC2:TRAP_HANDLER: 0
; COMPUTE_PGM_RSRC2:TGID_X_EN: 1
; COMPUTE_PGM_RSRC2:TGID_Y_EN: 0
; COMPUTE_PGM_RSRC2:TGID_Z_EN: 1
; COMPUTE_PGM_RSRC2:TIDIG_COMP_CNT: 1
; COMPUTE_PGM_RSRC3_GFX90A:ACCUM_OFFSET: 4
; COMPUTE_PGM_RSRC3_GFX90A:TG_SPLIT: 0
	.section	.text._ZL23rocblas_trmm_rTx_kernelILi32ELb1EfPKfKS1_KPfEv13rocblas_fill_17rocblas_diagonal_iiT2_lPT3_llS9_llPT4_lli,"axG",@progbits,_ZL23rocblas_trmm_rTx_kernelILi32ELb1EfPKfKS1_KPfEv13rocblas_fill_17rocblas_diagonal_iiT2_lPT3_llS9_llPT4_lli,comdat
	.globl	_ZL23rocblas_trmm_rTx_kernelILi32ELb1EfPKfKS1_KPfEv13rocblas_fill_17rocblas_diagonal_iiT2_lPT3_llS9_llPT4_lli ; -- Begin function _ZL23rocblas_trmm_rTx_kernelILi32ELb1EfPKfKS1_KPfEv13rocblas_fill_17rocblas_diagonal_iiT2_lPT3_llS9_llPT4_lli
	.p2align	8
	.type	_ZL23rocblas_trmm_rTx_kernelILi32ELb1EfPKfKS1_KPfEv13rocblas_fill_17rocblas_diagonal_iiT2_lPT3_llS9_llPT4_lli,@function
_ZL23rocblas_trmm_rTx_kernelILi32ELb1EfPKfKS1_KPfEv13rocblas_fill_17rocblas_diagonal_iiT2_lPT3_llS9_llPT4_lli: ; @_ZL23rocblas_trmm_rTx_kernelILi32ELb1EfPKfKS1_KPfEv13rocblas_fill_17rocblas_diagonal_iiT2_lPT3_llS9_llPT4_lli
; %bb.0:
	s_load_dwordx16 s[4:19], s[0:1], 0x10
	s_mov_b32 s24, s3
	s_waitcnt lgkmcnt(0)
	s_mul_i32 s3, s7, s3
	s_mul_hi_u32 s7, s6, s24
	s_add_i32 s7, s7, s3
	s_mul_i32 s6, s6, s24
	s_lshl_b64 s[6:7], s[6:7], 2
	s_add_u32 s4, s4, s6
	s_addc_u32 s5, s5, s7
	s_load_dword s28, s[4:5], 0x0
	s_waitcnt lgkmcnt(0)
	v_cmp_eq_f32_e64 s[4:5], s28, 0
	s_and_b64 vcc, exec, s[4:5]
	s_cbranch_vccnz .LBB154_15
; %bb.1:
	s_load_dwordx4 s[20:23], s[0:1], 0x0
	s_load_dwordx4 s[4:7], s[0:1], 0x50
	s_mov_b32 s25, 0
	s_lshl_b64 s[26:27], s[24:25], 3
	s_add_u32 s14, s14, s26
	s_addc_u32 s15, s15, s27
	s_waitcnt lgkmcnt(0)
	s_add_u32 s4, s4, s26
	s_addc_u32 s5, s5, s27
	s_load_dwordx2 s[24:25], s[14:15], 0x0
	v_and_b32_e32 v4, 0x3ff, v0
	s_load_dwordx2 s[14:15], s[4:5], 0x0
	v_bfe_u32 v2, v0, 10, 10
	v_lshlrev_b32_e32 v0, 5, v2
	v_cmp_gt_i32_e32 vcc, s23, v2
	v_cmp_gt_i32_e64 s[4:5], s23, v4
	v_add_lshl_u32 v3, v0, v4, 2
	v_mov_b32_e32 v1, 0
	s_and_b64 s[30:31], vcc, s[4:5]
	v_lshlrev_b32_e32 v0, 2, v4
	ds_write2st64_b32 v3, v1, v1 offset1:16
	s_and_saveexec_b64 s[4:5], s[30:31]
	s_cbranch_execz .LBB154_3
; %bb.2:
	s_add_u32 s8, s8, s26
	s_addc_u32 s9, s9, s27
	s_load_dwordx2 s[8:9], s[8:9], 0x0
	v_mad_u64_u32 v[6:7], s[26:27], s10, v2, 0
	s_lshl_b64 s[12:13], s[12:13], 2
	v_mov_b32_e32 v8, v7
	s_waitcnt lgkmcnt(0)
	s_add_u32 s8, s8, s12
	v_mad_u64_u32 v[8:9], s[10:11], s11, v2, v[8:9]
	s_addc_u32 s9, s9, s13
	v_mov_b32_e32 v7, v8
	v_lshl_add_u64 v[6:7], v[6:7], 2, s[8:9]
	v_lshl_add_u64 v[6:7], v[6:7], 0, v[0:1]
	flat_load_dword v1, v[6:7]
	s_waitcnt vmcnt(0) lgkmcnt(0)
	ds_write_b32 v3, v1
.LBB154_3:
	s_or_b64 exec, exec, s[4:5]
	s_add_i32 s3, s22, -1
	s_ashr_i32 s4, s3, 31
	s_lshr_b32 s4, s4, 27
	s_add_i32 s3, s3, s4
	s_ashr_i32 s4, s3, 5
	s_andn2_b32 s3, s3, 31
	s_sub_i32 s3, s22, s3
	s_cmp_ge_i32 s2, s4
	s_cselect_b32 s3, s3, 32
	s_lshl_b32 s4, s2, 5
	v_cmp_gt_i32_e64 s[2:3], s3, v4
	s_ashr_i32 s5, s4, 31
	s_and_b64 s[2:3], vcc, s[2:3]
	s_and_saveexec_b64 s[8:9], s[2:3]
	s_cbranch_execz .LBB154_5
; %bb.4:
	s_lshl_b64 s[10:11], s[18:19], 2
	s_waitcnt lgkmcnt(0)
	s_add_u32 s12, s24, s10
	s_addc_u32 s13, s25, s11
	s_lshl_b64 s[10:11], s[4:5], 2
	s_add_u32 s10, s12, s10
	s_addc_u32 s11, s13, s11
	v_mad_u64_u32 v[6:7], s[12:13], s16, v2, 0
	v_mov_b32_e32 v8, v7
	v_mad_u64_u32 v[8:9], s[12:13], s17, v2, v[8:9]
	v_mov_b32_e32 v7, v8
	v_lshl_add_u64 v[6:7], v[6:7], 2, s[10:11]
	v_mov_b32_e32 v1, 0
	v_lshl_add_u64 v[6:7], v[6:7], 0, v[0:1]
	flat_load_dword v1, v[6:7]
	v_add_u32_e32 v5, 0x1000, v3
	s_waitcnt vmcnt(0) lgkmcnt(0)
	ds_write_b32 v5, v1
.LBB154_5:
	s_or_b64 exec, exec, s[8:9]
	s_cmpk_eq_i32 s21, 0x84
	s_cselect_b64 s[8:9], -1, 0
	v_cmp_eq_u32_e32 vcc, v2, v4
	s_and_b64 s[10:11], vcc, s[8:9]
	s_and_saveexec_b64 s[8:9], s[10:11]
; %bb.6:
	v_mov_b32_e32 v1, 1.0
	ds_write_b32 v3, v1
; %bb.7:
	s_or_b64 exec, exec, s[8:9]
	s_cmpk_lg_i32 s20, 0x79
	s_cbranch_scc0 .LBB154_9
; %bb.8:
	v_cmp_lt_u32_e32 vcc, v4, v2
	s_and_b64 s[8:9], vcc, exec
	s_cbranch_execz .LBB154_10
	s_branch .LBB154_11
.LBB154_9:
	s_mov_b64 s[8:9], 0
.LBB154_10:
	v_cmp_gt_u32_e32 vcc, v4, v2
	s_andn2_b64 s[8:9], s[8:9], exec
	s_and_b64 s[10:11], vcc, exec
	s_or_b64 s[8:9], s[8:9], s[10:11]
.LBB154_11:
	s_and_saveexec_b64 s[10:11], s[8:9]
; %bb.12:
	v_mov_b32_e32 v1, 0
	ds_write_b32 v3, v1
; %bb.13:
	s_or_b64 exec, exec, s[10:11]
	s_waitcnt lgkmcnt(0)
	s_barrier
	s_and_saveexec_b64 s[8:9], s[2:3]
	s_cbranch_execz .LBB154_15
; %bb.14:
	v_add_u32_e32 v3, 0x1000, v0
	v_lshlrev_b32_e32 v16, 2, v2
	ds_read2_b32 v[4:5], v3 offset1:32
	ds_read2_b32 v[6:7], v16 offset1:32
	v_add_u32_e32 v18, 0x400, v16
	s_load_dwordx2 s[0:1], s[0:1], 0x60
	v_mov_b32_e32 v1, 0
	s_waitcnt lgkmcnt(0)
	v_fma_f32 v17, v4, v6, 0
	v_fmac_f32_e32 v17, v5, v7
	ds_read2_b32 v[4:5], v3 offset0:64 offset1:96
	ds_read2_b32 v[6:7], v16 offset0:64 offset1:96
	;; [unrolled: 1-line block ×6, first 2 shown]
	s_waitcnt lgkmcnt(4)
	v_fmac_f32_e32 v17, v4, v6
	v_add_u32_e32 v3, 0x1400, v0
	v_fmac_f32_e32 v17, v5, v7
	ds_read2_b32 v[4:5], v3 offset1:32
	s_waitcnt lgkmcnt(3)
	v_fmac_f32_e32 v17, v8, v10
	v_fmac_f32_e32 v17, v9, v11
	s_waitcnt lgkmcnt(1)
	v_fmac_f32_e32 v17, v12, v14
	v_fmac_f32_e32 v17, v13, v15
	ds_read2_b32 v[6:7], v18 offset1:32
	ds_read2_b32 v[8:9], v3 offset0:64 offset1:96
	ds_read2_b32 v[10:11], v18 offset0:64 offset1:96
	;; [unrolled: 1-line block ×4, first 2 shown]
	s_waitcnt lgkmcnt(4)
	v_fmac_f32_e32 v17, v4, v6
	v_fmac_f32_e32 v17, v5, v7
	s_waitcnt lgkmcnt(2)
	v_fmac_f32_e32 v17, v8, v10
	v_fmac_f32_e32 v17, v9, v11
	ds_read2_b32 v[4:5], v3 offset0:192 offset1:224
	ds_read2_b32 v[6:7], v18 offset0:192 offset1:224
	s_waitcnt lgkmcnt(2)
	v_fmac_f32_e32 v17, v12, v14
	v_add_u32_e32 v3, 0x1800, v0
	v_add_u32_e32 v14, 0x800, v16
	ds_read2_b32 v[8:9], v3 offset1:32
	ds_read2_b32 v[10:11], v14 offset1:32
	v_fmac_f32_e32 v17, v13, v15
	s_waitcnt lgkmcnt(2)
	v_fmac_f32_e32 v17, v4, v6
	v_fmac_f32_e32 v17, v5, v7
	ds_read2_b32 v[4:5], v3 offset0:64 offset1:96
	ds_read2_b32 v[6:7], v14 offset0:64 offset1:96
	s_waitcnt lgkmcnt(2)
	v_fmac_f32_e32 v17, v8, v10
	v_fmac_f32_e32 v17, v9, v11
	ds_read2_b32 v[8:9], v3 offset0:128 offset1:160
	ds_read2_b32 v[10:11], v14 offset0:128 offset1:160
	;; [unrolled: 1-line block ×4, first 2 shown]
	s_waitcnt lgkmcnt(4)
	v_fmac_f32_e32 v17, v4, v6
	v_fmac_f32_e32 v17, v5, v7
	s_lshl_b64 s[0:1], s[0:1], 2
	s_waitcnt lgkmcnt(2)
	v_pk_mul_f32 v[4:5], v[8:9], v[10:11]
	s_add_u32 s2, s14, s0
	v_add_f32_e32 v3, v17, v4
	v_add_f32_e32 v3, v3, v5
	s_waitcnt lgkmcnt(0)
	v_pk_mul_f32 v[4:5], v[12:13], v[14:15]
	v_add_u32_e32 v14, 0x1c00, v0
	v_add_u32_e32 v15, 0xc00, v16
	ds_read2_b32 v[6:7], v14 offset1:32
	ds_read2_b32 v[8:9], v15 offset1:32
	ds_read2_b32 v[10:11], v14 offset0:64 offset1:96
	ds_read2_b32 v[12:13], v15 offset0:64 offset1:96
	v_add_f32_e32 v3, v3, v4
	v_add_f32_e32 v3, v3, v5
	s_addc_u32 s3, s15, s1
	s_waitcnt lgkmcnt(2)
	v_pk_mul_f32 v[4:5], v[6:7], v[8:9]
	ds_read2_b32 v[6:7], v14 offset0:128 offset1:160
	ds_read2_b32 v[8:9], v15 offset0:128 offset1:160
	v_add_f32_e32 v3, v3, v4
	v_add_f32_e32 v3, v3, v5
	s_waitcnt lgkmcnt(2)
	v_pk_mul_f32 v[4:5], v[10:11], v[12:13]
	ds_read2_b32 v[10:11], v14 offset0:192 offset1:224
	ds_read2_b32 v[12:13], v15 offset0:192 offset1:224
	v_add_f32_e32 v3, v3, v4
	v_add_f32_e32 v3, v3, v5
	s_waitcnt lgkmcnt(2)
	v_pk_mul_f32 v[4:5], v[6:7], v[8:9]
	s_lshl_b64 s[0:1], s[4:5], 2
	v_add_f32_e32 v3, v3, v4
	v_add_f32_e32 v3, v3, v5
	s_waitcnt lgkmcnt(0)
	v_pk_mul_f32 v[4:5], v[10:11], v[12:13]
	s_add_u32 s0, s2, s0
	v_add_f32_e32 v3, v3, v4
	s_addc_u32 s1, s3, s1
	v_add_f32_e32 v3, v3, v5
	v_mad_u64_u32 v[4:5], s[2:3], s6, v2, 0
	v_mul_f32_e32 v7, s28, v3
	v_mov_b32_e32 v6, v5
	v_mad_u64_u32 v[2:3], s[2:3], s7, v2, v[6:7]
	v_mov_b32_e32 v5, v2
	v_lshl_add_u64 v[2:3], v[4:5], 2, s[0:1]
	v_lshl_add_u64 v[0:1], v[2:3], 0, v[0:1]
	flat_store_dword v[0:1], v7
.LBB154_15:
	s_endpgm
	.section	.rodata,"a",@progbits
	.p2align	6, 0x0
	.amdhsa_kernel _ZL23rocblas_trmm_rTx_kernelILi32ELb1EfPKfKS1_KPfEv13rocblas_fill_17rocblas_diagonal_iiT2_lPT3_llS9_llPT4_lli
		.amdhsa_group_segment_fixed_size 8192
		.amdhsa_private_segment_fixed_size 0
		.amdhsa_kernarg_size 108
		.amdhsa_user_sgpr_count 2
		.amdhsa_user_sgpr_dispatch_ptr 0
		.amdhsa_user_sgpr_queue_ptr 0
		.amdhsa_user_sgpr_kernarg_segment_ptr 1
		.amdhsa_user_sgpr_dispatch_id 0
		.amdhsa_user_sgpr_kernarg_preload_length 0
		.amdhsa_user_sgpr_kernarg_preload_offset 0
		.amdhsa_user_sgpr_private_segment_size 0
		.amdhsa_uses_dynamic_stack 0
		.amdhsa_enable_private_segment 0
		.amdhsa_system_sgpr_workgroup_id_x 1
		.amdhsa_system_sgpr_workgroup_id_y 0
		.amdhsa_system_sgpr_workgroup_id_z 1
		.amdhsa_system_sgpr_workgroup_info 0
		.amdhsa_system_vgpr_workitem_id 1
		.amdhsa_next_free_vgpr 19
		.amdhsa_next_free_sgpr 32
		.amdhsa_accum_offset 20
		.amdhsa_reserve_vcc 1
		.amdhsa_float_round_mode_32 0
		.amdhsa_float_round_mode_16_64 0
		.amdhsa_float_denorm_mode_32 3
		.amdhsa_float_denorm_mode_16_64 3
		.amdhsa_dx10_clamp 1
		.amdhsa_ieee_mode 1
		.amdhsa_fp16_overflow 0
		.amdhsa_tg_split 0
		.amdhsa_exception_fp_ieee_invalid_op 0
		.amdhsa_exception_fp_denorm_src 0
		.amdhsa_exception_fp_ieee_div_zero 0
		.amdhsa_exception_fp_ieee_overflow 0
		.amdhsa_exception_fp_ieee_underflow 0
		.amdhsa_exception_fp_ieee_inexact 0
		.amdhsa_exception_int_div_zero 0
	.end_amdhsa_kernel
	.section	.text._ZL23rocblas_trmm_rTx_kernelILi32ELb1EfPKfKS1_KPfEv13rocblas_fill_17rocblas_diagonal_iiT2_lPT3_llS9_llPT4_lli,"axG",@progbits,_ZL23rocblas_trmm_rTx_kernelILi32ELb1EfPKfKS1_KPfEv13rocblas_fill_17rocblas_diagonal_iiT2_lPT3_llS9_llPT4_lli,comdat
.Lfunc_end154:
	.size	_ZL23rocblas_trmm_rTx_kernelILi32ELb1EfPKfKS1_KPfEv13rocblas_fill_17rocblas_diagonal_iiT2_lPT3_llS9_llPT4_lli, .Lfunc_end154-_ZL23rocblas_trmm_rTx_kernelILi32ELb1EfPKfKS1_KPfEv13rocblas_fill_17rocblas_diagonal_iiT2_lPT3_llS9_llPT4_lli
                                        ; -- End function
	.set _ZL23rocblas_trmm_rTx_kernelILi32ELb1EfPKfKS1_KPfEv13rocblas_fill_17rocblas_diagonal_iiT2_lPT3_llS9_llPT4_lli.num_vgpr, 19
	.set _ZL23rocblas_trmm_rTx_kernelILi32ELb1EfPKfKS1_KPfEv13rocblas_fill_17rocblas_diagonal_iiT2_lPT3_llS9_llPT4_lli.num_agpr, 0
	.set _ZL23rocblas_trmm_rTx_kernelILi32ELb1EfPKfKS1_KPfEv13rocblas_fill_17rocblas_diagonal_iiT2_lPT3_llS9_llPT4_lli.numbered_sgpr, 32
	.set _ZL23rocblas_trmm_rTx_kernelILi32ELb1EfPKfKS1_KPfEv13rocblas_fill_17rocblas_diagonal_iiT2_lPT3_llS9_llPT4_lli.num_named_barrier, 0
	.set _ZL23rocblas_trmm_rTx_kernelILi32ELb1EfPKfKS1_KPfEv13rocblas_fill_17rocblas_diagonal_iiT2_lPT3_llS9_llPT4_lli.private_seg_size, 0
	.set _ZL23rocblas_trmm_rTx_kernelILi32ELb1EfPKfKS1_KPfEv13rocblas_fill_17rocblas_diagonal_iiT2_lPT3_llS9_llPT4_lli.uses_vcc, 1
	.set _ZL23rocblas_trmm_rTx_kernelILi32ELb1EfPKfKS1_KPfEv13rocblas_fill_17rocblas_diagonal_iiT2_lPT3_llS9_llPT4_lli.uses_flat_scratch, 0
	.set _ZL23rocblas_trmm_rTx_kernelILi32ELb1EfPKfKS1_KPfEv13rocblas_fill_17rocblas_diagonal_iiT2_lPT3_llS9_llPT4_lli.has_dyn_sized_stack, 0
	.set _ZL23rocblas_trmm_rTx_kernelILi32ELb1EfPKfKS1_KPfEv13rocblas_fill_17rocblas_diagonal_iiT2_lPT3_llS9_llPT4_lli.has_recursion, 0
	.set _ZL23rocblas_trmm_rTx_kernelILi32ELb1EfPKfKS1_KPfEv13rocblas_fill_17rocblas_diagonal_iiT2_lPT3_llS9_llPT4_lli.has_indirect_call, 0
	.section	.AMDGPU.csdata,"",@progbits
; Kernel info:
; codeLenInByte = 1232
; TotalNumSgprs: 38
; NumVgprs: 19
; NumAgprs: 0
; TotalNumVgprs: 19
; ScratchSize: 0
; MemoryBound: 0
; FloatMode: 240
; IeeeMode: 1
; LDSByteSize: 8192 bytes/workgroup (compile time only)
; SGPRBlocks: 4
; VGPRBlocks: 2
; NumSGPRsForWavesPerEU: 38
; NumVGPRsForWavesPerEU: 19
; AccumOffset: 20
; Occupancy: 8
; WaveLimiterHint : 1
; COMPUTE_PGM_RSRC2:SCRATCH_EN: 0
; COMPUTE_PGM_RSRC2:USER_SGPR: 2
; COMPUTE_PGM_RSRC2:TRAP_HANDLER: 0
; COMPUTE_PGM_RSRC2:TGID_X_EN: 1
; COMPUTE_PGM_RSRC2:TGID_Y_EN: 0
; COMPUTE_PGM_RSRC2:TGID_Z_EN: 1
; COMPUTE_PGM_RSRC2:TIDIG_COMP_CNT: 1
; COMPUTE_PGM_RSRC3_GFX90A:ACCUM_OFFSET: 4
; COMPUTE_PGM_RSRC3_GFX90A:TG_SPLIT: 0
	.section	.text._ZL23rocblas_trmm_rTx_kernelILi32ELb1EffKPKfKPfEv13rocblas_fill_17rocblas_diagonal_iiT2_lPT3_llS9_llPT4_lli,"axG",@progbits,_ZL23rocblas_trmm_rTx_kernelILi32ELb1EffKPKfKPfEv13rocblas_fill_17rocblas_diagonal_iiT2_lPT3_llS9_llPT4_lli,comdat
	.globl	_ZL23rocblas_trmm_rTx_kernelILi32ELb1EffKPKfKPfEv13rocblas_fill_17rocblas_diagonal_iiT2_lPT3_llS9_llPT4_lli ; -- Begin function _ZL23rocblas_trmm_rTx_kernelILi32ELb1EffKPKfKPfEv13rocblas_fill_17rocblas_diagonal_iiT2_lPT3_llS9_llPT4_lli
	.p2align	8
	.type	_ZL23rocblas_trmm_rTx_kernelILi32ELb1EffKPKfKPfEv13rocblas_fill_17rocblas_diagonal_iiT2_lPT3_llS9_llPT4_lli,@function
_ZL23rocblas_trmm_rTx_kernelILi32ELb1EffKPKfKPfEv13rocblas_fill_17rocblas_diagonal_iiT2_lPT3_llS9_llPT4_lli: ; @_ZL23rocblas_trmm_rTx_kernelILi32ELb1EffKPKfKPfEv13rocblas_fill_17rocblas_diagonal_iiT2_lPT3_llS9_llPT4_lli
; %bb.0:
	s_load_dword s30, s[0:1], 0x10
	s_mov_b32 s5, 0
	s_waitcnt lgkmcnt(0)
	v_cmp_eq_f32_e64 s[6:7], s30, 0
	s_and_b64 vcc, exec, s[6:7]
	s_cbranch_vccnz .LBB155_15
; %bb.1:
	s_load_dwordx16 s[8:23], s[0:1], 0x20
	s_load_dwordx4 s[24:27], s[0:1], 0x0
	s_mov_b32 s4, s3
	s_lshl_b64 s[28:29], s[4:5], 3
	v_and_b32_e32 v4, 0x3ff, v0
	s_waitcnt lgkmcnt(0)
	s_add_u32 s4, s14, s28
	s_addc_u32 s5, s15, s29
	s_load_dwordx2 s[14:15], s[4:5], 0x0
	s_add_u32 s4, s20, s28
	s_addc_u32 s5, s21, s29
	s_load_dwordx2 s[6:7], s[4:5], 0x0
	v_bfe_u32 v2, v0, 10, 10
	v_lshlrev_b32_e32 v0, 5, v2
	v_cmp_gt_i32_e32 vcc, s27, v2
	v_cmp_gt_i32_e64 s[4:5], s27, v4
	v_add_lshl_u32 v3, v0, v4, 2
	v_mov_b32_e32 v1, 0
	s_and_b64 s[20:21], vcc, s[4:5]
	v_lshlrev_b32_e32 v0, 2, v4
	ds_write2st64_b32 v3, v1, v1 offset1:16
	s_and_saveexec_b64 s[4:5], s[20:21]
	s_cbranch_execz .LBB155_3
; %bb.2:
	s_add_u32 s8, s8, s28
	s_addc_u32 s9, s9, s29
	s_load_dwordx2 s[8:9], s[8:9], 0x0
	v_mad_u64_u32 v[6:7], s[20:21], s10, v2, 0
	s_lshl_b64 s[12:13], s[12:13], 2
	v_mov_b32_e32 v8, v7
	s_waitcnt lgkmcnt(0)
	s_add_u32 s8, s8, s12
	v_mad_u64_u32 v[8:9], s[10:11], s11, v2, v[8:9]
	s_addc_u32 s9, s9, s13
	v_mov_b32_e32 v7, v8
	v_lshl_add_u64 v[6:7], v[6:7], 2, s[8:9]
	v_lshl_add_u64 v[6:7], v[6:7], 0, v[0:1]
	flat_load_dword v1, v[6:7]
	s_waitcnt vmcnt(0) lgkmcnt(0)
	ds_write_b32 v3, v1
.LBB155_3:
	s_or_b64 exec, exec, s[4:5]
	s_add_i32 s3, s26, -1
	s_ashr_i32 s4, s3, 31
	s_lshr_b32 s4, s4, 27
	s_add_i32 s3, s3, s4
	s_ashr_i32 s4, s3, 5
	s_andn2_b32 s3, s3, 31
	s_sub_i32 s3, s26, s3
	s_cmp_ge_i32 s2, s4
	s_cselect_b32 s3, s3, 32
	s_lshl_b32 s4, s2, 5
	v_cmp_gt_i32_e64 s[2:3], s3, v4
	s_ashr_i32 s5, s4, 31
	s_and_b64 s[2:3], vcc, s[2:3]
	s_and_saveexec_b64 s[8:9], s[2:3]
	s_cbranch_execz .LBB155_5
; %bb.4:
	s_lshl_b64 s[10:11], s[18:19], 2
	s_waitcnt lgkmcnt(0)
	s_add_u32 s12, s14, s10
	s_addc_u32 s13, s15, s11
	s_lshl_b64 s[10:11], s[4:5], 2
	s_add_u32 s10, s12, s10
	s_addc_u32 s11, s13, s11
	v_mad_u64_u32 v[6:7], s[12:13], s16, v2, 0
	v_mov_b32_e32 v8, v7
	v_mad_u64_u32 v[8:9], s[12:13], s17, v2, v[8:9]
	v_mov_b32_e32 v7, v8
	v_lshl_add_u64 v[6:7], v[6:7], 2, s[10:11]
	v_mov_b32_e32 v1, 0
	v_lshl_add_u64 v[6:7], v[6:7], 0, v[0:1]
	flat_load_dword v1, v[6:7]
	v_add_u32_e32 v5, 0x1000, v3
	s_waitcnt vmcnt(0) lgkmcnt(0)
	ds_write_b32 v5, v1
.LBB155_5:
	s_or_b64 exec, exec, s[8:9]
	s_cmpk_eq_i32 s25, 0x84
	s_cselect_b64 s[8:9], -1, 0
	v_cmp_eq_u32_e32 vcc, v2, v4
	s_and_b64 s[10:11], vcc, s[8:9]
	s_and_saveexec_b64 s[8:9], s[10:11]
; %bb.6:
	v_mov_b32_e32 v1, 1.0
	ds_write_b32 v3, v1
; %bb.7:
	s_or_b64 exec, exec, s[8:9]
	s_cmpk_lg_i32 s24, 0x79
	s_cbranch_scc0 .LBB155_9
; %bb.8:
	v_cmp_lt_u32_e32 vcc, v4, v2
	s_and_b64 s[8:9], vcc, exec
	s_cbranch_execz .LBB155_10
	s_branch .LBB155_11
.LBB155_9:
	s_mov_b64 s[8:9], 0
.LBB155_10:
	v_cmp_gt_u32_e32 vcc, v4, v2
	s_andn2_b64 s[8:9], s[8:9], exec
	s_and_b64 s[10:11], vcc, exec
	s_or_b64 s[8:9], s[8:9], s[10:11]
.LBB155_11:
	s_and_saveexec_b64 s[10:11], s[8:9]
; %bb.12:
	v_mov_b32_e32 v1, 0
	ds_write_b32 v3, v1
; %bb.13:
	s_or_b64 exec, exec, s[10:11]
	s_waitcnt lgkmcnt(0)
	s_barrier
	s_and_saveexec_b64 s[8:9], s[2:3]
	s_cbranch_execz .LBB155_15
; %bb.14:
	v_add_u32_e32 v3, 0x1000, v0
	v_lshlrev_b32_e32 v16, 2, v2
	ds_read2_b32 v[4:5], v3 offset1:32
	ds_read2_b32 v[6:7], v16 offset1:32
	v_add_u32_e32 v18, 0x400, v16
	s_load_dwordx2 s[0:1], s[0:1], 0x60
	v_mov_b32_e32 v1, 0
	s_waitcnt lgkmcnt(0)
	v_fma_f32 v17, v4, v6, 0
	v_fmac_f32_e32 v17, v5, v7
	ds_read2_b32 v[4:5], v3 offset0:64 offset1:96
	ds_read2_b32 v[6:7], v16 offset0:64 offset1:96
	ds_read2_b32 v[8:9], v3 offset0:128 offset1:160
	ds_read2_b32 v[10:11], v16 offset0:128 offset1:160
	ds_read2_b32 v[12:13], v3 offset0:192 offset1:224
	ds_read2_b32 v[14:15], v16 offset0:192 offset1:224
	s_waitcnt lgkmcnt(4)
	v_fmac_f32_e32 v17, v4, v6
	v_add_u32_e32 v3, 0x1400, v0
	v_fmac_f32_e32 v17, v5, v7
	ds_read2_b32 v[4:5], v3 offset1:32
	s_waitcnt lgkmcnt(3)
	v_fmac_f32_e32 v17, v8, v10
	v_fmac_f32_e32 v17, v9, v11
	s_waitcnt lgkmcnt(1)
	v_fmac_f32_e32 v17, v12, v14
	v_fmac_f32_e32 v17, v13, v15
	ds_read2_b32 v[6:7], v18 offset1:32
	ds_read2_b32 v[8:9], v3 offset0:64 offset1:96
	ds_read2_b32 v[10:11], v18 offset0:64 offset1:96
	;; [unrolled: 1-line block ×4, first 2 shown]
	s_waitcnt lgkmcnt(4)
	v_fmac_f32_e32 v17, v4, v6
	v_fmac_f32_e32 v17, v5, v7
	s_waitcnt lgkmcnt(2)
	v_fmac_f32_e32 v17, v8, v10
	v_fmac_f32_e32 v17, v9, v11
	ds_read2_b32 v[4:5], v3 offset0:192 offset1:224
	ds_read2_b32 v[6:7], v18 offset0:192 offset1:224
	s_waitcnt lgkmcnt(2)
	v_fmac_f32_e32 v17, v12, v14
	v_add_u32_e32 v3, 0x1800, v0
	v_add_u32_e32 v14, 0x800, v16
	ds_read2_b32 v[8:9], v3 offset1:32
	ds_read2_b32 v[10:11], v14 offset1:32
	v_fmac_f32_e32 v17, v13, v15
	s_waitcnt lgkmcnt(2)
	v_fmac_f32_e32 v17, v4, v6
	v_fmac_f32_e32 v17, v5, v7
	ds_read2_b32 v[4:5], v3 offset0:64 offset1:96
	ds_read2_b32 v[6:7], v14 offset0:64 offset1:96
	s_waitcnt lgkmcnt(2)
	v_fmac_f32_e32 v17, v8, v10
	v_fmac_f32_e32 v17, v9, v11
	ds_read2_b32 v[8:9], v3 offset0:128 offset1:160
	ds_read2_b32 v[10:11], v14 offset0:128 offset1:160
	;; [unrolled: 1-line block ×4, first 2 shown]
	s_waitcnt lgkmcnt(4)
	v_fmac_f32_e32 v17, v4, v6
	v_fmac_f32_e32 v17, v5, v7
	s_lshl_b64 s[0:1], s[0:1], 2
	s_waitcnt lgkmcnt(2)
	v_pk_mul_f32 v[4:5], v[8:9], v[10:11]
	s_add_u32 s2, s6, s0
	v_add_f32_e32 v3, v17, v4
	v_add_f32_e32 v3, v3, v5
	s_waitcnt lgkmcnt(0)
	v_pk_mul_f32 v[4:5], v[12:13], v[14:15]
	v_add_u32_e32 v14, 0x1c00, v0
	v_add_u32_e32 v15, 0xc00, v16
	ds_read2_b32 v[6:7], v14 offset1:32
	ds_read2_b32 v[8:9], v15 offset1:32
	ds_read2_b32 v[10:11], v14 offset0:64 offset1:96
	ds_read2_b32 v[12:13], v15 offset0:64 offset1:96
	v_add_f32_e32 v3, v3, v4
	v_add_f32_e32 v3, v3, v5
	s_addc_u32 s3, s7, s1
	s_waitcnt lgkmcnt(2)
	v_pk_mul_f32 v[4:5], v[6:7], v[8:9]
	ds_read2_b32 v[6:7], v14 offset0:128 offset1:160
	ds_read2_b32 v[8:9], v15 offset0:128 offset1:160
	v_add_f32_e32 v3, v3, v4
	v_add_f32_e32 v3, v3, v5
	s_waitcnt lgkmcnt(2)
	v_pk_mul_f32 v[4:5], v[10:11], v[12:13]
	ds_read2_b32 v[10:11], v14 offset0:192 offset1:224
	ds_read2_b32 v[12:13], v15 offset0:192 offset1:224
	v_add_f32_e32 v3, v3, v4
	v_add_f32_e32 v3, v3, v5
	s_waitcnt lgkmcnt(2)
	v_pk_mul_f32 v[4:5], v[6:7], v[8:9]
	s_lshl_b64 s[0:1], s[4:5], 2
	v_add_f32_e32 v3, v3, v4
	v_add_f32_e32 v3, v3, v5
	s_waitcnt lgkmcnt(0)
	v_pk_mul_f32 v[4:5], v[10:11], v[12:13]
	s_add_u32 s0, s2, s0
	v_add_f32_e32 v3, v3, v4
	s_addc_u32 s1, s3, s1
	v_add_f32_e32 v3, v3, v5
	v_mad_u64_u32 v[4:5], s[2:3], s22, v2, 0
	v_mul_f32_e32 v7, s30, v3
	v_mov_b32_e32 v6, v5
	v_mad_u64_u32 v[2:3], s[2:3], s23, v2, v[6:7]
	v_mov_b32_e32 v5, v2
	v_lshl_add_u64 v[2:3], v[4:5], 2, s[0:1]
	v_lshl_add_u64 v[0:1], v[2:3], 0, v[0:1]
	flat_store_dword v[0:1], v7
.LBB155_15:
	s_endpgm
	.section	.rodata,"a",@progbits
	.p2align	6, 0x0
	.amdhsa_kernel _ZL23rocblas_trmm_rTx_kernelILi32ELb1EffKPKfKPfEv13rocblas_fill_17rocblas_diagonal_iiT2_lPT3_llS9_llPT4_lli
		.amdhsa_group_segment_fixed_size 8192
		.amdhsa_private_segment_fixed_size 0
		.amdhsa_kernarg_size 108
		.amdhsa_user_sgpr_count 2
		.amdhsa_user_sgpr_dispatch_ptr 0
		.amdhsa_user_sgpr_queue_ptr 0
		.amdhsa_user_sgpr_kernarg_segment_ptr 1
		.amdhsa_user_sgpr_dispatch_id 0
		.amdhsa_user_sgpr_kernarg_preload_length 0
		.amdhsa_user_sgpr_kernarg_preload_offset 0
		.amdhsa_user_sgpr_private_segment_size 0
		.amdhsa_uses_dynamic_stack 0
		.amdhsa_enable_private_segment 0
		.amdhsa_system_sgpr_workgroup_id_x 1
		.amdhsa_system_sgpr_workgroup_id_y 0
		.amdhsa_system_sgpr_workgroup_id_z 1
		.amdhsa_system_sgpr_workgroup_info 0
		.amdhsa_system_vgpr_workitem_id 1
		.amdhsa_next_free_vgpr 19
		.amdhsa_next_free_sgpr 31
		.amdhsa_accum_offset 20
		.amdhsa_reserve_vcc 1
		.amdhsa_float_round_mode_32 0
		.amdhsa_float_round_mode_16_64 0
		.amdhsa_float_denorm_mode_32 3
		.amdhsa_float_denorm_mode_16_64 3
		.amdhsa_dx10_clamp 1
		.amdhsa_ieee_mode 1
		.amdhsa_fp16_overflow 0
		.amdhsa_tg_split 0
		.amdhsa_exception_fp_ieee_invalid_op 0
		.amdhsa_exception_fp_denorm_src 0
		.amdhsa_exception_fp_ieee_div_zero 0
		.amdhsa_exception_fp_ieee_overflow 0
		.amdhsa_exception_fp_ieee_underflow 0
		.amdhsa_exception_fp_ieee_inexact 0
		.amdhsa_exception_int_div_zero 0
	.end_amdhsa_kernel
	.section	.text._ZL23rocblas_trmm_rTx_kernelILi32ELb1EffKPKfKPfEv13rocblas_fill_17rocblas_diagonal_iiT2_lPT3_llS9_llPT4_lli,"axG",@progbits,_ZL23rocblas_trmm_rTx_kernelILi32ELb1EffKPKfKPfEv13rocblas_fill_17rocblas_diagonal_iiT2_lPT3_llS9_llPT4_lli,comdat
.Lfunc_end155:
	.size	_ZL23rocblas_trmm_rTx_kernelILi32ELb1EffKPKfKPfEv13rocblas_fill_17rocblas_diagonal_iiT2_lPT3_llS9_llPT4_lli, .Lfunc_end155-_ZL23rocblas_trmm_rTx_kernelILi32ELb1EffKPKfKPfEv13rocblas_fill_17rocblas_diagonal_iiT2_lPT3_llS9_llPT4_lli
                                        ; -- End function
	.set _ZL23rocblas_trmm_rTx_kernelILi32ELb1EffKPKfKPfEv13rocblas_fill_17rocblas_diagonal_iiT2_lPT3_llS9_llPT4_lli.num_vgpr, 19
	.set _ZL23rocblas_trmm_rTx_kernelILi32ELb1EffKPKfKPfEv13rocblas_fill_17rocblas_diagonal_iiT2_lPT3_llS9_llPT4_lli.num_agpr, 0
	.set _ZL23rocblas_trmm_rTx_kernelILi32ELb1EffKPKfKPfEv13rocblas_fill_17rocblas_diagonal_iiT2_lPT3_llS9_llPT4_lli.numbered_sgpr, 31
	.set _ZL23rocblas_trmm_rTx_kernelILi32ELb1EffKPKfKPfEv13rocblas_fill_17rocblas_diagonal_iiT2_lPT3_llS9_llPT4_lli.num_named_barrier, 0
	.set _ZL23rocblas_trmm_rTx_kernelILi32ELb1EffKPKfKPfEv13rocblas_fill_17rocblas_diagonal_iiT2_lPT3_llS9_llPT4_lli.private_seg_size, 0
	.set _ZL23rocblas_trmm_rTx_kernelILi32ELb1EffKPKfKPfEv13rocblas_fill_17rocblas_diagonal_iiT2_lPT3_llS9_llPT4_lli.uses_vcc, 1
	.set _ZL23rocblas_trmm_rTx_kernelILi32ELb1EffKPKfKPfEv13rocblas_fill_17rocblas_diagonal_iiT2_lPT3_llS9_llPT4_lli.uses_flat_scratch, 0
	.set _ZL23rocblas_trmm_rTx_kernelILi32ELb1EffKPKfKPfEv13rocblas_fill_17rocblas_diagonal_iiT2_lPT3_llS9_llPT4_lli.has_dyn_sized_stack, 0
	.set _ZL23rocblas_trmm_rTx_kernelILi32ELb1EffKPKfKPfEv13rocblas_fill_17rocblas_diagonal_iiT2_lPT3_llS9_llPT4_lli.has_recursion, 0
	.set _ZL23rocblas_trmm_rTx_kernelILi32ELb1EffKPKfKPfEv13rocblas_fill_17rocblas_diagonal_iiT2_lPT3_llS9_llPT4_lli.has_indirect_call, 0
	.section	.AMDGPU.csdata,"",@progbits
; Kernel info:
; codeLenInByte = 1192
; TotalNumSgprs: 37
; NumVgprs: 19
; NumAgprs: 0
; TotalNumVgprs: 19
; ScratchSize: 0
; MemoryBound: 0
; FloatMode: 240
; IeeeMode: 1
; LDSByteSize: 8192 bytes/workgroup (compile time only)
; SGPRBlocks: 4
; VGPRBlocks: 2
; NumSGPRsForWavesPerEU: 37
; NumVGPRsForWavesPerEU: 19
; AccumOffset: 20
; Occupancy: 8
; WaveLimiterHint : 1
; COMPUTE_PGM_RSRC2:SCRATCH_EN: 0
; COMPUTE_PGM_RSRC2:USER_SGPR: 2
; COMPUTE_PGM_RSRC2:TRAP_HANDLER: 0
; COMPUTE_PGM_RSRC2:TGID_X_EN: 1
; COMPUTE_PGM_RSRC2:TGID_Y_EN: 0
; COMPUTE_PGM_RSRC2:TGID_Z_EN: 1
; COMPUTE_PGM_RSRC2:TIDIG_COMP_CNT: 1
; COMPUTE_PGM_RSRC3_GFX90A:ACCUM_OFFSET: 4
; COMPUTE_PGM_RSRC3_GFX90A:TG_SPLIT: 0
	.section	.text._ZL23rocblas_trmm_lNx_kernelILi32EdPKdKS1_KPdEv13rocblas_fill_17rocblas_diagonal_iiT1_lPT2_llS9_llPT3_lli,"axG",@progbits,_ZL23rocblas_trmm_lNx_kernelILi32EdPKdKS1_KPdEv13rocblas_fill_17rocblas_diagonal_iiT1_lPT2_llS9_llPT3_lli,comdat
	.globl	_ZL23rocblas_trmm_lNx_kernelILi32EdPKdKS1_KPdEv13rocblas_fill_17rocblas_diagonal_iiT1_lPT2_llS9_llPT3_lli ; -- Begin function _ZL23rocblas_trmm_lNx_kernelILi32EdPKdKS1_KPdEv13rocblas_fill_17rocblas_diagonal_iiT1_lPT2_llS9_llPT3_lli
	.p2align	8
	.type	_ZL23rocblas_trmm_lNx_kernelILi32EdPKdKS1_KPdEv13rocblas_fill_17rocblas_diagonal_iiT1_lPT2_llS9_llPT3_lli,@function
_ZL23rocblas_trmm_lNx_kernelILi32EdPKdKS1_KPdEv13rocblas_fill_17rocblas_diagonal_iiT1_lPT2_llS9_llPT3_lli: ; @_ZL23rocblas_trmm_lNx_kernelILi32EdPKdKS1_KPdEv13rocblas_fill_17rocblas_diagonal_iiT1_lPT2_llS9_llPT3_lli
; %bb.0:
	s_load_dwordx16 s[4:19], s[0:1], 0x10
	s_mov_b32 s28, s3
	s_waitcnt lgkmcnt(0)
	s_mul_i32 s3, s7, s3
	s_mul_hi_u32 s7, s6, s28
	s_add_i32 s7, s7, s3
	s_mul_i32 s6, s6, s28
	s_lshl_b64 s[6:7], s[6:7], 3
	s_add_u32 s4, s4, s6
	s_addc_u32 s5, s5, s7
	s_load_dwordx2 s[24:25], s[4:5], 0x0
	s_waitcnt lgkmcnt(0)
	v_cmp_eq_f64_e64 s[4:5], s[24:25], 0
	s_and_b64 vcc, exec, s[4:5]
	s_cbranch_vccnz .LBB156_15
; %bb.1:
	s_load_dwordx4 s[20:23], s[0:1], 0x0
	s_load_dwordx4 s[4:7], s[0:1], 0x50
	s_mov_b32 s29, 0
	s_lshl_b64 s[30:31], s[28:29], 3
	s_add_u32 s14, s14, s30
	s_addc_u32 s15, s15, s31
	s_waitcnt lgkmcnt(0)
	s_add_u32 s4, s4, s30
	s_addc_u32 s5, s5, s31
	s_load_dwordx2 s[26:27], s[14:15], 0x0
	v_bfe_u32 v4, v0, 10, 10
	s_load_dwordx2 s[14:15], s[4:5], 0x0
	v_and_b32_e32 v5, 0x3ff, v0
	v_lshlrev_b32_e32 v2, 5, v4
	s_mov_b32 s28, s29
	v_add_lshl_u32 v3, v2, v5, 3
	v_mov_b64_e32 v[0:1], s[28:29]
	v_cmp_gt_i32_e64 s[4:5], s22, v4
	v_cmp_gt_i32_e32 vcc, s22, v5
	ds_write2st64_b64 v3, v[0:1], v[0:1] offset1:16
	s_and_b64 s[28:29], s[4:5], vcc
	v_lshlrev_b32_e32 v0, 3, v5
	s_and_saveexec_b64 s[4:5], s[28:29]
	s_cbranch_execz .LBB156_3
; %bb.2:
	s_add_u32 s8, s8, s30
	s_addc_u32 s9, s9, s31
	s_load_dwordx2 s[8:9], s[8:9], 0x0
	v_mad_u64_u32 v[6:7], s[28:29], s10, v4, 0
	s_lshl_b64 s[12:13], s[12:13], 3
	v_mov_b32_e32 v8, v7
	s_waitcnt lgkmcnt(0)
	s_add_u32 s8, s8, s12
	v_mad_u64_u32 v[8:9], s[10:11], s11, v4, v[8:9]
	s_addc_u32 s9, s9, s13
	v_mov_b32_e32 v7, v8
	v_lshl_add_u64 v[6:7], v[6:7], 3, s[8:9]
	v_mov_b32_e32 v1, 0
	v_lshl_add_u64 v[6:7], v[6:7], 0, v[0:1]
	flat_load_dwordx2 v[6:7], v[6:7]
	s_waitcnt vmcnt(0) lgkmcnt(0)
	ds_write_b64 v3, v[6:7]
.LBB156_3:
	s_or_b64 exec, exec, s[4:5]
	s_add_i32 s3, s23, -1
	s_ashr_i32 s4, s3, 31
	s_lshr_b32 s4, s4, 27
	s_add_i32 s3, s3, s4
	s_ashr_i32 s4, s3, 5
	s_andn2_b32 s3, s3, 31
	s_sub_i32 s3, s23, s3
	s_cmp_ge_i32 s2, s4
	s_cselect_b32 s3, s3, 32
	s_lshl_b32 s10, s2, 5
	v_cmp_gt_i32_e64 s[2:3], s3, v4
	s_ashr_i32 s11, s10, 31
	s_and_b64 s[2:3], vcc, s[2:3]
	s_and_saveexec_b64 s[4:5], s[2:3]
	s_cbranch_execz .LBB156_5
; %bb.4:
	s_lshl_b64 s[8:9], s[18:19], 3
	s_waitcnt lgkmcnt(0)
	s_add_u32 s12, s26, s8
	s_addc_u32 s13, s27, s9
	s_mul_i32 s8, s16, s11
	s_mul_hi_u32 s9, s16, s10
	s_add_i32 s8, s9, s8
	s_mul_i32 s9, s17, s10
	s_add_i32 s9, s8, s9
	s_mul_i32 s8, s16, s10
	s_lshl_b64 s[8:9], s[8:9], 3
	s_add_u32 s8, s12, s8
	s_addc_u32 s9, s13, s9
	v_mad_u64_u32 v[6:7], s[12:13], s16, v4, 0
	v_mov_b32_e32 v8, v7
	v_mad_u64_u32 v[8:9], s[12:13], s17, v4, v[8:9]
	v_mov_b32_e32 v7, v8
	v_lshl_add_u64 v[6:7], v[6:7], 3, s[8:9]
	v_mov_b32_e32 v1, 0
	v_lshl_add_u64 v[6:7], v[6:7], 0, v[0:1]
	flat_load_dwordx2 v[6:7], v[6:7]
	v_add_u32_e32 v1, 0x2000, v3
	s_waitcnt vmcnt(0) lgkmcnt(0)
	ds_write_b64 v1, v[6:7]
.LBB156_5:
	s_or_b64 exec, exec, s[4:5]
	s_cmpk_eq_i32 s21, 0x84
	s_cselect_b64 s[4:5], -1, 0
	v_cmp_eq_u32_e32 vcc, v4, v5
	s_and_b64 s[8:9], vcc, s[4:5]
	s_and_saveexec_b64 s[4:5], s[8:9]
; %bb.6:
	v_mov_b32_e32 v6, 0
	v_mov_b32_e32 v7, 0x3ff00000
	ds_write_b64 v3, v[6:7]
; %bb.7:
	s_or_b64 exec, exec, s[4:5]
	s_cmpk_lg_i32 s20, 0x79
	s_cbranch_scc0 .LBB156_9
; %bb.8:
	v_cmp_lt_u32_e32 vcc, v5, v4
	s_and_b64 s[4:5], vcc, exec
	s_cbranch_execz .LBB156_10
	s_branch .LBB156_11
.LBB156_9:
	s_mov_b64 s[4:5], 0
.LBB156_10:
	v_cmp_gt_u32_e32 vcc, v5, v4
	s_andn2_b64 s[4:5], s[4:5], exec
	s_and_b64 s[8:9], vcc, exec
	s_or_b64 s[4:5], s[4:5], s[8:9]
.LBB156_11:
	s_and_saveexec_b64 s[8:9], s[4:5]
; %bb.12:
	v_mov_b32_e32 v6, 0
	v_mov_b32_e32 v7, v6
	ds_write_b64 v3, v[6:7]
; %bb.13:
	s_or_b64 exec, exec, s[8:9]
	s_waitcnt lgkmcnt(0)
	s_barrier
	s_and_saveexec_b64 s[4:5], s[2:3]
	s_cbranch_execz .LBB156_15
; %bb.14:
	ds_read2_b64 v[6:9], v0 offset1:32
	v_lshlrev_b32_e32 v1, 3, v2
	ds_read_b128 v[10:13], v1 offset:8192
	ds_read_b128 v[14:17], v1 offset:8208
	ds_read2_b64 v[18:21], v0 offset0:64 offset1:96
	ds_read_b128 v[22:25], v1 offset:8224
	ds_read_b128 v[26:29], v1 offset:8240
	ds_read2_b64 v[30:33], v0 offset0:128 offset1:160
	v_add_u32_e32 v5, 0x800, v0
	s_load_dwordx2 s[0:1], s[0:1], 0x60
	s_waitcnt lgkmcnt(0)
	v_fma_f64 v[2:3], v[6:7], v[10:11], 0
	v_fmac_f64_e32 v[2:3], v[8:9], v[12:13]
	ds_read2_b64 v[6:9], v0 offset0:192 offset1:224
	v_fmac_f64_e32 v[2:3], v[18:19], v[14:15]
	v_fmac_f64_e32 v[2:3], v[20:21], v[16:17]
	;; [unrolled: 1-line block ×4, first 2 shown]
	ds_read2_b64 v[10:13], v5 offset1:32
	ds_read_b128 v[14:17], v1 offset:8256
	s_waitcnt lgkmcnt(2)
	v_fmac_f64_e32 v[2:3], v[6:7], v[26:27]
	v_fmac_f64_e32 v[2:3], v[8:9], v[28:29]
	ds_read2_b64 v[6:9], v5 offset0:64 offset1:96
	ds_read_b128 v[18:21], v1 offset:8272
	ds_read2_b64 v[22:25], v5 offset0:128 offset1:160
	ds_read_b128 v[26:29], v1 offset:8288
	s_waitcnt lgkmcnt(4)
	v_fmac_f64_e32 v[2:3], v[10:11], v[14:15]
	v_fmac_f64_e32 v[2:3], v[12:13], v[16:17]
	ds_read2_b64 v[10:13], v5 offset0:192 offset1:224
	s_waitcnt lgkmcnt(3)
	v_fmac_f64_e32 v[2:3], v[6:7], v[18:19]
	v_fmac_f64_e32 v[2:3], v[8:9], v[20:21]
	ds_read_b128 v[6:9], v1 offset:8304
	s_waitcnt lgkmcnt(2)
	v_fmac_f64_e32 v[2:3], v[22:23], v[26:27]
	v_add_u32_e32 v5, 0x1000, v0
	v_fmac_f64_e32 v[2:3], v[24:25], v[28:29]
	ds_read2_b64 v[14:17], v5 offset1:32
	ds_read_b128 v[18:21], v1 offset:8320
	s_waitcnt lgkmcnt(2)
	v_fmac_f64_e32 v[2:3], v[10:11], v[6:7]
	v_fmac_f64_e32 v[2:3], v[12:13], v[8:9]
	ds_read2_b64 v[6:9], v5 offset0:64 offset1:96
	ds_read_b128 v[10:13], v1 offset:8336
	ds_read2_b64 v[22:25], v5 offset0:128 offset1:160
	ds_read_b128 v[26:29], v1 offset:8352
	s_waitcnt lgkmcnt(4)
	v_fmac_f64_e32 v[2:3], v[14:15], v[18:19]
	v_fmac_f64_e32 v[2:3], v[16:17], v[20:21]
	s_lshl_b64 s[0:1], s[0:1], 3
	s_waitcnt lgkmcnt(2)
	v_fmac_f64_e32 v[2:3], v[6:7], v[10:11]
	v_fmac_f64_e32 v[2:3], v[8:9], v[12:13]
	ds_read_b128 v[6:9], v1 offset:8368
	ds_read2_b64 v[10:13], v5 offset0:192 offset1:224
	s_waitcnt lgkmcnt(2)
	v_fmac_f64_e32 v[2:3], v[22:23], v[26:27]
	v_add_u32_e32 v5, 0x1800, v0
	ds_read2_b64 v[14:17], v5 offset1:32
	ds_read_b128 v[18:21], v1 offset:8384
	v_fmac_f64_e32 v[2:3], v[24:25], v[28:29]
	s_waitcnt lgkmcnt(2)
	v_fmac_f64_e32 v[2:3], v[10:11], v[6:7]
	v_fmac_f64_e32 v[2:3], v[12:13], v[8:9]
	ds_read_b128 v[6:9], v1 offset:8400
	s_waitcnt lgkmcnt(1)
	v_fmac_f64_e32 v[2:3], v[14:15], v[18:19]
	s_mul_i32 s2, s6, s11
	s_mul_hi_u32 s3, s6, s10
	s_add_u32 s5, s14, s0
	v_fmac_f64_e32 v[2:3], v[16:17], v[20:21]
	ds_read2_b64 v[10:13], v5 offset0:64 offset1:96
	ds_read2_b64 v[14:17], v5 offset0:128 offset1:160
	ds_read_b128 v[18:21], v1 offset:8416
	ds_read2_b64 v[22:25], v5 offset0:192 offset1:224
	ds_read_b128 v[26:29], v1 offset:8432
	s_mul_i32 s4, s7, s10
	s_addc_u32 s8, s15, s1
	s_add_i32 s0, s3, s2
	s_waitcnt lgkmcnt(4)
	v_fmac_f64_e32 v[2:3], v[10:11], v[6:7]
	s_add_i32 s1, s0, s4
	s_mul_i32 s0, s6, s10
	v_fmac_f64_e32 v[2:3], v[12:13], v[8:9]
	v_mad_u64_u32 v[6:7], s[2:3], s6, v4, 0
	s_lshl_b64 s[0:1], s[0:1], 3
	s_waitcnt lgkmcnt(2)
	v_fmac_f64_e32 v[2:3], v[14:15], v[18:19]
	v_mov_b32_e32 v8, v7
	s_add_u32 s0, s5, s0
	v_fmac_f64_e32 v[2:3], v[16:17], v[20:21]
	v_mad_u64_u32 v[4:5], s[2:3], s7, v4, v[8:9]
	s_addc_u32 s1, s8, s1
	s_waitcnt lgkmcnt(0)
	v_fmac_f64_e32 v[2:3], v[22:23], v[26:27]
	v_mov_b32_e32 v7, v4
	v_fmac_f64_e32 v[2:3], v[24:25], v[28:29]
	v_lshl_add_u64 v[4:5], v[6:7], 3, s[0:1]
	v_mov_b32_e32 v1, 0
	v_mul_f64 v[2:3], s[24:25], v[2:3]
	v_lshl_add_u64 v[0:1], v[4:5], 0, v[0:1]
	flat_store_dwordx2 v[0:1], v[2:3]
.LBB156_15:
	s_endpgm
	.section	.rodata,"a",@progbits
	.p2align	6, 0x0
	.amdhsa_kernel _ZL23rocblas_trmm_lNx_kernelILi32EdPKdKS1_KPdEv13rocblas_fill_17rocblas_diagonal_iiT1_lPT2_llS9_llPT3_lli
		.amdhsa_group_segment_fixed_size 16384
		.amdhsa_private_segment_fixed_size 0
		.amdhsa_kernarg_size 108
		.amdhsa_user_sgpr_count 2
		.amdhsa_user_sgpr_dispatch_ptr 0
		.amdhsa_user_sgpr_queue_ptr 0
		.amdhsa_user_sgpr_kernarg_segment_ptr 1
		.amdhsa_user_sgpr_dispatch_id 0
		.amdhsa_user_sgpr_kernarg_preload_length 0
		.amdhsa_user_sgpr_kernarg_preload_offset 0
		.amdhsa_user_sgpr_private_segment_size 0
		.amdhsa_uses_dynamic_stack 0
		.amdhsa_enable_private_segment 0
		.amdhsa_system_sgpr_workgroup_id_x 1
		.amdhsa_system_sgpr_workgroup_id_y 0
		.amdhsa_system_sgpr_workgroup_id_z 1
		.amdhsa_system_sgpr_workgroup_info 0
		.amdhsa_system_vgpr_workitem_id 1
		.amdhsa_next_free_vgpr 34
		.amdhsa_next_free_sgpr 32
		.amdhsa_accum_offset 36
		.amdhsa_reserve_vcc 1
		.amdhsa_float_round_mode_32 0
		.amdhsa_float_round_mode_16_64 0
		.amdhsa_float_denorm_mode_32 3
		.amdhsa_float_denorm_mode_16_64 3
		.amdhsa_dx10_clamp 1
		.amdhsa_ieee_mode 1
		.amdhsa_fp16_overflow 0
		.amdhsa_tg_split 0
		.amdhsa_exception_fp_ieee_invalid_op 0
		.amdhsa_exception_fp_denorm_src 0
		.amdhsa_exception_fp_ieee_div_zero 0
		.amdhsa_exception_fp_ieee_overflow 0
		.amdhsa_exception_fp_ieee_underflow 0
		.amdhsa_exception_fp_ieee_inexact 0
		.amdhsa_exception_int_div_zero 0
	.end_amdhsa_kernel
	.section	.text._ZL23rocblas_trmm_lNx_kernelILi32EdPKdKS1_KPdEv13rocblas_fill_17rocblas_diagonal_iiT1_lPT2_llS9_llPT3_lli,"axG",@progbits,_ZL23rocblas_trmm_lNx_kernelILi32EdPKdKS1_KPdEv13rocblas_fill_17rocblas_diagonal_iiT1_lPT2_llS9_llPT3_lli,comdat
.Lfunc_end156:
	.size	_ZL23rocblas_trmm_lNx_kernelILi32EdPKdKS1_KPdEv13rocblas_fill_17rocblas_diagonal_iiT1_lPT2_llS9_llPT3_lli, .Lfunc_end156-_ZL23rocblas_trmm_lNx_kernelILi32EdPKdKS1_KPdEv13rocblas_fill_17rocblas_diagonal_iiT1_lPT2_llS9_llPT3_lli
                                        ; -- End function
	.set _ZL23rocblas_trmm_lNx_kernelILi32EdPKdKS1_KPdEv13rocblas_fill_17rocblas_diagonal_iiT1_lPT2_llS9_llPT3_lli.num_vgpr, 34
	.set _ZL23rocblas_trmm_lNx_kernelILi32EdPKdKS1_KPdEv13rocblas_fill_17rocblas_diagonal_iiT1_lPT2_llS9_llPT3_lli.num_agpr, 0
	.set _ZL23rocblas_trmm_lNx_kernelILi32EdPKdKS1_KPdEv13rocblas_fill_17rocblas_diagonal_iiT1_lPT2_llS9_llPT3_lli.numbered_sgpr, 32
	.set _ZL23rocblas_trmm_lNx_kernelILi32EdPKdKS1_KPdEv13rocblas_fill_17rocblas_diagonal_iiT1_lPT2_llS9_llPT3_lli.num_named_barrier, 0
	.set _ZL23rocblas_trmm_lNx_kernelILi32EdPKdKS1_KPdEv13rocblas_fill_17rocblas_diagonal_iiT1_lPT2_llS9_llPT3_lli.private_seg_size, 0
	.set _ZL23rocblas_trmm_lNx_kernelILi32EdPKdKS1_KPdEv13rocblas_fill_17rocblas_diagonal_iiT1_lPT2_llS9_llPT3_lli.uses_vcc, 1
	.set _ZL23rocblas_trmm_lNx_kernelILi32EdPKdKS1_KPdEv13rocblas_fill_17rocblas_diagonal_iiT1_lPT2_llS9_llPT3_lli.uses_flat_scratch, 0
	.set _ZL23rocblas_trmm_lNx_kernelILi32EdPKdKS1_KPdEv13rocblas_fill_17rocblas_diagonal_iiT1_lPT2_llS9_llPT3_lli.has_dyn_sized_stack, 0
	.set _ZL23rocblas_trmm_lNx_kernelILi32EdPKdKS1_KPdEv13rocblas_fill_17rocblas_diagonal_iiT1_lPT2_llS9_llPT3_lli.has_recursion, 0
	.set _ZL23rocblas_trmm_lNx_kernelILi32EdPKdKS1_KPdEv13rocblas_fill_17rocblas_diagonal_iiT1_lPT2_llS9_llPT3_lli.has_indirect_call, 0
	.section	.AMDGPU.csdata,"",@progbits
; Kernel info:
; codeLenInByte = 1216
; TotalNumSgprs: 38
; NumVgprs: 34
; NumAgprs: 0
; TotalNumVgprs: 34
; ScratchSize: 0
; MemoryBound: 0
; FloatMode: 240
; IeeeMode: 1
; LDSByteSize: 16384 bytes/workgroup (compile time only)
; SGPRBlocks: 4
; VGPRBlocks: 4
; NumSGPRsForWavesPerEU: 38
; NumVGPRsForWavesPerEU: 34
; AccumOffset: 36
; Occupancy: 8
; WaveLimiterHint : 1
; COMPUTE_PGM_RSRC2:SCRATCH_EN: 0
; COMPUTE_PGM_RSRC2:USER_SGPR: 2
; COMPUTE_PGM_RSRC2:TRAP_HANDLER: 0
; COMPUTE_PGM_RSRC2:TGID_X_EN: 1
; COMPUTE_PGM_RSRC2:TGID_Y_EN: 0
; COMPUTE_PGM_RSRC2:TGID_Z_EN: 1
; COMPUTE_PGM_RSRC2:TIDIG_COMP_CNT: 1
; COMPUTE_PGM_RSRC3_GFX90A:ACCUM_OFFSET: 8
; COMPUTE_PGM_RSRC3_GFX90A:TG_SPLIT: 0
	.section	.text._ZL23rocblas_trmm_lNx_kernelILi32EddKPKdKPdEv13rocblas_fill_17rocblas_diagonal_iiT1_lPT2_llS9_llPT3_lli,"axG",@progbits,_ZL23rocblas_trmm_lNx_kernelILi32EddKPKdKPdEv13rocblas_fill_17rocblas_diagonal_iiT1_lPT2_llS9_llPT3_lli,comdat
	.globl	_ZL23rocblas_trmm_lNx_kernelILi32EddKPKdKPdEv13rocblas_fill_17rocblas_diagonal_iiT1_lPT2_llS9_llPT3_lli ; -- Begin function _ZL23rocblas_trmm_lNx_kernelILi32EddKPKdKPdEv13rocblas_fill_17rocblas_diagonal_iiT1_lPT2_llS9_llPT3_lli
	.p2align	8
	.type	_ZL23rocblas_trmm_lNx_kernelILi32EddKPKdKPdEv13rocblas_fill_17rocblas_diagonal_iiT1_lPT2_llS9_llPT3_lli,@function
_ZL23rocblas_trmm_lNx_kernelILi32EddKPKdKPdEv13rocblas_fill_17rocblas_diagonal_iiT1_lPT2_llS9_llPT3_lli: ; @_ZL23rocblas_trmm_lNx_kernelILi32EddKPKdKPdEv13rocblas_fill_17rocblas_diagonal_iiT1_lPT2_llS9_llPT3_lli
; %bb.0:
	s_load_dwordx2 s[6:7], s[0:1], 0x10
	s_waitcnt lgkmcnt(0)
	v_cmp_eq_f64_e64 s[8:9], s[6:7], 0
	s_and_b64 vcc, exec, s[8:9]
	s_cbranch_vccnz .LBB157_15
; %bb.1:
	s_load_dwordx4 s[24:27], s[0:1], 0x0
	s_load_dwordx16 s[8:23], s[0:1], 0x20
	s_mov_b32 s4, s3
	s_mov_b32 s5, 0
	s_lshl_b64 s[30:31], s[4:5], 3
	v_bfe_u32 v4, v0, 10, 10
	s_waitcnt lgkmcnt(0)
	s_add_u32 s14, s14, s30
	s_addc_u32 s15, s15, s31
	s_load_dwordx2 s[28:29], s[14:15], 0x0
	s_add_u32 s14, s20, s30
	s_addc_u32 s15, s21, s31
	s_load_dwordx2 s[14:15], s[14:15], 0x0
	v_and_b32_e32 v5, 0x3ff, v0
	v_lshlrev_b32_e32 v2, 5, v4
	s_mov_b32 s4, s5
	v_add_lshl_u32 v3, v2, v5, 3
	v_mov_b64_e32 v[0:1], s[4:5]
	v_cmp_gt_i32_e64 s[4:5], s26, v4
	v_cmp_gt_i32_e32 vcc, s26, v5
	ds_write2st64_b64 v3, v[0:1], v[0:1] offset1:16
	s_and_b64 s[20:21], s[4:5], vcc
	v_lshlrev_b32_e32 v0, 3, v5
	s_and_saveexec_b64 s[4:5], s[20:21]
	s_cbranch_execz .LBB157_3
; %bb.2:
	s_add_u32 s8, s8, s30
	s_addc_u32 s9, s9, s31
	s_load_dwordx2 s[8:9], s[8:9], 0x0
	v_mad_u64_u32 v[6:7], s[20:21], s10, v4, 0
	s_lshl_b64 s[12:13], s[12:13], 3
	v_mov_b32_e32 v8, v7
	s_waitcnt lgkmcnt(0)
	s_add_u32 s8, s8, s12
	v_mad_u64_u32 v[8:9], s[10:11], s11, v4, v[8:9]
	s_addc_u32 s9, s9, s13
	v_mov_b32_e32 v7, v8
	v_lshl_add_u64 v[6:7], v[6:7], 3, s[8:9]
	v_mov_b32_e32 v1, 0
	v_lshl_add_u64 v[6:7], v[6:7], 0, v[0:1]
	flat_load_dwordx2 v[6:7], v[6:7]
	s_waitcnt vmcnt(0) lgkmcnt(0)
	ds_write_b64 v3, v[6:7]
.LBB157_3:
	s_or_b64 exec, exec, s[4:5]
	s_add_i32 s3, s27, -1
	s_ashr_i32 s4, s3, 31
	s_lshr_b32 s4, s4, 27
	s_add_i32 s3, s3, s4
	s_ashr_i32 s4, s3, 5
	s_andn2_b32 s3, s3, 31
	s_sub_i32 s3, s27, s3
	s_cmp_ge_i32 s2, s4
	s_cselect_b32 s3, s3, 32
	s_lshl_b32 s10, s2, 5
	v_cmp_gt_i32_e64 s[2:3], s3, v4
	s_ashr_i32 s11, s10, 31
	s_and_b64 s[2:3], vcc, s[2:3]
	s_and_saveexec_b64 s[4:5], s[2:3]
	s_cbranch_execz .LBB157_5
; %bb.4:
	s_lshl_b64 s[8:9], s[18:19], 3
	s_waitcnt lgkmcnt(0)
	s_add_u32 s12, s28, s8
	s_addc_u32 s13, s29, s9
	s_mul_i32 s8, s16, s11
	s_mul_hi_u32 s9, s16, s10
	s_add_i32 s8, s9, s8
	s_mul_i32 s9, s17, s10
	s_add_i32 s9, s8, s9
	s_mul_i32 s8, s16, s10
	s_lshl_b64 s[8:9], s[8:9], 3
	s_add_u32 s8, s12, s8
	s_addc_u32 s9, s13, s9
	v_mad_u64_u32 v[6:7], s[12:13], s16, v4, 0
	v_mov_b32_e32 v8, v7
	v_mad_u64_u32 v[8:9], s[12:13], s17, v4, v[8:9]
	v_mov_b32_e32 v7, v8
	v_lshl_add_u64 v[6:7], v[6:7], 3, s[8:9]
	v_mov_b32_e32 v1, 0
	v_lshl_add_u64 v[6:7], v[6:7], 0, v[0:1]
	flat_load_dwordx2 v[6:7], v[6:7]
	v_add_u32_e32 v1, 0x2000, v3
	s_waitcnt vmcnt(0) lgkmcnt(0)
	ds_write_b64 v1, v[6:7]
.LBB157_5:
	s_or_b64 exec, exec, s[4:5]
	s_cmpk_eq_i32 s25, 0x84
	s_cselect_b64 s[4:5], -1, 0
	v_cmp_eq_u32_e32 vcc, v4, v5
	s_and_b64 s[8:9], vcc, s[4:5]
	s_and_saveexec_b64 s[4:5], s[8:9]
; %bb.6:
	v_mov_b32_e32 v6, 0
	v_mov_b32_e32 v7, 0x3ff00000
	ds_write_b64 v3, v[6:7]
; %bb.7:
	s_or_b64 exec, exec, s[4:5]
	s_cmpk_lg_i32 s24, 0x79
	s_cbranch_scc0 .LBB157_9
; %bb.8:
	v_cmp_lt_u32_e32 vcc, v5, v4
	s_and_b64 s[4:5], vcc, exec
	s_cbranch_execz .LBB157_10
	s_branch .LBB157_11
.LBB157_9:
	s_mov_b64 s[4:5], 0
.LBB157_10:
	v_cmp_gt_u32_e32 vcc, v5, v4
	s_andn2_b64 s[4:5], s[4:5], exec
	s_and_b64 s[8:9], vcc, exec
	s_or_b64 s[4:5], s[4:5], s[8:9]
.LBB157_11:
	s_and_saveexec_b64 s[8:9], s[4:5]
; %bb.12:
	v_mov_b32_e32 v6, 0
	v_mov_b32_e32 v7, v6
	ds_write_b64 v3, v[6:7]
; %bb.13:
	s_or_b64 exec, exec, s[8:9]
	s_waitcnt lgkmcnt(0)
	s_barrier
	s_and_saveexec_b64 s[4:5], s[2:3]
	s_cbranch_execz .LBB157_15
; %bb.14:
	ds_read2_b64 v[6:9], v0 offset1:32
	v_lshlrev_b32_e32 v1, 3, v2
	ds_read_b128 v[10:13], v1 offset:8192
	ds_read_b128 v[14:17], v1 offset:8208
	ds_read2_b64 v[18:21], v0 offset0:64 offset1:96
	ds_read_b128 v[22:25], v1 offset:8224
	ds_read_b128 v[26:29], v1 offset:8240
	ds_read2_b64 v[30:33], v0 offset0:128 offset1:160
	v_add_u32_e32 v5, 0x800, v0
	s_load_dwordx2 s[0:1], s[0:1], 0x60
	s_waitcnt lgkmcnt(0)
	v_fma_f64 v[2:3], v[6:7], v[10:11], 0
	v_fmac_f64_e32 v[2:3], v[8:9], v[12:13]
	ds_read2_b64 v[6:9], v0 offset0:192 offset1:224
	v_fmac_f64_e32 v[2:3], v[18:19], v[14:15]
	v_fmac_f64_e32 v[2:3], v[20:21], v[16:17]
	;; [unrolled: 1-line block ×4, first 2 shown]
	ds_read2_b64 v[10:13], v5 offset1:32
	ds_read_b128 v[14:17], v1 offset:8256
	s_waitcnt lgkmcnt(2)
	v_fmac_f64_e32 v[2:3], v[6:7], v[26:27]
	v_fmac_f64_e32 v[2:3], v[8:9], v[28:29]
	ds_read2_b64 v[6:9], v5 offset0:64 offset1:96
	ds_read_b128 v[18:21], v1 offset:8272
	ds_read2_b64 v[22:25], v5 offset0:128 offset1:160
	ds_read_b128 v[26:29], v1 offset:8288
	s_waitcnt lgkmcnt(4)
	v_fmac_f64_e32 v[2:3], v[10:11], v[14:15]
	v_fmac_f64_e32 v[2:3], v[12:13], v[16:17]
	ds_read2_b64 v[10:13], v5 offset0:192 offset1:224
	s_waitcnt lgkmcnt(3)
	v_fmac_f64_e32 v[2:3], v[6:7], v[18:19]
	v_fmac_f64_e32 v[2:3], v[8:9], v[20:21]
	ds_read_b128 v[6:9], v1 offset:8304
	s_waitcnt lgkmcnt(2)
	v_fmac_f64_e32 v[2:3], v[22:23], v[26:27]
	v_add_u32_e32 v5, 0x1000, v0
	v_fmac_f64_e32 v[2:3], v[24:25], v[28:29]
	ds_read2_b64 v[14:17], v5 offset1:32
	ds_read_b128 v[18:21], v1 offset:8320
	s_waitcnt lgkmcnt(2)
	v_fmac_f64_e32 v[2:3], v[10:11], v[6:7]
	v_fmac_f64_e32 v[2:3], v[12:13], v[8:9]
	ds_read2_b64 v[6:9], v5 offset0:64 offset1:96
	ds_read_b128 v[10:13], v1 offset:8336
	ds_read2_b64 v[22:25], v5 offset0:128 offset1:160
	ds_read_b128 v[26:29], v1 offset:8352
	s_waitcnt lgkmcnt(4)
	v_fmac_f64_e32 v[2:3], v[14:15], v[18:19]
	v_fmac_f64_e32 v[2:3], v[16:17], v[20:21]
	s_lshl_b64 s[0:1], s[0:1], 3
	s_waitcnt lgkmcnt(2)
	v_fmac_f64_e32 v[2:3], v[6:7], v[10:11]
	v_fmac_f64_e32 v[2:3], v[8:9], v[12:13]
	ds_read_b128 v[6:9], v1 offset:8368
	ds_read2_b64 v[10:13], v5 offset0:192 offset1:224
	s_waitcnt lgkmcnt(2)
	v_fmac_f64_e32 v[2:3], v[22:23], v[26:27]
	v_add_u32_e32 v5, 0x1800, v0
	ds_read2_b64 v[14:17], v5 offset1:32
	ds_read_b128 v[18:21], v1 offset:8384
	v_fmac_f64_e32 v[2:3], v[24:25], v[28:29]
	s_waitcnt lgkmcnt(2)
	v_fmac_f64_e32 v[2:3], v[10:11], v[6:7]
	v_fmac_f64_e32 v[2:3], v[12:13], v[8:9]
	ds_read_b128 v[6:9], v1 offset:8400
	s_waitcnt lgkmcnt(1)
	v_fmac_f64_e32 v[2:3], v[14:15], v[18:19]
	s_mul_i32 s2, s22, s11
	s_mul_hi_u32 s3, s22, s10
	s_add_u32 s5, s14, s0
	v_fmac_f64_e32 v[2:3], v[16:17], v[20:21]
	ds_read2_b64 v[10:13], v5 offset0:64 offset1:96
	ds_read2_b64 v[14:17], v5 offset0:128 offset1:160
	ds_read_b128 v[18:21], v1 offset:8416
	ds_read2_b64 v[22:25], v5 offset0:192 offset1:224
	ds_read_b128 v[26:29], v1 offset:8432
	s_mul_i32 s4, s23, s10
	s_addc_u32 s8, s15, s1
	s_add_i32 s0, s3, s2
	s_waitcnt lgkmcnt(4)
	v_fmac_f64_e32 v[2:3], v[10:11], v[6:7]
	s_add_i32 s1, s0, s4
	s_mul_i32 s0, s22, s10
	v_fmac_f64_e32 v[2:3], v[12:13], v[8:9]
	v_mad_u64_u32 v[6:7], s[2:3], s22, v4, 0
	s_lshl_b64 s[0:1], s[0:1], 3
	s_waitcnt lgkmcnt(2)
	v_fmac_f64_e32 v[2:3], v[14:15], v[18:19]
	v_mov_b32_e32 v8, v7
	s_add_u32 s0, s5, s0
	v_fmac_f64_e32 v[2:3], v[16:17], v[20:21]
	v_mad_u64_u32 v[4:5], s[2:3], s23, v4, v[8:9]
	s_addc_u32 s1, s8, s1
	s_waitcnt lgkmcnt(0)
	v_fmac_f64_e32 v[2:3], v[22:23], v[26:27]
	v_mov_b32_e32 v7, v4
	v_fmac_f64_e32 v[2:3], v[24:25], v[28:29]
	v_lshl_add_u64 v[4:5], v[6:7], 3, s[0:1]
	v_mov_b32_e32 v1, 0
	v_mul_f64 v[2:3], s[6:7], v[2:3]
	v_lshl_add_u64 v[0:1], v[4:5], 0, v[0:1]
	flat_store_dwordx2 v[0:1], v[2:3]
.LBB157_15:
	s_endpgm
	.section	.rodata,"a",@progbits
	.p2align	6, 0x0
	.amdhsa_kernel _ZL23rocblas_trmm_lNx_kernelILi32EddKPKdKPdEv13rocblas_fill_17rocblas_diagonal_iiT1_lPT2_llS9_llPT3_lli
		.amdhsa_group_segment_fixed_size 16384
		.amdhsa_private_segment_fixed_size 0
		.amdhsa_kernarg_size 108
		.amdhsa_user_sgpr_count 2
		.amdhsa_user_sgpr_dispatch_ptr 0
		.amdhsa_user_sgpr_queue_ptr 0
		.amdhsa_user_sgpr_kernarg_segment_ptr 1
		.amdhsa_user_sgpr_dispatch_id 0
		.amdhsa_user_sgpr_kernarg_preload_length 0
		.amdhsa_user_sgpr_kernarg_preload_offset 0
		.amdhsa_user_sgpr_private_segment_size 0
		.amdhsa_uses_dynamic_stack 0
		.amdhsa_enable_private_segment 0
		.amdhsa_system_sgpr_workgroup_id_x 1
		.amdhsa_system_sgpr_workgroup_id_y 0
		.amdhsa_system_sgpr_workgroup_id_z 1
		.amdhsa_system_sgpr_workgroup_info 0
		.amdhsa_system_vgpr_workitem_id 1
		.amdhsa_next_free_vgpr 34
		.amdhsa_next_free_sgpr 32
		.amdhsa_accum_offset 36
		.amdhsa_reserve_vcc 1
		.amdhsa_float_round_mode_32 0
		.amdhsa_float_round_mode_16_64 0
		.amdhsa_float_denorm_mode_32 3
		.amdhsa_float_denorm_mode_16_64 3
		.amdhsa_dx10_clamp 1
		.amdhsa_ieee_mode 1
		.amdhsa_fp16_overflow 0
		.amdhsa_tg_split 0
		.amdhsa_exception_fp_ieee_invalid_op 0
		.amdhsa_exception_fp_denorm_src 0
		.amdhsa_exception_fp_ieee_div_zero 0
		.amdhsa_exception_fp_ieee_overflow 0
		.amdhsa_exception_fp_ieee_underflow 0
		.amdhsa_exception_fp_ieee_inexact 0
		.amdhsa_exception_int_div_zero 0
	.end_amdhsa_kernel
	.section	.text._ZL23rocblas_trmm_lNx_kernelILi32EddKPKdKPdEv13rocblas_fill_17rocblas_diagonal_iiT1_lPT2_llS9_llPT3_lli,"axG",@progbits,_ZL23rocblas_trmm_lNx_kernelILi32EddKPKdKPdEv13rocblas_fill_17rocblas_diagonal_iiT1_lPT2_llS9_llPT3_lli,comdat
.Lfunc_end157:
	.size	_ZL23rocblas_trmm_lNx_kernelILi32EddKPKdKPdEv13rocblas_fill_17rocblas_diagonal_iiT1_lPT2_llS9_llPT3_lli, .Lfunc_end157-_ZL23rocblas_trmm_lNx_kernelILi32EddKPKdKPdEv13rocblas_fill_17rocblas_diagonal_iiT1_lPT2_llS9_llPT3_lli
                                        ; -- End function
	.set _ZL23rocblas_trmm_lNx_kernelILi32EddKPKdKPdEv13rocblas_fill_17rocblas_diagonal_iiT1_lPT2_llS9_llPT3_lli.num_vgpr, 34
	.set _ZL23rocblas_trmm_lNx_kernelILi32EddKPKdKPdEv13rocblas_fill_17rocblas_diagonal_iiT1_lPT2_llS9_llPT3_lli.num_agpr, 0
	.set _ZL23rocblas_trmm_lNx_kernelILi32EddKPKdKPdEv13rocblas_fill_17rocblas_diagonal_iiT1_lPT2_llS9_llPT3_lli.numbered_sgpr, 32
	.set _ZL23rocblas_trmm_lNx_kernelILi32EddKPKdKPdEv13rocblas_fill_17rocblas_diagonal_iiT1_lPT2_llS9_llPT3_lli.num_named_barrier, 0
	.set _ZL23rocblas_trmm_lNx_kernelILi32EddKPKdKPdEv13rocblas_fill_17rocblas_diagonal_iiT1_lPT2_llS9_llPT3_lli.private_seg_size, 0
	.set _ZL23rocblas_trmm_lNx_kernelILi32EddKPKdKPdEv13rocblas_fill_17rocblas_diagonal_iiT1_lPT2_llS9_llPT3_lli.uses_vcc, 1
	.set _ZL23rocblas_trmm_lNx_kernelILi32EddKPKdKPdEv13rocblas_fill_17rocblas_diagonal_iiT1_lPT2_llS9_llPT3_lli.uses_flat_scratch, 0
	.set _ZL23rocblas_trmm_lNx_kernelILi32EddKPKdKPdEv13rocblas_fill_17rocblas_diagonal_iiT1_lPT2_llS9_llPT3_lli.has_dyn_sized_stack, 0
	.set _ZL23rocblas_trmm_lNx_kernelILi32EddKPKdKPdEv13rocblas_fill_17rocblas_diagonal_iiT1_lPT2_llS9_llPT3_lli.has_recursion, 0
	.set _ZL23rocblas_trmm_lNx_kernelILi32EddKPKdKPdEv13rocblas_fill_17rocblas_diagonal_iiT1_lPT2_llS9_llPT3_lli.has_indirect_call, 0
	.section	.AMDGPU.csdata,"",@progbits
; Kernel info:
; codeLenInByte = 1176
; TotalNumSgprs: 38
; NumVgprs: 34
; NumAgprs: 0
; TotalNumVgprs: 34
; ScratchSize: 0
; MemoryBound: 0
; FloatMode: 240
; IeeeMode: 1
; LDSByteSize: 16384 bytes/workgroup (compile time only)
; SGPRBlocks: 4
; VGPRBlocks: 4
; NumSGPRsForWavesPerEU: 38
; NumVGPRsForWavesPerEU: 34
; AccumOffset: 36
; Occupancy: 8
; WaveLimiterHint : 1
; COMPUTE_PGM_RSRC2:SCRATCH_EN: 0
; COMPUTE_PGM_RSRC2:USER_SGPR: 2
; COMPUTE_PGM_RSRC2:TRAP_HANDLER: 0
; COMPUTE_PGM_RSRC2:TGID_X_EN: 1
; COMPUTE_PGM_RSRC2:TGID_Y_EN: 0
; COMPUTE_PGM_RSRC2:TGID_Z_EN: 1
; COMPUTE_PGM_RSRC2:TIDIG_COMP_CNT: 1
; COMPUTE_PGM_RSRC3_GFX90A:ACCUM_OFFSET: 8
; COMPUTE_PGM_RSRC3_GFX90A:TG_SPLIT: 0
	.section	.text._ZL23rocblas_trmm_lTx_kernelILi32ELb0EdPKdKS1_KPdEv13rocblas_fill_17rocblas_diagonal_iiT2_lPT3_llS9_llPT4_lli,"axG",@progbits,_ZL23rocblas_trmm_lTx_kernelILi32ELb0EdPKdKS1_KPdEv13rocblas_fill_17rocblas_diagonal_iiT2_lPT3_llS9_llPT4_lli,comdat
	.globl	_ZL23rocblas_trmm_lTx_kernelILi32ELb0EdPKdKS1_KPdEv13rocblas_fill_17rocblas_diagonal_iiT2_lPT3_llS9_llPT4_lli ; -- Begin function _ZL23rocblas_trmm_lTx_kernelILi32ELb0EdPKdKS1_KPdEv13rocblas_fill_17rocblas_diagonal_iiT2_lPT3_llS9_llPT4_lli
	.p2align	8
	.type	_ZL23rocblas_trmm_lTx_kernelILi32ELb0EdPKdKS1_KPdEv13rocblas_fill_17rocblas_diagonal_iiT2_lPT3_llS9_llPT4_lli,@function
_ZL23rocblas_trmm_lTx_kernelILi32ELb0EdPKdKS1_KPdEv13rocblas_fill_17rocblas_diagonal_iiT2_lPT3_llS9_llPT4_lli: ; @_ZL23rocblas_trmm_lTx_kernelILi32ELb0EdPKdKS1_KPdEv13rocblas_fill_17rocblas_diagonal_iiT2_lPT3_llS9_llPT4_lli
; %bb.0:
	s_load_dwordx16 s[4:19], s[0:1], 0x10
	s_mov_b32 s26, s3
	s_waitcnt lgkmcnt(0)
	s_mul_i32 s3, s7, s3
	s_mul_hi_u32 s7, s6, s26
	s_add_i32 s7, s7, s3
	s_mul_i32 s6, s6, s26
	s_lshl_b64 s[6:7], s[6:7], 3
	s_add_u32 s4, s4, s6
	s_addc_u32 s5, s5, s7
	s_load_dwordx2 s[24:25], s[4:5], 0x0
	s_waitcnt lgkmcnt(0)
	v_cmp_eq_f64_e64 s[4:5], s[24:25], 0
	s_and_b64 vcc, exec, s[4:5]
	s_cbranch_vccnz .LBB158_15
; %bb.1:
	s_mov_b32 s27, 0
	s_load_dwordx4 s[20:23], s[0:1], 0x0
	s_load_dwordx4 s[4:7], s[0:1], 0x50
	s_lshl_b64 s[30:31], s[26:27], 3
	s_add_u32 s8, s8, s30
	s_addc_u32 s9, s9, s31
	s_load_dwordx2 s[28:29], s[8:9], 0x0
	s_add_u32 s8, s14, s30
	s_addc_u32 s9, s15, s31
	s_waitcnt lgkmcnt(0)
	s_add_u32 s4, s4, s30
	s_addc_u32 s5, s5, s31
	s_load_dwordx2 s[14:15], s[8:9], 0x0
	v_bfe_u32 v4, v0, 10, 10
	s_load_dwordx2 s[8:9], s[4:5], 0x0
	v_and_b32_e32 v5, 0x3ff, v0
	v_lshlrev_b32_e32 v2, 5, v4
	s_mov_b32 s26, s27
	v_add_lshl_u32 v3, v2, v5, 3
	v_mov_b64_e32 v[0:1], s[26:27]
	v_cmp_gt_i32_e64 s[4:5], s22, v4
	v_cmp_gt_i32_e32 vcc, s22, v5
	ds_write2st64_b64 v3, v[0:1], v[0:1] offset1:16
	s_and_b64 s[26:27], s[4:5], vcc
	v_lshlrev_b32_e32 v0, 3, v5
	s_waitcnt lgkmcnt(0)
	s_barrier
	s_and_saveexec_b64 s[4:5], s[26:27]
	s_cbranch_execz .LBB158_3
; %bb.2:
	v_mad_u64_u32 v[6:7], s[26:27], s10, v4, 0
	s_lshl_b64 s[12:13], s[12:13], 3
	v_mov_b32_e32 v8, v7
	s_add_u32 s12, s28, s12
	v_mad_u64_u32 v[8:9], s[10:11], s11, v4, v[8:9]
	s_addc_u32 s13, s29, s13
	v_mov_b32_e32 v7, v8
	v_lshl_add_u64 v[6:7], v[6:7], 3, s[12:13]
	v_mov_b32_e32 v1, 0
	v_lshl_add_u64 v[6:7], v[6:7], 0, v[0:1]
	flat_load_dwordx2 v[6:7], v[6:7]
	v_lshlrev_b32_e32 v1, 3, v4
	v_lshl_add_u32 v1, v5, 8, v1
	s_waitcnt vmcnt(0) lgkmcnt(0)
	ds_write_b64 v1, v[6:7]
.LBB158_3:
	s_or_b64 exec, exec, s[4:5]
	s_add_i32 s3, s23, -1
	s_ashr_i32 s4, s3, 31
	s_lshr_b32 s4, s4, 27
	s_add_i32 s3, s3, s4
	s_ashr_i32 s4, s3, 5
	s_andn2_b32 s3, s3, 31
	s_sub_i32 s3, s23, s3
	s_cmp_ge_i32 s2, s4
	s_cselect_b32 s3, s3, 32
	s_lshl_b32 s12, s2, 5
	v_cmp_gt_i32_e64 s[2:3], s3, v4
	s_ashr_i32 s13, s12, 31
	s_and_b64 s[2:3], vcc, s[2:3]
	s_and_saveexec_b64 s[4:5], s[2:3]
	s_cbranch_execz .LBB158_5
; %bb.4:
	s_lshl_b64 s[10:11], s[18:19], 3
	s_add_u32 s14, s14, s10
	s_addc_u32 s15, s15, s11
	s_mul_i32 s10, s16, s13
	s_mul_hi_u32 s11, s16, s12
	s_add_i32 s10, s11, s10
	s_mul_i32 s11, s17, s12
	s_add_i32 s11, s10, s11
	s_mul_i32 s10, s16, s12
	s_lshl_b64 s[10:11], s[10:11], 3
	s_add_u32 s10, s14, s10
	s_addc_u32 s11, s15, s11
	v_mad_u64_u32 v[6:7], s[14:15], s16, v4, 0
	v_mov_b32_e32 v8, v7
	v_mad_u64_u32 v[8:9], s[14:15], s17, v4, v[8:9]
	v_mov_b32_e32 v7, v8
	v_lshl_add_u64 v[6:7], v[6:7], 3, s[10:11]
	v_mov_b32_e32 v1, 0
	v_lshl_add_u64 v[6:7], v[6:7], 0, v[0:1]
	flat_load_dwordx2 v[6:7], v[6:7]
	v_add_u32_e32 v1, 0x2000, v3
	s_waitcnt vmcnt(0) lgkmcnt(0)
	ds_write_b64 v1, v[6:7]
.LBB158_5:
	s_or_b64 exec, exec, s[4:5]
	s_cmpk_eq_i32 s21, 0x84
	s_cselect_b64 s[4:5], -1, 0
	v_cmp_eq_u32_e32 vcc, v4, v5
	s_and_b64 s[10:11], vcc, s[4:5]
	s_and_saveexec_b64 s[4:5], s[10:11]
; %bb.6:
	v_mov_b32_e32 v6, 0
	v_mov_b32_e32 v7, 0x3ff00000
	ds_write_b64 v3, v[6:7]
; %bb.7:
	s_or_b64 exec, exec, s[4:5]
	s_cmpk_lg_i32 s20, 0x7a
	s_waitcnt lgkmcnt(0)
	s_barrier
	s_cbranch_scc0 .LBB158_9
; %bb.8:
	v_cmp_lt_u32_e32 vcc, v5, v4
	s_and_b64 s[4:5], vcc, exec
	s_cbranch_execz .LBB158_10
	s_branch .LBB158_11
.LBB158_9:
	s_mov_b64 s[4:5], 0
.LBB158_10:
	v_cmp_gt_u32_e32 vcc, v5, v4
	s_andn2_b64 s[4:5], s[4:5], exec
	s_and_b64 s[10:11], vcc, exec
	s_or_b64 s[4:5], s[4:5], s[10:11]
.LBB158_11:
	s_and_saveexec_b64 s[10:11], s[4:5]
; %bb.12:
	v_mov_b32_e32 v6, 0
	v_mov_b32_e32 v7, v6
	ds_write_b64 v3, v[6:7]
; %bb.13:
	s_or_b64 exec, exec, s[10:11]
	s_waitcnt lgkmcnt(0)
	s_barrier
	s_and_saveexec_b64 s[4:5], s[2:3]
	s_cbranch_execz .LBB158_15
; %bb.14:
	ds_read2_b64 v[6:9], v0 offset1:32
	v_lshlrev_b32_e32 v1, 3, v2
	ds_read_b128 v[10:13], v1 offset:8192
	ds_read_b128 v[14:17], v1 offset:8208
	ds_read2_b64 v[18:21], v0 offset0:64 offset1:96
	ds_read_b128 v[22:25], v1 offset:8224
	ds_read_b128 v[26:29], v1 offset:8240
	ds_read2_b64 v[30:33], v0 offset0:128 offset1:160
	v_add_u32_e32 v5, 0x800, v0
	s_load_dwordx2 s[0:1], s[0:1], 0x60
	s_waitcnt lgkmcnt(0)
	v_fma_f64 v[2:3], v[6:7], v[10:11], 0
	v_fmac_f64_e32 v[2:3], v[8:9], v[12:13]
	ds_read2_b64 v[6:9], v0 offset0:192 offset1:224
	v_fmac_f64_e32 v[2:3], v[18:19], v[14:15]
	v_fmac_f64_e32 v[2:3], v[20:21], v[16:17]
	;; [unrolled: 1-line block ×4, first 2 shown]
	ds_read2_b64 v[10:13], v5 offset1:32
	ds_read_b128 v[14:17], v1 offset:8256
	s_waitcnt lgkmcnt(2)
	v_fmac_f64_e32 v[2:3], v[6:7], v[26:27]
	v_fmac_f64_e32 v[2:3], v[8:9], v[28:29]
	ds_read2_b64 v[6:9], v5 offset0:64 offset1:96
	ds_read_b128 v[18:21], v1 offset:8272
	ds_read2_b64 v[22:25], v5 offset0:128 offset1:160
	ds_read_b128 v[26:29], v1 offset:8288
	s_waitcnt lgkmcnt(4)
	v_fmac_f64_e32 v[2:3], v[10:11], v[14:15]
	v_fmac_f64_e32 v[2:3], v[12:13], v[16:17]
	ds_read2_b64 v[10:13], v5 offset0:192 offset1:224
	s_waitcnt lgkmcnt(3)
	v_fmac_f64_e32 v[2:3], v[6:7], v[18:19]
	v_fmac_f64_e32 v[2:3], v[8:9], v[20:21]
	ds_read_b128 v[6:9], v1 offset:8304
	s_waitcnt lgkmcnt(2)
	v_fmac_f64_e32 v[2:3], v[22:23], v[26:27]
	v_add_u32_e32 v5, 0x1000, v0
	v_fmac_f64_e32 v[2:3], v[24:25], v[28:29]
	ds_read2_b64 v[14:17], v5 offset1:32
	ds_read_b128 v[18:21], v1 offset:8320
	s_waitcnt lgkmcnt(2)
	v_fmac_f64_e32 v[2:3], v[10:11], v[6:7]
	v_fmac_f64_e32 v[2:3], v[12:13], v[8:9]
	ds_read2_b64 v[6:9], v5 offset0:64 offset1:96
	ds_read_b128 v[10:13], v1 offset:8336
	ds_read2_b64 v[22:25], v5 offset0:128 offset1:160
	ds_read_b128 v[26:29], v1 offset:8352
	s_waitcnt lgkmcnt(4)
	v_fmac_f64_e32 v[2:3], v[14:15], v[18:19]
	v_fmac_f64_e32 v[2:3], v[16:17], v[20:21]
	s_lshl_b64 s[0:1], s[0:1], 3
	s_waitcnt lgkmcnt(2)
	v_fmac_f64_e32 v[2:3], v[6:7], v[10:11]
	v_fmac_f64_e32 v[2:3], v[8:9], v[12:13]
	ds_read_b128 v[6:9], v1 offset:8368
	ds_read2_b64 v[10:13], v5 offset0:192 offset1:224
	s_waitcnt lgkmcnt(2)
	v_fmac_f64_e32 v[2:3], v[22:23], v[26:27]
	v_add_u32_e32 v5, 0x1800, v0
	ds_read2_b64 v[14:17], v5 offset1:32
	ds_read_b128 v[18:21], v1 offset:8384
	v_fmac_f64_e32 v[2:3], v[24:25], v[28:29]
	s_waitcnt lgkmcnt(2)
	v_fmac_f64_e32 v[2:3], v[10:11], v[6:7]
	v_fmac_f64_e32 v[2:3], v[12:13], v[8:9]
	ds_read_b128 v[6:9], v1 offset:8400
	s_waitcnt lgkmcnt(1)
	v_fmac_f64_e32 v[2:3], v[14:15], v[18:19]
	s_mul_i32 s2, s6, s13
	s_mul_hi_u32 s3, s6, s12
	s_add_u32 s5, s8, s0
	v_fmac_f64_e32 v[2:3], v[16:17], v[20:21]
	ds_read2_b64 v[10:13], v5 offset0:64 offset1:96
	ds_read2_b64 v[14:17], v5 offset0:128 offset1:160
	ds_read_b128 v[18:21], v1 offset:8416
	ds_read2_b64 v[22:25], v5 offset0:192 offset1:224
	ds_read_b128 v[26:29], v1 offset:8432
	s_mul_i32 s4, s7, s12
	s_addc_u32 s8, s9, s1
	s_add_i32 s0, s3, s2
	s_waitcnt lgkmcnt(4)
	v_fmac_f64_e32 v[2:3], v[10:11], v[6:7]
	s_add_i32 s1, s0, s4
	s_mul_i32 s0, s6, s12
	v_fmac_f64_e32 v[2:3], v[12:13], v[8:9]
	v_mad_u64_u32 v[6:7], s[2:3], s6, v4, 0
	s_lshl_b64 s[0:1], s[0:1], 3
	s_waitcnt lgkmcnt(2)
	v_fmac_f64_e32 v[2:3], v[14:15], v[18:19]
	v_mov_b32_e32 v8, v7
	s_add_u32 s0, s5, s0
	v_fmac_f64_e32 v[2:3], v[16:17], v[20:21]
	v_mad_u64_u32 v[4:5], s[2:3], s7, v4, v[8:9]
	s_addc_u32 s1, s8, s1
	s_waitcnt lgkmcnt(0)
	v_fmac_f64_e32 v[2:3], v[22:23], v[26:27]
	v_mov_b32_e32 v7, v4
	v_fmac_f64_e32 v[2:3], v[24:25], v[28:29]
	v_lshl_add_u64 v[4:5], v[6:7], 3, s[0:1]
	v_mov_b32_e32 v1, 0
	v_mul_f64 v[2:3], s[24:25], v[2:3]
	v_lshl_add_u64 v[0:1], v[4:5], 0, v[0:1]
	flat_store_dwordx2 v[0:1], v[2:3]
.LBB158_15:
	s_endpgm
	.section	.rodata,"a",@progbits
	.p2align	6, 0x0
	.amdhsa_kernel _ZL23rocblas_trmm_lTx_kernelILi32ELb0EdPKdKS1_KPdEv13rocblas_fill_17rocblas_diagonal_iiT2_lPT3_llS9_llPT4_lli
		.amdhsa_group_segment_fixed_size 16384
		.amdhsa_private_segment_fixed_size 0
		.amdhsa_kernarg_size 108
		.amdhsa_user_sgpr_count 2
		.amdhsa_user_sgpr_dispatch_ptr 0
		.amdhsa_user_sgpr_queue_ptr 0
		.amdhsa_user_sgpr_kernarg_segment_ptr 1
		.amdhsa_user_sgpr_dispatch_id 0
		.amdhsa_user_sgpr_kernarg_preload_length 0
		.amdhsa_user_sgpr_kernarg_preload_offset 0
		.amdhsa_user_sgpr_private_segment_size 0
		.amdhsa_uses_dynamic_stack 0
		.amdhsa_enable_private_segment 0
		.amdhsa_system_sgpr_workgroup_id_x 1
		.amdhsa_system_sgpr_workgroup_id_y 0
		.amdhsa_system_sgpr_workgroup_id_z 1
		.amdhsa_system_sgpr_workgroup_info 0
		.amdhsa_system_vgpr_workitem_id 1
		.amdhsa_next_free_vgpr 34
		.amdhsa_next_free_sgpr 32
		.amdhsa_accum_offset 36
		.amdhsa_reserve_vcc 1
		.amdhsa_float_round_mode_32 0
		.amdhsa_float_round_mode_16_64 0
		.amdhsa_float_denorm_mode_32 3
		.amdhsa_float_denorm_mode_16_64 3
		.amdhsa_dx10_clamp 1
		.amdhsa_ieee_mode 1
		.amdhsa_fp16_overflow 0
		.amdhsa_tg_split 0
		.amdhsa_exception_fp_ieee_invalid_op 0
		.amdhsa_exception_fp_denorm_src 0
		.amdhsa_exception_fp_ieee_div_zero 0
		.amdhsa_exception_fp_ieee_overflow 0
		.amdhsa_exception_fp_ieee_underflow 0
		.amdhsa_exception_fp_ieee_inexact 0
		.amdhsa_exception_int_div_zero 0
	.end_amdhsa_kernel
	.section	.text._ZL23rocblas_trmm_lTx_kernelILi32ELb0EdPKdKS1_KPdEv13rocblas_fill_17rocblas_diagonal_iiT2_lPT3_llS9_llPT4_lli,"axG",@progbits,_ZL23rocblas_trmm_lTx_kernelILi32ELb0EdPKdKS1_KPdEv13rocblas_fill_17rocblas_diagonal_iiT2_lPT3_llS9_llPT4_lli,comdat
.Lfunc_end158:
	.size	_ZL23rocblas_trmm_lTx_kernelILi32ELb0EdPKdKS1_KPdEv13rocblas_fill_17rocblas_diagonal_iiT2_lPT3_llS9_llPT4_lli, .Lfunc_end158-_ZL23rocblas_trmm_lTx_kernelILi32ELb0EdPKdKS1_KPdEv13rocblas_fill_17rocblas_diagonal_iiT2_lPT3_llS9_llPT4_lli
                                        ; -- End function
	.set _ZL23rocblas_trmm_lTx_kernelILi32ELb0EdPKdKS1_KPdEv13rocblas_fill_17rocblas_diagonal_iiT2_lPT3_llS9_llPT4_lli.num_vgpr, 34
	.set _ZL23rocblas_trmm_lTx_kernelILi32ELb0EdPKdKS1_KPdEv13rocblas_fill_17rocblas_diagonal_iiT2_lPT3_llS9_llPT4_lli.num_agpr, 0
	.set _ZL23rocblas_trmm_lTx_kernelILi32ELb0EdPKdKS1_KPdEv13rocblas_fill_17rocblas_diagonal_iiT2_lPT3_llS9_llPT4_lli.numbered_sgpr, 32
	.set _ZL23rocblas_trmm_lTx_kernelILi32ELb0EdPKdKS1_KPdEv13rocblas_fill_17rocblas_diagonal_iiT2_lPT3_llS9_llPT4_lli.num_named_barrier, 0
	.set _ZL23rocblas_trmm_lTx_kernelILi32ELb0EdPKdKS1_KPdEv13rocblas_fill_17rocblas_diagonal_iiT2_lPT3_llS9_llPT4_lli.private_seg_size, 0
	.set _ZL23rocblas_trmm_lTx_kernelILi32ELb0EdPKdKS1_KPdEv13rocblas_fill_17rocblas_diagonal_iiT2_lPT3_llS9_llPT4_lli.uses_vcc, 1
	.set _ZL23rocblas_trmm_lTx_kernelILi32ELb0EdPKdKS1_KPdEv13rocblas_fill_17rocblas_diagonal_iiT2_lPT3_llS9_llPT4_lli.uses_flat_scratch, 0
	.set _ZL23rocblas_trmm_lTx_kernelILi32ELb0EdPKdKS1_KPdEv13rocblas_fill_17rocblas_diagonal_iiT2_lPT3_llS9_llPT4_lli.has_dyn_sized_stack, 0
	.set _ZL23rocblas_trmm_lTx_kernelILi32ELb0EdPKdKS1_KPdEv13rocblas_fill_17rocblas_diagonal_iiT2_lPT3_llS9_llPT4_lli.has_recursion, 0
	.set _ZL23rocblas_trmm_lTx_kernelILi32ELb0EdPKdKS1_KPdEv13rocblas_fill_17rocblas_diagonal_iiT2_lPT3_llS9_llPT4_lli.has_indirect_call, 0
	.section	.AMDGPU.csdata,"",@progbits
; Kernel info:
; codeLenInByte = 1236
; TotalNumSgprs: 38
; NumVgprs: 34
; NumAgprs: 0
; TotalNumVgprs: 34
; ScratchSize: 0
; MemoryBound: 0
; FloatMode: 240
; IeeeMode: 1
; LDSByteSize: 16384 bytes/workgroup (compile time only)
; SGPRBlocks: 4
; VGPRBlocks: 4
; NumSGPRsForWavesPerEU: 38
; NumVGPRsForWavesPerEU: 34
; AccumOffset: 36
; Occupancy: 8
; WaveLimiterHint : 1
; COMPUTE_PGM_RSRC2:SCRATCH_EN: 0
; COMPUTE_PGM_RSRC2:USER_SGPR: 2
; COMPUTE_PGM_RSRC2:TRAP_HANDLER: 0
; COMPUTE_PGM_RSRC2:TGID_X_EN: 1
; COMPUTE_PGM_RSRC2:TGID_Y_EN: 0
; COMPUTE_PGM_RSRC2:TGID_Z_EN: 1
; COMPUTE_PGM_RSRC2:TIDIG_COMP_CNT: 1
; COMPUTE_PGM_RSRC3_GFX90A:ACCUM_OFFSET: 8
; COMPUTE_PGM_RSRC3_GFX90A:TG_SPLIT: 0
	.section	.text._ZL23rocblas_trmm_lTx_kernelILi32ELb0EddKPKdKPdEv13rocblas_fill_17rocblas_diagonal_iiT2_lPT3_llS9_llPT4_lli,"axG",@progbits,_ZL23rocblas_trmm_lTx_kernelILi32ELb0EddKPKdKPdEv13rocblas_fill_17rocblas_diagonal_iiT2_lPT3_llS9_llPT4_lli,comdat
	.globl	_ZL23rocblas_trmm_lTx_kernelILi32ELb0EddKPKdKPdEv13rocblas_fill_17rocblas_diagonal_iiT2_lPT3_llS9_llPT4_lli ; -- Begin function _ZL23rocblas_trmm_lTx_kernelILi32ELb0EddKPKdKPdEv13rocblas_fill_17rocblas_diagonal_iiT2_lPT3_llS9_llPT4_lli
	.p2align	8
	.type	_ZL23rocblas_trmm_lTx_kernelILi32ELb0EddKPKdKPdEv13rocblas_fill_17rocblas_diagonal_iiT2_lPT3_llS9_llPT4_lli,@function
_ZL23rocblas_trmm_lTx_kernelILi32ELb0EddKPKdKPdEv13rocblas_fill_17rocblas_diagonal_iiT2_lPT3_llS9_llPT4_lli: ; @_ZL23rocblas_trmm_lTx_kernelILi32ELb0EddKPKdKPdEv13rocblas_fill_17rocblas_diagonal_iiT2_lPT3_llS9_llPT4_lli
; %bb.0:
	s_load_dwordx2 s[24:25], s[0:1], 0x10
	s_waitcnt lgkmcnt(0)
	v_cmp_eq_f64_e64 s[4:5], s[24:25], 0
	s_and_b64 vcc, exec, s[4:5]
	s_cbranch_vccnz .LBB159_15
; %bb.1:
	s_load_dwordx4 s[20:23], s[0:1], 0x0
	s_load_dwordx16 s[4:19], s[0:1], 0x20
	s_mov_b32 s28, s3
	s_mov_b32 s29, 0
	s_lshl_b64 s[34:35], s[28:29], 3
	v_bfe_u32 v4, v0, 10, 10
	s_waitcnt lgkmcnt(0)
	s_add_u32 s4, s4, s34
	s_addc_u32 s5, s5, s35
	s_load_dwordx2 s[30:31], s[4:5], 0x0
	s_add_u32 s4, s10, s34
	s_addc_u32 s5, s11, s35
	s_load_dwordx2 s[26:27], s[4:5], 0x0
	;; [unrolled: 3-line block ×3, first 2 shown]
	v_and_b32_e32 v3, 0x3ff, v0
	v_lshlrev_b32_e32 v2, 5, v4
	s_mov_b32 s28, s29
	v_add_lshl_u32 v5, v2, v3, 3
	v_mov_b64_e32 v[0:1], s[28:29]
	v_cmp_gt_i32_e64 s[4:5], s22, v4
	v_cmp_gt_i32_e32 vcc, s22, v3
	ds_write2st64_b64 v5, v[0:1], v[0:1] offset1:16
	s_and_b64 s[16:17], s[4:5], vcc
	v_lshlrev_b32_e32 v0, 3, v3
	s_waitcnt lgkmcnt(0)
	s_barrier
	s_and_saveexec_b64 s[4:5], s[16:17]
	s_cbranch_execz .LBB159_3
; %bb.2:
	v_mad_u64_u32 v[6:7], s[16:17], s6, v4, 0
	s_lshl_b64 s[8:9], s[8:9], 3
	v_mov_b32_e32 v8, v7
	s_add_u32 s8, s30, s8
	v_mad_u64_u32 v[8:9], s[6:7], s7, v4, v[8:9]
	s_addc_u32 s9, s31, s9
	v_mov_b32_e32 v7, v8
	v_lshl_add_u64 v[6:7], v[6:7], 3, s[8:9]
	v_mov_b32_e32 v1, 0
	v_lshl_add_u64 v[6:7], v[6:7], 0, v[0:1]
	flat_load_dwordx2 v[6:7], v[6:7]
	v_lshlrev_b32_e32 v1, 3, v4
	v_lshl_add_u32 v1, v3, 8, v1
	s_waitcnt vmcnt(0) lgkmcnt(0)
	ds_write_b64 v1, v[6:7]
.LBB159_3:
	s_or_b64 exec, exec, s[4:5]
	s_add_i32 s3, s23, -1
	s_ashr_i32 s4, s3, 31
	s_lshr_b32 s4, s4, 27
	s_add_i32 s3, s3, s4
	s_ashr_i32 s4, s3, 5
	s_andn2_b32 s3, s3, 31
	s_sub_i32 s3, s23, s3
	s_cmp_ge_i32 s2, s4
	s_cselect_b32 s3, s3, 32
	s_lshl_b32 s8, s2, 5
	v_cmp_gt_i32_e64 s[2:3], s3, v4
	s_ashr_i32 s9, s8, 31
	s_and_b64 s[2:3], vcc, s[2:3]
	s_and_saveexec_b64 s[4:5], s[2:3]
	s_cbranch_execz .LBB159_5
; %bb.4:
	s_lshl_b64 s[6:7], s[14:15], 3
	s_add_u32 s14, s26, s6
	s_addc_u32 s15, s27, s7
	s_mul_i32 s6, s12, s9
	s_mul_hi_u32 s7, s12, s8
	s_add_i32 s6, s7, s6
	s_mul_i32 s7, s13, s8
	s_add_i32 s7, s6, s7
	s_mul_i32 s6, s12, s8
	s_lshl_b64 s[6:7], s[6:7], 3
	s_add_u32 s6, s14, s6
	s_addc_u32 s7, s15, s7
	v_mad_u64_u32 v[6:7], s[14:15], s12, v4, 0
	v_mov_b32_e32 v8, v7
	v_mad_u64_u32 v[8:9], s[12:13], s13, v4, v[8:9]
	v_mov_b32_e32 v7, v8
	v_lshl_add_u64 v[6:7], v[6:7], 3, s[6:7]
	v_mov_b32_e32 v1, 0
	v_lshl_add_u64 v[6:7], v[6:7], 0, v[0:1]
	flat_load_dwordx2 v[6:7], v[6:7]
	v_add_u32_e32 v1, 0x2000, v5
	s_waitcnt vmcnt(0) lgkmcnt(0)
	ds_write_b64 v1, v[6:7]
.LBB159_5:
	s_or_b64 exec, exec, s[4:5]
	s_cmpk_eq_i32 s21, 0x84
	s_cselect_b64 s[4:5], -1, 0
	v_cmp_eq_u32_e32 vcc, v4, v3
	s_and_b64 s[6:7], vcc, s[4:5]
	s_and_saveexec_b64 s[4:5], s[6:7]
; %bb.6:
	v_mov_b32_e32 v6, 0
	v_mov_b32_e32 v7, 0x3ff00000
	ds_write_b64 v5, v[6:7]
; %bb.7:
	s_or_b64 exec, exec, s[4:5]
	s_cmpk_lg_i32 s20, 0x7a
	s_waitcnt lgkmcnt(0)
	s_barrier
	s_cbranch_scc0 .LBB159_9
; %bb.8:
	v_cmp_lt_u32_e32 vcc, v3, v4
	s_and_b64 s[4:5], vcc, exec
	s_cbranch_execz .LBB159_10
	s_branch .LBB159_11
.LBB159_9:
	s_mov_b64 s[4:5], 0
.LBB159_10:
	v_cmp_gt_u32_e32 vcc, v3, v4
	s_andn2_b64 s[4:5], s[4:5], exec
	s_and_b64 s[6:7], vcc, exec
	s_or_b64 s[4:5], s[4:5], s[6:7]
.LBB159_11:
	s_and_saveexec_b64 s[6:7], s[4:5]
; %bb.12:
	v_mov_b32_e32 v6, 0
	v_mov_b32_e32 v7, v6
	ds_write_b64 v5, v[6:7]
; %bb.13:
	s_or_b64 exec, exec, s[6:7]
	s_waitcnt lgkmcnt(0)
	s_barrier
	s_and_saveexec_b64 s[4:5], s[2:3]
	s_cbranch_execz .LBB159_15
; %bb.14:
	ds_read2_b64 v[6:9], v0 offset1:32
	v_lshlrev_b32_e32 v1, 3, v2
	ds_read_b128 v[10:13], v1 offset:8192
	ds_read_b128 v[14:17], v1 offset:8208
	ds_read2_b64 v[18:21], v0 offset0:64 offset1:96
	ds_read_b128 v[22:25], v1 offset:8224
	ds_read_b128 v[26:29], v1 offset:8240
	ds_read2_b64 v[30:33], v0 offset0:128 offset1:160
	v_add_u32_e32 v5, 0x800, v0
	s_load_dwordx2 s[0:1], s[0:1], 0x60
	s_waitcnt lgkmcnt(0)
	v_fma_f64 v[2:3], v[6:7], v[10:11], 0
	v_fmac_f64_e32 v[2:3], v[8:9], v[12:13]
	ds_read2_b64 v[6:9], v0 offset0:192 offset1:224
	v_fmac_f64_e32 v[2:3], v[18:19], v[14:15]
	v_fmac_f64_e32 v[2:3], v[20:21], v[16:17]
	v_fmac_f64_e32 v[2:3], v[30:31], v[22:23]
	v_fmac_f64_e32 v[2:3], v[32:33], v[24:25]
	ds_read2_b64 v[10:13], v5 offset1:32
	ds_read_b128 v[14:17], v1 offset:8256
	s_waitcnt lgkmcnt(2)
	v_fmac_f64_e32 v[2:3], v[6:7], v[26:27]
	v_fmac_f64_e32 v[2:3], v[8:9], v[28:29]
	ds_read2_b64 v[6:9], v5 offset0:64 offset1:96
	ds_read_b128 v[18:21], v1 offset:8272
	ds_read2_b64 v[22:25], v5 offset0:128 offset1:160
	ds_read_b128 v[26:29], v1 offset:8288
	s_waitcnt lgkmcnt(4)
	v_fmac_f64_e32 v[2:3], v[10:11], v[14:15]
	v_fmac_f64_e32 v[2:3], v[12:13], v[16:17]
	ds_read2_b64 v[10:13], v5 offset0:192 offset1:224
	s_waitcnt lgkmcnt(3)
	v_fmac_f64_e32 v[2:3], v[6:7], v[18:19]
	v_fmac_f64_e32 v[2:3], v[8:9], v[20:21]
	ds_read_b128 v[6:9], v1 offset:8304
	s_waitcnt lgkmcnt(2)
	v_fmac_f64_e32 v[2:3], v[22:23], v[26:27]
	v_add_u32_e32 v5, 0x1000, v0
	v_fmac_f64_e32 v[2:3], v[24:25], v[28:29]
	ds_read2_b64 v[14:17], v5 offset1:32
	ds_read_b128 v[18:21], v1 offset:8320
	s_waitcnt lgkmcnt(2)
	v_fmac_f64_e32 v[2:3], v[10:11], v[6:7]
	v_fmac_f64_e32 v[2:3], v[12:13], v[8:9]
	ds_read2_b64 v[6:9], v5 offset0:64 offset1:96
	ds_read_b128 v[10:13], v1 offset:8336
	ds_read2_b64 v[22:25], v5 offset0:128 offset1:160
	ds_read_b128 v[26:29], v1 offset:8352
	s_waitcnt lgkmcnt(4)
	v_fmac_f64_e32 v[2:3], v[14:15], v[18:19]
	v_fmac_f64_e32 v[2:3], v[16:17], v[20:21]
	s_lshl_b64 s[0:1], s[0:1], 3
	s_waitcnt lgkmcnt(2)
	v_fmac_f64_e32 v[2:3], v[6:7], v[10:11]
	v_fmac_f64_e32 v[2:3], v[8:9], v[12:13]
	ds_read_b128 v[6:9], v1 offset:8368
	ds_read2_b64 v[10:13], v5 offset0:192 offset1:224
	s_waitcnt lgkmcnt(2)
	v_fmac_f64_e32 v[2:3], v[22:23], v[26:27]
	v_add_u32_e32 v5, 0x1800, v0
	ds_read2_b64 v[14:17], v5 offset1:32
	ds_read_b128 v[18:21], v1 offset:8384
	v_fmac_f64_e32 v[2:3], v[24:25], v[28:29]
	s_waitcnt lgkmcnt(2)
	v_fmac_f64_e32 v[2:3], v[10:11], v[6:7]
	v_fmac_f64_e32 v[2:3], v[12:13], v[8:9]
	ds_read_b128 v[6:9], v1 offset:8400
	s_waitcnt lgkmcnt(1)
	v_fmac_f64_e32 v[2:3], v[14:15], v[18:19]
	s_mul_i32 s2, s18, s9
	s_mul_hi_u32 s3, s18, s8
	s_add_u32 s5, s10, s0
	v_fmac_f64_e32 v[2:3], v[16:17], v[20:21]
	ds_read2_b64 v[10:13], v5 offset0:64 offset1:96
	ds_read2_b64 v[14:17], v5 offset0:128 offset1:160
	ds_read_b128 v[18:21], v1 offset:8416
	ds_read2_b64 v[22:25], v5 offset0:192 offset1:224
	ds_read_b128 v[26:29], v1 offset:8432
	s_mul_i32 s4, s19, s8
	s_addc_u32 s6, s11, s1
	s_add_i32 s0, s3, s2
	s_waitcnt lgkmcnt(4)
	v_fmac_f64_e32 v[2:3], v[10:11], v[6:7]
	s_add_i32 s1, s0, s4
	s_mul_i32 s0, s18, s8
	v_fmac_f64_e32 v[2:3], v[12:13], v[8:9]
	v_mad_u64_u32 v[6:7], s[2:3], s18, v4, 0
	s_lshl_b64 s[0:1], s[0:1], 3
	s_waitcnt lgkmcnt(2)
	v_fmac_f64_e32 v[2:3], v[14:15], v[18:19]
	v_mov_b32_e32 v8, v7
	s_add_u32 s0, s5, s0
	v_fmac_f64_e32 v[2:3], v[16:17], v[20:21]
	v_mad_u64_u32 v[4:5], s[2:3], s19, v4, v[8:9]
	s_addc_u32 s1, s6, s1
	s_waitcnt lgkmcnt(0)
	v_fmac_f64_e32 v[2:3], v[22:23], v[26:27]
	v_mov_b32_e32 v7, v4
	v_fmac_f64_e32 v[2:3], v[24:25], v[28:29]
	v_lshl_add_u64 v[4:5], v[6:7], 3, s[0:1]
	v_mov_b32_e32 v1, 0
	v_mul_f64 v[2:3], s[24:25], v[2:3]
	v_lshl_add_u64 v[0:1], v[4:5], 0, v[0:1]
	flat_store_dwordx2 v[0:1], v[2:3]
.LBB159_15:
	s_endpgm
	.section	.rodata,"a",@progbits
	.p2align	6, 0x0
	.amdhsa_kernel _ZL23rocblas_trmm_lTx_kernelILi32ELb0EddKPKdKPdEv13rocblas_fill_17rocblas_diagonal_iiT2_lPT3_llS9_llPT4_lli
		.amdhsa_group_segment_fixed_size 16384
		.amdhsa_private_segment_fixed_size 0
		.amdhsa_kernarg_size 108
		.amdhsa_user_sgpr_count 2
		.amdhsa_user_sgpr_dispatch_ptr 0
		.amdhsa_user_sgpr_queue_ptr 0
		.amdhsa_user_sgpr_kernarg_segment_ptr 1
		.amdhsa_user_sgpr_dispatch_id 0
		.amdhsa_user_sgpr_kernarg_preload_length 0
		.amdhsa_user_sgpr_kernarg_preload_offset 0
		.amdhsa_user_sgpr_private_segment_size 0
		.amdhsa_uses_dynamic_stack 0
		.amdhsa_enable_private_segment 0
		.amdhsa_system_sgpr_workgroup_id_x 1
		.amdhsa_system_sgpr_workgroup_id_y 0
		.amdhsa_system_sgpr_workgroup_id_z 1
		.amdhsa_system_sgpr_workgroup_info 0
		.amdhsa_system_vgpr_workitem_id 1
		.amdhsa_next_free_vgpr 34
		.amdhsa_next_free_sgpr 36
		.amdhsa_accum_offset 36
		.amdhsa_reserve_vcc 1
		.amdhsa_float_round_mode_32 0
		.amdhsa_float_round_mode_16_64 0
		.amdhsa_float_denorm_mode_32 3
		.amdhsa_float_denorm_mode_16_64 3
		.amdhsa_dx10_clamp 1
		.amdhsa_ieee_mode 1
		.amdhsa_fp16_overflow 0
		.amdhsa_tg_split 0
		.amdhsa_exception_fp_ieee_invalid_op 0
		.amdhsa_exception_fp_denorm_src 0
		.amdhsa_exception_fp_ieee_div_zero 0
		.amdhsa_exception_fp_ieee_overflow 0
		.amdhsa_exception_fp_ieee_underflow 0
		.amdhsa_exception_fp_ieee_inexact 0
		.amdhsa_exception_int_div_zero 0
	.end_amdhsa_kernel
	.section	.text._ZL23rocblas_trmm_lTx_kernelILi32ELb0EddKPKdKPdEv13rocblas_fill_17rocblas_diagonal_iiT2_lPT3_llS9_llPT4_lli,"axG",@progbits,_ZL23rocblas_trmm_lTx_kernelILi32ELb0EddKPKdKPdEv13rocblas_fill_17rocblas_diagonal_iiT2_lPT3_llS9_llPT4_lli,comdat
.Lfunc_end159:
	.size	_ZL23rocblas_trmm_lTx_kernelILi32ELb0EddKPKdKPdEv13rocblas_fill_17rocblas_diagonal_iiT2_lPT3_llS9_llPT4_lli, .Lfunc_end159-_ZL23rocblas_trmm_lTx_kernelILi32ELb0EddKPKdKPdEv13rocblas_fill_17rocblas_diagonal_iiT2_lPT3_llS9_llPT4_lli
                                        ; -- End function
	.set _ZL23rocblas_trmm_lTx_kernelILi32ELb0EddKPKdKPdEv13rocblas_fill_17rocblas_diagonal_iiT2_lPT3_llS9_llPT4_lli.num_vgpr, 34
	.set _ZL23rocblas_trmm_lTx_kernelILi32ELb0EddKPKdKPdEv13rocblas_fill_17rocblas_diagonal_iiT2_lPT3_llS9_llPT4_lli.num_agpr, 0
	.set _ZL23rocblas_trmm_lTx_kernelILi32ELb0EddKPKdKPdEv13rocblas_fill_17rocblas_diagonal_iiT2_lPT3_llS9_llPT4_lli.numbered_sgpr, 36
	.set _ZL23rocblas_trmm_lTx_kernelILi32ELb0EddKPKdKPdEv13rocblas_fill_17rocblas_diagonal_iiT2_lPT3_llS9_llPT4_lli.num_named_barrier, 0
	.set _ZL23rocblas_trmm_lTx_kernelILi32ELb0EddKPKdKPdEv13rocblas_fill_17rocblas_diagonal_iiT2_lPT3_llS9_llPT4_lli.private_seg_size, 0
	.set _ZL23rocblas_trmm_lTx_kernelILi32ELb0EddKPKdKPdEv13rocblas_fill_17rocblas_diagonal_iiT2_lPT3_llS9_llPT4_lli.uses_vcc, 1
	.set _ZL23rocblas_trmm_lTx_kernelILi32ELb0EddKPKdKPdEv13rocblas_fill_17rocblas_diagonal_iiT2_lPT3_llS9_llPT4_lli.uses_flat_scratch, 0
	.set _ZL23rocblas_trmm_lTx_kernelILi32ELb0EddKPKdKPdEv13rocblas_fill_17rocblas_diagonal_iiT2_lPT3_llS9_llPT4_lli.has_dyn_sized_stack, 0
	.set _ZL23rocblas_trmm_lTx_kernelILi32ELb0EddKPKdKPdEv13rocblas_fill_17rocblas_diagonal_iiT2_lPT3_llS9_llPT4_lli.has_recursion, 0
	.set _ZL23rocblas_trmm_lTx_kernelILi32ELb0EddKPKdKPdEv13rocblas_fill_17rocblas_diagonal_iiT2_lPT3_llS9_llPT4_lli.has_indirect_call, 0
	.section	.AMDGPU.csdata,"",@progbits
; Kernel info:
; codeLenInByte = 1196
; TotalNumSgprs: 42
; NumVgprs: 34
; NumAgprs: 0
; TotalNumVgprs: 34
; ScratchSize: 0
; MemoryBound: 0
; FloatMode: 240
; IeeeMode: 1
; LDSByteSize: 16384 bytes/workgroup (compile time only)
; SGPRBlocks: 5
; VGPRBlocks: 4
; NumSGPRsForWavesPerEU: 42
; NumVGPRsForWavesPerEU: 34
; AccumOffset: 36
; Occupancy: 8
; WaveLimiterHint : 1
; COMPUTE_PGM_RSRC2:SCRATCH_EN: 0
; COMPUTE_PGM_RSRC2:USER_SGPR: 2
; COMPUTE_PGM_RSRC2:TRAP_HANDLER: 0
; COMPUTE_PGM_RSRC2:TGID_X_EN: 1
; COMPUTE_PGM_RSRC2:TGID_Y_EN: 0
; COMPUTE_PGM_RSRC2:TGID_Z_EN: 1
; COMPUTE_PGM_RSRC2:TIDIG_COMP_CNT: 1
; COMPUTE_PGM_RSRC3_GFX90A:ACCUM_OFFSET: 8
; COMPUTE_PGM_RSRC3_GFX90A:TG_SPLIT: 0
	.section	.text._ZL23rocblas_trmm_lTx_kernelILi32ELb1EdPKdKS1_KPdEv13rocblas_fill_17rocblas_diagonal_iiT2_lPT3_llS9_llPT4_lli,"axG",@progbits,_ZL23rocblas_trmm_lTx_kernelILi32ELb1EdPKdKS1_KPdEv13rocblas_fill_17rocblas_diagonal_iiT2_lPT3_llS9_llPT4_lli,comdat
	.globl	_ZL23rocblas_trmm_lTx_kernelILi32ELb1EdPKdKS1_KPdEv13rocblas_fill_17rocblas_diagonal_iiT2_lPT3_llS9_llPT4_lli ; -- Begin function _ZL23rocblas_trmm_lTx_kernelILi32ELb1EdPKdKS1_KPdEv13rocblas_fill_17rocblas_diagonal_iiT2_lPT3_llS9_llPT4_lli
	.p2align	8
	.type	_ZL23rocblas_trmm_lTx_kernelILi32ELb1EdPKdKS1_KPdEv13rocblas_fill_17rocblas_diagonal_iiT2_lPT3_llS9_llPT4_lli,@function
_ZL23rocblas_trmm_lTx_kernelILi32ELb1EdPKdKS1_KPdEv13rocblas_fill_17rocblas_diagonal_iiT2_lPT3_llS9_llPT4_lli: ; @_ZL23rocblas_trmm_lTx_kernelILi32ELb1EdPKdKS1_KPdEv13rocblas_fill_17rocblas_diagonal_iiT2_lPT3_llS9_llPT4_lli
; %bb.0:
	s_load_dwordx16 s[4:19], s[0:1], 0x10
	s_mov_b32 s26, s3
	s_waitcnt lgkmcnt(0)
	s_mul_i32 s3, s7, s3
	s_mul_hi_u32 s7, s6, s26
	s_add_i32 s7, s7, s3
	s_mul_i32 s6, s6, s26
	s_lshl_b64 s[6:7], s[6:7], 3
	s_add_u32 s4, s4, s6
	s_addc_u32 s5, s5, s7
	s_load_dwordx2 s[24:25], s[4:5], 0x0
	s_waitcnt lgkmcnt(0)
	v_cmp_eq_f64_e64 s[4:5], s[24:25], 0
	s_and_b64 vcc, exec, s[4:5]
	s_cbranch_vccnz .LBB160_15
; %bb.1:
	s_mov_b32 s27, 0
	s_load_dwordx4 s[20:23], s[0:1], 0x0
	s_load_dwordx4 s[4:7], s[0:1], 0x50
	s_lshl_b64 s[30:31], s[26:27], 3
	s_add_u32 s8, s8, s30
	s_addc_u32 s9, s9, s31
	s_load_dwordx2 s[28:29], s[8:9], 0x0
	s_add_u32 s8, s14, s30
	s_addc_u32 s9, s15, s31
	s_waitcnt lgkmcnt(0)
	s_add_u32 s4, s4, s30
	s_addc_u32 s5, s5, s31
	s_load_dwordx2 s[14:15], s[8:9], 0x0
	v_bfe_u32 v4, v0, 10, 10
	s_load_dwordx2 s[8:9], s[4:5], 0x0
	v_and_b32_e32 v5, 0x3ff, v0
	v_lshlrev_b32_e32 v2, 5, v4
	s_mov_b32 s26, s27
	v_add_lshl_u32 v3, v2, v5, 3
	v_mov_b64_e32 v[0:1], s[26:27]
	v_cmp_gt_i32_e64 s[4:5], s22, v4
	v_cmp_gt_i32_e32 vcc, s22, v5
	ds_write2st64_b64 v3, v[0:1], v[0:1] offset1:16
	s_and_b64 s[26:27], s[4:5], vcc
	v_lshlrev_b32_e32 v0, 3, v5
	s_waitcnt lgkmcnt(0)
	s_barrier
	s_and_saveexec_b64 s[4:5], s[26:27]
	s_cbranch_execz .LBB160_3
; %bb.2:
	v_mad_u64_u32 v[6:7], s[26:27], s10, v4, 0
	s_lshl_b64 s[12:13], s[12:13], 3
	v_mov_b32_e32 v8, v7
	s_add_u32 s12, s28, s12
	v_mad_u64_u32 v[8:9], s[10:11], s11, v4, v[8:9]
	s_addc_u32 s13, s29, s13
	v_mov_b32_e32 v7, v8
	v_lshl_add_u64 v[6:7], v[6:7], 3, s[12:13]
	v_mov_b32_e32 v1, 0
	v_lshl_add_u64 v[6:7], v[6:7], 0, v[0:1]
	flat_load_dwordx2 v[6:7], v[6:7]
	v_lshlrev_b32_e32 v1, 3, v4
	v_lshl_add_u32 v1, v5, 8, v1
	s_waitcnt vmcnt(0) lgkmcnt(0)
	ds_write_b64 v1, v[6:7]
.LBB160_3:
	s_or_b64 exec, exec, s[4:5]
	s_add_i32 s3, s23, -1
	s_ashr_i32 s4, s3, 31
	s_lshr_b32 s4, s4, 27
	s_add_i32 s3, s3, s4
	s_ashr_i32 s4, s3, 5
	s_andn2_b32 s3, s3, 31
	s_sub_i32 s3, s23, s3
	s_cmp_ge_i32 s2, s4
	s_cselect_b32 s3, s3, 32
	s_lshl_b32 s12, s2, 5
	v_cmp_gt_i32_e64 s[2:3], s3, v4
	s_ashr_i32 s13, s12, 31
	s_and_b64 s[2:3], vcc, s[2:3]
	s_and_saveexec_b64 s[4:5], s[2:3]
	s_cbranch_execz .LBB160_5
; %bb.4:
	s_lshl_b64 s[10:11], s[18:19], 3
	s_add_u32 s14, s14, s10
	s_addc_u32 s15, s15, s11
	s_mul_i32 s10, s16, s13
	s_mul_hi_u32 s11, s16, s12
	s_add_i32 s10, s11, s10
	s_mul_i32 s11, s17, s12
	s_add_i32 s11, s10, s11
	s_mul_i32 s10, s16, s12
	s_lshl_b64 s[10:11], s[10:11], 3
	s_add_u32 s10, s14, s10
	s_addc_u32 s11, s15, s11
	v_mad_u64_u32 v[6:7], s[14:15], s16, v4, 0
	v_mov_b32_e32 v8, v7
	v_mad_u64_u32 v[8:9], s[14:15], s17, v4, v[8:9]
	v_mov_b32_e32 v7, v8
	v_lshl_add_u64 v[6:7], v[6:7], 3, s[10:11]
	v_mov_b32_e32 v1, 0
	v_lshl_add_u64 v[6:7], v[6:7], 0, v[0:1]
	flat_load_dwordx2 v[6:7], v[6:7]
	v_add_u32_e32 v1, 0x2000, v3
	s_waitcnt vmcnt(0) lgkmcnt(0)
	ds_write_b64 v1, v[6:7]
.LBB160_5:
	s_or_b64 exec, exec, s[4:5]
	s_cmpk_eq_i32 s21, 0x84
	s_cselect_b64 s[4:5], -1, 0
	v_cmp_eq_u32_e32 vcc, v4, v5
	s_and_b64 s[10:11], vcc, s[4:5]
	s_and_saveexec_b64 s[4:5], s[10:11]
; %bb.6:
	v_mov_b32_e32 v6, 0
	v_mov_b32_e32 v7, 0x3ff00000
	ds_write_b64 v3, v[6:7]
; %bb.7:
	s_or_b64 exec, exec, s[4:5]
	s_cmpk_lg_i32 s20, 0x7a
	s_waitcnt lgkmcnt(0)
	s_barrier
	s_cbranch_scc0 .LBB160_9
; %bb.8:
	v_cmp_lt_u32_e32 vcc, v5, v4
	s_and_b64 s[4:5], vcc, exec
	s_cbranch_execz .LBB160_10
	s_branch .LBB160_11
.LBB160_9:
	s_mov_b64 s[4:5], 0
.LBB160_10:
	v_cmp_gt_u32_e32 vcc, v5, v4
	s_andn2_b64 s[4:5], s[4:5], exec
	s_and_b64 s[10:11], vcc, exec
	s_or_b64 s[4:5], s[4:5], s[10:11]
.LBB160_11:
	s_and_saveexec_b64 s[10:11], s[4:5]
; %bb.12:
	v_mov_b32_e32 v6, 0
	v_mov_b32_e32 v7, v6
	ds_write_b64 v3, v[6:7]
; %bb.13:
	s_or_b64 exec, exec, s[10:11]
	s_waitcnt lgkmcnt(0)
	s_barrier
	s_and_saveexec_b64 s[4:5], s[2:3]
	s_cbranch_execz .LBB160_15
; %bb.14:
	ds_read2_b64 v[6:9], v0 offset1:32
	v_lshlrev_b32_e32 v1, 3, v2
	ds_read_b128 v[10:13], v1 offset:8192
	ds_read_b128 v[14:17], v1 offset:8208
	ds_read2_b64 v[18:21], v0 offset0:64 offset1:96
	ds_read_b128 v[22:25], v1 offset:8224
	ds_read_b128 v[26:29], v1 offset:8240
	ds_read2_b64 v[30:33], v0 offset0:128 offset1:160
	v_add_u32_e32 v5, 0x800, v0
	s_load_dwordx2 s[0:1], s[0:1], 0x60
	s_waitcnt lgkmcnt(0)
	v_fma_f64 v[2:3], v[6:7], v[10:11], 0
	v_fmac_f64_e32 v[2:3], v[8:9], v[12:13]
	ds_read2_b64 v[6:9], v0 offset0:192 offset1:224
	v_fmac_f64_e32 v[2:3], v[18:19], v[14:15]
	v_fmac_f64_e32 v[2:3], v[20:21], v[16:17]
	;; [unrolled: 1-line block ×4, first 2 shown]
	ds_read2_b64 v[10:13], v5 offset1:32
	ds_read_b128 v[14:17], v1 offset:8256
	s_waitcnt lgkmcnt(2)
	v_fmac_f64_e32 v[2:3], v[6:7], v[26:27]
	v_fmac_f64_e32 v[2:3], v[8:9], v[28:29]
	ds_read2_b64 v[6:9], v5 offset0:64 offset1:96
	ds_read_b128 v[18:21], v1 offset:8272
	ds_read2_b64 v[22:25], v5 offset0:128 offset1:160
	ds_read_b128 v[26:29], v1 offset:8288
	s_waitcnt lgkmcnt(4)
	v_fmac_f64_e32 v[2:3], v[10:11], v[14:15]
	v_fmac_f64_e32 v[2:3], v[12:13], v[16:17]
	ds_read2_b64 v[10:13], v5 offset0:192 offset1:224
	s_waitcnt lgkmcnt(3)
	v_fmac_f64_e32 v[2:3], v[6:7], v[18:19]
	v_fmac_f64_e32 v[2:3], v[8:9], v[20:21]
	ds_read_b128 v[6:9], v1 offset:8304
	s_waitcnt lgkmcnt(2)
	v_fmac_f64_e32 v[2:3], v[22:23], v[26:27]
	v_add_u32_e32 v5, 0x1000, v0
	v_fmac_f64_e32 v[2:3], v[24:25], v[28:29]
	ds_read2_b64 v[14:17], v5 offset1:32
	ds_read_b128 v[18:21], v1 offset:8320
	s_waitcnt lgkmcnt(2)
	v_fmac_f64_e32 v[2:3], v[10:11], v[6:7]
	v_fmac_f64_e32 v[2:3], v[12:13], v[8:9]
	ds_read2_b64 v[6:9], v5 offset0:64 offset1:96
	ds_read_b128 v[10:13], v1 offset:8336
	ds_read2_b64 v[22:25], v5 offset0:128 offset1:160
	ds_read_b128 v[26:29], v1 offset:8352
	s_waitcnt lgkmcnt(4)
	v_fmac_f64_e32 v[2:3], v[14:15], v[18:19]
	v_fmac_f64_e32 v[2:3], v[16:17], v[20:21]
	s_lshl_b64 s[0:1], s[0:1], 3
	s_waitcnt lgkmcnt(2)
	v_fmac_f64_e32 v[2:3], v[6:7], v[10:11]
	v_fmac_f64_e32 v[2:3], v[8:9], v[12:13]
	ds_read_b128 v[6:9], v1 offset:8368
	ds_read2_b64 v[10:13], v5 offset0:192 offset1:224
	s_waitcnt lgkmcnt(2)
	v_fmac_f64_e32 v[2:3], v[22:23], v[26:27]
	v_add_u32_e32 v5, 0x1800, v0
	ds_read2_b64 v[14:17], v5 offset1:32
	ds_read_b128 v[18:21], v1 offset:8384
	v_fmac_f64_e32 v[2:3], v[24:25], v[28:29]
	s_waitcnt lgkmcnt(2)
	v_fmac_f64_e32 v[2:3], v[10:11], v[6:7]
	v_fmac_f64_e32 v[2:3], v[12:13], v[8:9]
	ds_read_b128 v[6:9], v1 offset:8400
	s_waitcnt lgkmcnt(1)
	v_fmac_f64_e32 v[2:3], v[14:15], v[18:19]
	s_mul_i32 s2, s6, s13
	s_mul_hi_u32 s3, s6, s12
	s_add_u32 s5, s8, s0
	v_fmac_f64_e32 v[2:3], v[16:17], v[20:21]
	ds_read2_b64 v[10:13], v5 offset0:64 offset1:96
	ds_read2_b64 v[14:17], v5 offset0:128 offset1:160
	ds_read_b128 v[18:21], v1 offset:8416
	ds_read2_b64 v[22:25], v5 offset0:192 offset1:224
	ds_read_b128 v[26:29], v1 offset:8432
	s_mul_i32 s4, s7, s12
	s_addc_u32 s8, s9, s1
	s_add_i32 s0, s3, s2
	s_waitcnt lgkmcnt(4)
	v_fmac_f64_e32 v[2:3], v[10:11], v[6:7]
	s_add_i32 s1, s0, s4
	s_mul_i32 s0, s6, s12
	v_fmac_f64_e32 v[2:3], v[12:13], v[8:9]
	v_mad_u64_u32 v[6:7], s[2:3], s6, v4, 0
	s_lshl_b64 s[0:1], s[0:1], 3
	s_waitcnt lgkmcnt(2)
	v_fmac_f64_e32 v[2:3], v[14:15], v[18:19]
	v_mov_b32_e32 v8, v7
	s_add_u32 s0, s5, s0
	v_fmac_f64_e32 v[2:3], v[16:17], v[20:21]
	v_mad_u64_u32 v[4:5], s[2:3], s7, v4, v[8:9]
	s_addc_u32 s1, s8, s1
	s_waitcnt lgkmcnt(0)
	v_fmac_f64_e32 v[2:3], v[22:23], v[26:27]
	v_mov_b32_e32 v7, v4
	v_fmac_f64_e32 v[2:3], v[24:25], v[28:29]
	v_lshl_add_u64 v[4:5], v[6:7], 3, s[0:1]
	v_mov_b32_e32 v1, 0
	v_mul_f64 v[2:3], s[24:25], v[2:3]
	v_lshl_add_u64 v[0:1], v[4:5], 0, v[0:1]
	flat_store_dwordx2 v[0:1], v[2:3]
.LBB160_15:
	s_endpgm
	.section	.rodata,"a",@progbits
	.p2align	6, 0x0
	.amdhsa_kernel _ZL23rocblas_trmm_lTx_kernelILi32ELb1EdPKdKS1_KPdEv13rocblas_fill_17rocblas_diagonal_iiT2_lPT3_llS9_llPT4_lli
		.amdhsa_group_segment_fixed_size 16384
		.amdhsa_private_segment_fixed_size 0
		.amdhsa_kernarg_size 108
		.amdhsa_user_sgpr_count 2
		.amdhsa_user_sgpr_dispatch_ptr 0
		.amdhsa_user_sgpr_queue_ptr 0
		.amdhsa_user_sgpr_kernarg_segment_ptr 1
		.amdhsa_user_sgpr_dispatch_id 0
		.amdhsa_user_sgpr_kernarg_preload_length 0
		.amdhsa_user_sgpr_kernarg_preload_offset 0
		.amdhsa_user_sgpr_private_segment_size 0
		.amdhsa_uses_dynamic_stack 0
		.amdhsa_enable_private_segment 0
		.amdhsa_system_sgpr_workgroup_id_x 1
		.amdhsa_system_sgpr_workgroup_id_y 0
		.amdhsa_system_sgpr_workgroup_id_z 1
		.amdhsa_system_sgpr_workgroup_info 0
		.amdhsa_system_vgpr_workitem_id 1
		.amdhsa_next_free_vgpr 34
		.amdhsa_next_free_sgpr 32
		.amdhsa_accum_offset 36
		.amdhsa_reserve_vcc 1
		.amdhsa_float_round_mode_32 0
		.amdhsa_float_round_mode_16_64 0
		.amdhsa_float_denorm_mode_32 3
		.amdhsa_float_denorm_mode_16_64 3
		.amdhsa_dx10_clamp 1
		.amdhsa_ieee_mode 1
		.amdhsa_fp16_overflow 0
		.amdhsa_tg_split 0
		.amdhsa_exception_fp_ieee_invalid_op 0
		.amdhsa_exception_fp_denorm_src 0
		.amdhsa_exception_fp_ieee_div_zero 0
		.amdhsa_exception_fp_ieee_overflow 0
		.amdhsa_exception_fp_ieee_underflow 0
		.amdhsa_exception_fp_ieee_inexact 0
		.amdhsa_exception_int_div_zero 0
	.end_amdhsa_kernel
	.section	.text._ZL23rocblas_trmm_lTx_kernelILi32ELb1EdPKdKS1_KPdEv13rocblas_fill_17rocblas_diagonal_iiT2_lPT3_llS9_llPT4_lli,"axG",@progbits,_ZL23rocblas_trmm_lTx_kernelILi32ELb1EdPKdKS1_KPdEv13rocblas_fill_17rocblas_diagonal_iiT2_lPT3_llS9_llPT4_lli,comdat
.Lfunc_end160:
	.size	_ZL23rocblas_trmm_lTx_kernelILi32ELb1EdPKdKS1_KPdEv13rocblas_fill_17rocblas_diagonal_iiT2_lPT3_llS9_llPT4_lli, .Lfunc_end160-_ZL23rocblas_trmm_lTx_kernelILi32ELb1EdPKdKS1_KPdEv13rocblas_fill_17rocblas_diagonal_iiT2_lPT3_llS9_llPT4_lli
                                        ; -- End function
	.set _ZL23rocblas_trmm_lTx_kernelILi32ELb1EdPKdKS1_KPdEv13rocblas_fill_17rocblas_diagonal_iiT2_lPT3_llS9_llPT4_lli.num_vgpr, 34
	.set _ZL23rocblas_trmm_lTx_kernelILi32ELb1EdPKdKS1_KPdEv13rocblas_fill_17rocblas_diagonal_iiT2_lPT3_llS9_llPT4_lli.num_agpr, 0
	.set _ZL23rocblas_trmm_lTx_kernelILi32ELb1EdPKdKS1_KPdEv13rocblas_fill_17rocblas_diagonal_iiT2_lPT3_llS9_llPT4_lli.numbered_sgpr, 32
	.set _ZL23rocblas_trmm_lTx_kernelILi32ELb1EdPKdKS1_KPdEv13rocblas_fill_17rocblas_diagonal_iiT2_lPT3_llS9_llPT4_lli.num_named_barrier, 0
	.set _ZL23rocblas_trmm_lTx_kernelILi32ELb1EdPKdKS1_KPdEv13rocblas_fill_17rocblas_diagonal_iiT2_lPT3_llS9_llPT4_lli.private_seg_size, 0
	.set _ZL23rocblas_trmm_lTx_kernelILi32ELb1EdPKdKS1_KPdEv13rocblas_fill_17rocblas_diagonal_iiT2_lPT3_llS9_llPT4_lli.uses_vcc, 1
	.set _ZL23rocblas_trmm_lTx_kernelILi32ELb1EdPKdKS1_KPdEv13rocblas_fill_17rocblas_diagonal_iiT2_lPT3_llS9_llPT4_lli.uses_flat_scratch, 0
	.set _ZL23rocblas_trmm_lTx_kernelILi32ELb1EdPKdKS1_KPdEv13rocblas_fill_17rocblas_diagonal_iiT2_lPT3_llS9_llPT4_lli.has_dyn_sized_stack, 0
	.set _ZL23rocblas_trmm_lTx_kernelILi32ELb1EdPKdKS1_KPdEv13rocblas_fill_17rocblas_diagonal_iiT2_lPT3_llS9_llPT4_lli.has_recursion, 0
	.set _ZL23rocblas_trmm_lTx_kernelILi32ELb1EdPKdKS1_KPdEv13rocblas_fill_17rocblas_diagonal_iiT2_lPT3_llS9_llPT4_lli.has_indirect_call, 0
	.section	.AMDGPU.csdata,"",@progbits
; Kernel info:
; codeLenInByte = 1236
; TotalNumSgprs: 38
; NumVgprs: 34
; NumAgprs: 0
; TotalNumVgprs: 34
; ScratchSize: 0
; MemoryBound: 0
; FloatMode: 240
; IeeeMode: 1
; LDSByteSize: 16384 bytes/workgroup (compile time only)
; SGPRBlocks: 4
; VGPRBlocks: 4
; NumSGPRsForWavesPerEU: 38
; NumVGPRsForWavesPerEU: 34
; AccumOffset: 36
; Occupancy: 8
; WaveLimiterHint : 1
; COMPUTE_PGM_RSRC2:SCRATCH_EN: 0
; COMPUTE_PGM_RSRC2:USER_SGPR: 2
; COMPUTE_PGM_RSRC2:TRAP_HANDLER: 0
; COMPUTE_PGM_RSRC2:TGID_X_EN: 1
; COMPUTE_PGM_RSRC2:TGID_Y_EN: 0
; COMPUTE_PGM_RSRC2:TGID_Z_EN: 1
; COMPUTE_PGM_RSRC2:TIDIG_COMP_CNT: 1
; COMPUTE_PGM_RSRC3_GFX90A:ACCUM_OFFSET: 8
; COMPUTE_PGM_RSRC3_GFX90A:TG_SPLIT: 0
	.section	.text._ZL23rocblas_trmm_lTx_kernelILi32ELb1EddKPKdKPdEv13rocblas_fill_17rocblas_diagonal_iiT2_lPT3_llS9_llPT4_lli,"axG",@progbits,_ZL23rocblas_trmm_lTx_kernelILi32ELb1EddKPKdKPdEv13rocblas_fill_17rocblas_diagonal_iiT2_lPT3_llS9_llPT4_lli,comdat
	.globl	_ZL23rocblas_trmm_lTx_kernelILi32ELb1EddKPKdKPdEv13rocblas_fill_17rocblas_diagonal_iiT2_lPT3_llS9_llPT4_lli ; -- Begin function _ZL23rocblas_trmm_lTx_kernelILi32ELb1EddKPKdKPdEv13rocblas_fill_17rocblas_diagonal_iiT2_lPT3_llS9_llPT4_lli
	.p2align	8
	.type	_ZL23rocblas_trmm_lTx_kernelILi32ELb1EddKPKdKPdEv13rocblas_fill_17rocblas_diagonal_iiT2_lPT3_llS9_llPT4_lli,@function
_ZL23rocblas_trmm_lTx_kernelILi32ELb1EddKPKdKPdEv13rocblas_fill_17rocblas_diagonal_iiT2_lPT3_llS9_llPT4_lli: ; @_ZL23rocblas_trmm_lTx_kernelILi32ELb1EddKPKdKPdEv13rocblas_fill_17rocblas_diagonal_iiT2_lPT3_llS9_llPT4_lli
; %bb.0:
	s_load_dwordx2 s[24:25], s[0:1], 0x10
	s_waitcnt lgkmcnt(0)
	v_cmp_eq_f64_e64 s[4:5], s[24:25], 0
	s_and_b64 vcc, exec, s[4:5]
	s_cbranch_vccnz .LBB161_15
; %bb.1:
	s_load_dwordx4 s[20:23], s[0:1], 0x0
	s_load_dwordx16 s[4:19], s[0:1], 0x20
	s_mov_b32 s28, s3
	s_mov_b32 s29, 0
	s_lshl_b64 s[34:35], s[28:29], 3
	v_bfe_u32 v4, v0, 10, 10
	s_waitcnt lgkmcnt(0)
	s_add_u32 s4, s4, s34
	s_addc_u32 s5, s5, s35
	s_load_dwordx2 s[30:31], s[4:5], 0x0
	s_add_u32 s4, s10, s34
	s_addc_u32 s5, s11, s35
	s_load_dwordx2 s[26:27], s[4:5], 0x0
	;; [unrolled: 3-line block ×3, first 2 shown]
	v_and_b32_e32 v3, 0x3ff, v0
	v_lshlrev_b32_e32 v2, 5, v4
	s_mov_b32 s28, s29
	v_add_lshl_u32 v5, v2, v3, 3
	v_mov_b64_e32 v[0:1], s[28:29]
	v_cmp_gt_i32_e64 s[4:5], s22, v4
	v_cmp_gt_i32_e32 vcc, s22, v3
	ds_write2st64_b64 v5, v[0:1], v[0:1] offset1:16
	s_and_b64 s[16:17], s[4:5], vcc
	v_lshlrev_b32_e32 v0, 3, v3
	s_waitcnt lgkmcnt(0)
	s_barrier
	s_and_saveexec_b64 s[4:5], s[16:17]
	s_cbranch_execz .LBB161_3
; %bb.2:
	v_mad_u64_u32 v[6:7], s[16:17], s6, v4, 0
	s_lshl_b64 s[8:9], s[8:9], 3
	v_mov_b32_e32 v8, v7
	s_add_u32 s8, s30, s8
	v_mad_u64_u32 v[8:9], s[6:7], s7, v4, v[8:9]
	s_addc_u32 s9, s31, s9
	v_mov_b32_e32 v7, v8
	v_lshl_add_u64 v[6:7], v[6:7], 3, s[8:9]
	v_mov_b32_e32 v1, 0
	v_lshl_add_u64 v[6:7], v[6:7], 0, v[0:1]
	flat_load_dwordx2 v[6:7], v[6:7]
	v_lshlrev_b32_e32 v1, 3, v4
	v_lshl_add_u32 v1, v3, 8, v1
	s_waitcnt vmcnt(0) lgkmcnt(0)
	ds_write_b64 v1, v[6:7]
.LBB161_3:
	s_or_b64 exec, exec, s[4:5]
	s_add_i32 s3, s23, -1
	s_ashr_i32 s4, s3, 31
	s_lshr_b32 s4, s4, 27
	s_add_i32 s3, s3, s4
	s_ashr_i32 s4, s3, 5
	s_andn2_b32 s3, s3, 31
	s_sub_i32 s3, s23, s3
	s_cmp_ge_i32 s2, s4
	s_cselect_b32 s3, s3, 32
	s_lshl_b32 s8, s2, 5
	v_cmp_gt_i32_e64 s[2:3], s3, v4
	s_ashr_i32 s9, s8, 31
	s_and_b64 s[2:3], vcc, s[2:3]
	s_and_saveexec_b64 s[4:5], s[2:3]
	s_cbranch_execz .LBB161_5
; %bb.4:
	s_lshl_b64 s[6:7], s[14:15], 3
	s_add_u32 s14, s26, s6
	s_addc_u32 s15, s27, s7
	s_mul_i32 s6, s12, s9
	s_mul_hi_u32 s7, s12, s8
	s_add_i32 s6, s7, s6
	s_mul_i32 s7, s13, s8
	s_add_i32 s7, s6, s7
	s_mul_i32 s6, s12, s8
	s_lshl_b64 s[6:7], s[6:7], 3
	s_add_u32 s6, s14, s6
	s_addc_u32 s7, s15, s7
	v_mad_u64_u32 v[6:7], s[14:15], s12, v4, 0
	v_mov_b32_e32 v8, v7
	v_mad_u64_u32 v[8:9], s[12:13], s13, v4, v[8:9]
	v_mov_b32_e32 v7, v8
	v_lshl_add_u64 v[6:7], v[6:7], 3, s[6:7]
	v_mov_b32_e32 v1, 0
	v_lshl_add_u64 v[6:7], v[6:7], 0, v[0:1]
	flat_load_dwordx2 v[6:7], v[6:7]
	v_add_u32_e32 v1, 0x2000, v5
	s_waitcnt vmcnt(0) lgkmcnt(0)
	ds_write_b64 v1, v[6:7]
.LBB161_5:
	s_or_b64 exec, exec, s[4:5]
	s_cmpk_eq_i32 s21, 0x84
	s_cselect_b64 s[4:5], -1, 0
	v_cmp_eq_u32_e32 vcc, v4, v3
	s_and_b64 s[6:7], vcc, s[4:5]
	s_and_saveexec_b64 s[4:5], s[6:7]
; %bb.6:
	v_mov_b32_e32 v6, 0
	v_mov_b32_e32 v7, 0x3ff00000
	ds_write_b64 v5, v[6:7]
; %bb.7:
	s_or_b64 exec, exec, s[4:5]
	s_cmpk_lg_i32 s20, 0x7a
	s_waitcnt lgkmcnt(0)
	s_barrier
	s_cbranch_scc0 .LBB161_9
; %bb.8:
	v_cmp_lt_u32_e32 vcc, v3, v4
	s_and_b64 s[4:5], vcc, exec
	s_cbranch_execz .LBB161_10
	s_branch .LBB161_11
.LBB161_9:
	s_mov_b64 s[4:5], 0
.LBB161_10:
	v_cmp_gt_u32_e32 vcc, v3, v4
	s_andn2_b64 s[4:5], s[4:5], exec
	s_and_b64 s[6:7], vcc, exec
	s_or_b64 s[4:5], s[4:5], s[6:7]
.LBB161_11:
	s_and_saveexec_b64 s[6:7], s[4:5]
; %bb.12:
	v_mov_b32_e32 v6, 0
	v_mov_b32_e32 v7, v6
	ds_write_b64 v5, v[6:7]
; %bb.13:
	s_or_b64 exec, exec, s[6:7]
	s_waitcnt lgkmcnt(0)
	s_barrier
	s_and_saveexec_b64 s[4:5], s[2:3]
	s_cbranch_execz .LBB161_15
; %bb.14:
	ds_read2_b64 v[6:9], v0 offset1:32
	v_lshlrev_b32_e32 v1, 3, v2
	ds_read_b128 v[10:13], v1 offset:8192
	ds_read_b128 v[14:17], v1 offset:8208
	ds_read2_b64 v[18:21], v0 offset0:64 offset1:96
	ds_read_b128 v[22:25], v1 offset:8224
	ds_read_b128 v[26:29], v1 offset:8240
	ds_read2_b64 v[30:33], v0 offset0:128 offset1:160
	v_add_u32_e32 v5, 0x800, v0
	s_load_dwordx2 s[0:1], s[0:1], 0x60
	s_waitcnt lgkmcnt(0)
	v_fma_f64 v[2:3], v[6:7], v[10:11], 0
	v_fmac_f64_e32 v[2:3], v[8:9], v[12:13]
	ds_read2_b64 v[6:9], v0 offset0:192 offset1:224
	v_fmac_f64_e32 v[2:3], v[18:19], v[14:15]
	v_fmac_f64_e32 v[2:3], v[20:21], v[16:17]
	v_fmac_f64_e32 v[2:3], v[30:31], v[22:23]
	v_fmac_f64_e32 v[2:3], v[32:33], v[24:25]
	ds_read2_b64 v[10:13], v5 offset1:32
	ds_read_b128 v[14:17], v1 offset:8256
	s_waitcnt lgkmcnt(2)
	v_fmac_f64_e32 v[2:3], v[6:7], v[26:27]
	v_fmac_f64_e32 v[2:3], v[8:9], v[28:29]
	ds_read2_b64 v[6:9], v5 offset0:64 offset1:96
	ds_read_b128 v[18:21], v1 offset:8272
	ds_read2_b64 v[22:25], v5 offset0:128 offset1:160
	ds_read_b128 v[26:29], v1 offset:8288
	s_waitcnt lgkmcnt(4)
	v_fmac_f64_e32 v[2:3], v[10:11], v[14:15]
	v_fmac_f64_e32 v[2:3], v[12:13], v[16:17]
	ds_read2_b64 v[10:13], v5 offset0:192 offset1:224
	s_waitcnt lgkmcnt(3)
	v_fmac_f64_e32 v[2:3], v[6:7], v[18:19]
	v_fmac_f64_e32 v[2:3], v[8:9], v[20:21]
	ds_read_b128 v[6:9], v1 offset:8304
	s_waitcnt lgkmcnt(2)
	v_fmac_f64_e32 v[2:3], v[22:23], v[26:27]
	v_add_u32_e32 v5, 0x1000, v0
	v_fmac_f64_e32 v[2:3], v[24:25], v[28:29]
	ds_read2_b64 v[14:17], v5 offset1:32
	ds_read_b128 v[18:21], v1 offset:8320
	s_waitcnt lgkmcnt(2)
	v_fmac_f64_e32 v[2:3], v[10:11], v[6:7]
	v_fmac_f64_e32 v[2:3], v[12:13], v[8:9]
	ds_read2_b64 v[6:9], v5 offset0:64 offset1:96
	ds_read_b128 v[10:13], v1 offset:8336
	ds_read2_b64 v[22:25], v5 offset0:128 offset1:160
	ds_read_b128 v[26:29], v1 offset:8352
	s_waitcnt lgkmcnt(4)
	v_fmac_f64_e32 v[2:3], v[14:15], v[18:19]
	v_fmac_f64_e32 v[2:3], v[16:17], v[20:21]
	s_lshl_b64 s[0:1], s[0:1], 3
	s_waitcnt lgkmcnt(2)
	v_fmac_f64_e32 v[2:3], v[6:7], v[10:11]
	v_fmac_f64_e32 v[2:3], v[8:9], v[12:13]
	ds_read_b128 v[6:9], v1 offset:8368
	ds_read2_b64 v[10:13], v5 offset0:192 offset1:224
	s_waitcnt lgkmcnt(2)
	v_fmac_f64_e32 v[2:3], v[22:23], v[26:27]
	v_add_u32_e32 v5, 0x1800, v0
	ds_read2_b64 v[14:17], v5 offset1:32
	ds_read_b128 v[18:21], v1 offset:8384
	v_fmac_f64_e32 v[2:3], v[24:25], v[28:29]
	s_waitcnt lgkmcnt(2)
	v_fmac_f64_e32 v[2:3], v[10:11], v[6:7]
	v_fmac_f64_e32 v[2:3], v[12:13], v[8:9]
	ds_read_b128 v[6:9], v1 offset:8400
	s_waitcnt lgkmcnt(1)
	v_fmac_f64_e32 v[2:3], v[14:15], v[18:19]
	s_mul_i32 s2, s18, s9
	s_mul_hi_u32 s3, s18, s8
	s_add_u32 s5, s10, s0
	v_fmac_f64_e32 v[2:3], v[16:17], v[20:21]
	ds_read2_b64 v[10:13], v5 offset0:64 offset1:96
	ds_read2_b64 v[14:17], v5 offset0:128 offset1:160
	ds_read_b128 v[18:21], v1 offset:8416
	ds_read2_b64 v[22:25], v5 offset0:192 offset1:224
	ds_read_b128 v[26:29], v1 offset:8432
	s_mul_i32 s4, s19, s8
	s_addc_u32 s6, s11, s1
	s_add_i32 s0, s3, s2
	s_waitcnt lgkmcnt(4)
	v_fmac_f64_e32 v[2:3], v[10:11], v[6:7]
	s_add_i32 s1, s0, s4
	s_mul_i32 s0, s18, s8
	v_fmac_f64_e32 v[2:3], v[12:13], v[8:9]
	v_mad_u64_u32 v[6:7], s[2:3], s18, v4, 0
	s_lshl_b64 s[0:1], s[0:1], 3
	s_waitcnt lgkmcnt(2)
	v_fmac_f64_e32 v[2:3], v[14:15], v[18:19]
	v_mov_b32_e32 v8, v7
	s_add_u32 s0, s5, s0
	v_fmac_f64_e32 v[2:3], v[16:17], v[20:21]
	v_mad_u64_u32 v[4:5], s[2:3], s19, v4, v[8:9]
	s_addc_u32 s1, s6, s1
	s_waitcnt lgkmcnt(0)
	v_fmac_f64_e32 v[2:3], v[22:23], v[26:27]
	v_mov_b32_e32 v7, v4
	v_fmac_f64_e32 v[2:3], v[24:25], v[28:29]
	v_lshl_add_u64 v[4:5], v[6:7], 3, s[0:1]
	v_mov_b32_e32 v1, 0
	v_mul_f64 v[2:3], s[24:25], v[2:3]
	v_lshl_add_u64 v[0:1], v[4:5], 0, v[0:1]
	flat_store_dwordx2 v[0:1], v[2:3]
.LBB161_15:
	s_endpgm
	.section	.rodata,"a",@progbits
	.p2align	6, 0x0
	.amdhsa_kernel _ZL23rocblas_trmm_lTx_kernelILi32ELb1EddKPKdKPdEv13rocblas_fill_17rocblas_diagonal_iiT2_lPT3_llS9_llPT4_lli
		.amdhsa_group_segment_fixed_size 16384
		.amdhsa_private_segment_fixed_size 0
		.amdhsa_kernarg_size 108
		.amdhsa_user_sgpr_count 2
		.amdhsa_user_sgpr_dispatch_ptr 0
		.amdhsa_user_sgpr_queue_ptr 0
		.amdhsa_user_sgpr_kernarg_segment_ptr 1
		.amdhsa_user_sgpr_dispatch_id 0
		.amdhsa_user_sgpr_kernarg_preload_length 0
		.amdhsa_user_sgpr_kernarg_preload_offset 0
		.amdhsa_user_sgpr_private_segment_size 0
		.amdhsa_uses_dynamic_stack 0
		.amdhsa_enable_private_segment 0
		.amdhsa_system_sgpr_workgroup_id_x 1
		.amdhsa_system_sgpr_workgroup_id_y 0
		.amdhsa_system_sgpr_workgroup_id_z 1
		.amdhsa_system_sgpr_workgroup_info 0
		.amdhsa_system_vgpr_workitem_id 1
		.amdhsa_next_free_vgpr 34
		.amdhsa_next_free_sgpr 36
		.amdhsa_accum_offset 36
		.amdhsa_reserve_vcc 1
		.amdhsa_float_round_mode_32 0
		.amdhsa_float_round_mode_16_64 0
		.amdhsa_float_denorm_mode_32 3
		.amdhsa_float_denorm_mode_16_64 3
		.amdhsa_dx10_clamp 1
		.amdhsa_ieee_mode 1
		.amdhsa_fp16_overflow 0
		.amdhsa_tg_split 0
		.amdhsa_exception_fp_ieee_invalid_op 0
		.amdhsa_exception_fp_denorm_src 0
		.amdhsa_exception_fp_ieee_div_zero 0
		.amdhsa_exception_fp_ieee_overflow 0
		.amdhsa_exception_fp_ieee_underflow 0
		.amdhsa_exception_fp_ieee_inexact 0
		.amdhsa_exception_int_div_zero 0
	.end_amdhsa_kernel
	.section	.text._ZL23rocblas_trmm_lTx_kernelILi32ELb1EddKPKdKPdEv13rocblas_fill_17rocblas_diagonal_iiT2_lPT3_llS9_llPT4_lli,"axG",@progbits,_ZL23rocblas_trmm_lTx_kernelILi32ELb1EddKPKdKPdEv13rocblas_fill_17rocblas_diagonal_iiT2_lPT3_llS9_llPT4_lli,comdat
.Lfunc_end161:
	.size	_ZL23rocblas_trmm_lTx_kernelILi32ELb1EddKPKdKPdEv13rocblas_fill_17rocblas_diagonal_iiT2_lPT3_llS9_llPT4_lli, .Lfunc_end161-_ZL23rocblas_trmm_lTx_kernelILi32ELb1EddKPKdKPdEv13rocblas_fill_17rocblas_diagonal_iiT2_lPT3_llS9_llPT4_lli
                                        ; -- End function
	.set _ZL23rocblas_trmm_lTx_kernelILi32ELb1EddKPKdKPdEv13rocblas_fill_17rocblas_diagonal_iiT2_lPT3_llS9_llPT4_lli.num_vgpr, 34
	.set _ZL23rocblas_trmm_lTx_kernelILi32ELb1EddKPKdKPdEv13rocblas_fill_17rocblas_diagonal_iiT2_lPT3_llS9_llPT4_lli.num_agpr, 0
	.set _ZL23rocblas_trmm_lTx_kernelILi32ELb1EddKPKdKPdEv13rocblas_fill_17rocblas_diagonal_iiT2_lPT3_llS9_llPT4_lli.numbered_sgpr, 36
	.set _ZL23rocblas_trmm_lTx_kernelILi32ELb1EddKPKdKPdEv13rocblas_fill_17rocblas_diagonal_iiT2_lPT3_llS9_llPT4_lli.num_named_barrier, 0
	.set _ZL23rocblas_trmm_lTx_kernelILi32ELb1EddKPKdKPdEv13rocblas_fill_17rocblas_diagonal_iiT2_lPT3_llS9_llPT4_lli.private_seg_size, 0
	.set _ZL23rocblas_trmm_lTx_kernelILi32ELb1EddKPKdKPdEv13rocblas_fill_17rocblas_diagonal_iiT2_lPT3_llS9_llPT4_lli.uses_vcc, 1
	.set _ZL23rocblas_trmm_lTx_kernelILi32ELb1EddKPKdKPdEv13rocblas_fill_17rocblas_diagonal_iiT2_lPT3_llS9_llPT4_lli.uses_flat_scratch, 0
	.set _ZL23rocblas_trmm_lTx_kernelILi32ELb1EddKPKdKPdEv13rocblas_fill_17rocblas_diagonal_iiT2_lPT3_llS9_llPT4_lli.has_dyn_sized_stack, 0
	.set _ZL23rocblas_trmm_lTx_kernelILi32ELb1EddKPKdKPdEv13rocblas_fill_17rocblas_diagonal_iiT2_lPT3_llS9_llPT4_lli.has_recursion, 0
	.set _ZL23rocblas_trmm_lTx_kernelILi32ELb1EddKPKdKPdEv13rocblas_fill_17rocblas_diagonal_iiT2_lPT3_llS9_llPT4_lli.has_indirect_call, 0
	.section	.AMDGPU.csdata,"",@progbits
; Kernel info:
; codeLenInByte = 1196
; TotalNumSgprs: 42
; NumVgprs: 34
; NumAgprs: 0
; TotalNumVgprs: 34
; ScratchSize: 0
; MemoryBound: 0
; FloatMode: 240
; IeeeMode: 1
; LDSByteSize: 16384 bytes/workgroup (compile time only)
; SGPRBlocks: 5
; VGPRBlocks: 4
; NumSGPRsForWavesPerEU: 42
; NumVGPRsForWavesPerEU: 34
; AccumOffset: 36
; Occupancy: 8
; WaveLimiterHint : 1
; COMPUTE_PGM_RSRC2:SCRATCH_EN: 0
; COMPUTE_PGM_RSRC2:USER_SGPR: 2
; COMPUTE_PGM_RSRC2:TRAP_HANDLER: 0
; COMPUTE_PGM_RSRC2:TGID_X_EN: 1
; COMPUTE_PGM_RSRC2:TGID_Y_EN: 0
; COMPUTE_PGM_RSRC2:TGID_Z_EN: 1
; COMPUTE_PGM_RSRC2:TIDIG_COMP_CNT: 1
; COMPUTE_PGM_RSRC3_GFX90A:ACCUM_OFFSET: 8
; COMPUTE_PGM_RSRC3_GFX90A:TG_SPLIT: 0
	.section	.text._ZL23rocblas_trmm_rNx_kernelILi32EdPKdKS1_KPdEv13rocblas_fill_17rocblas_diagonal_iiT1_lPT2_llS9_llPT3_lli,"axG",@progbits,_ZL23rocblas_trmm_rNx_kernelILi32EdPKdKS1_KPdEv13rocblas_fill_17rocblas_diagonal_iiT1_lPT2_llS9_llPT3_lli,comdat
	.globl	_ZL23rocblas_trmm_rNx_kernelILi32EdPKdKS1_KPdEv13rocblas_fill_17rocblas_diagonal_iiT1_lPT2_llS9_llPT3_lli ; -- Begin function _ZL23rocblas_trmm_rNx_kernelILi32EdPKdKS1_KPdEv13rocblas_fill_17rocblas_diagonal_iiT1_lPT2_llS9_llPT3_lli
	.p2align	8
	.type	_ZL23rocblas_trmm_rNx_kernelILi32EdPKdKS1_KPdEv13rocblas_fill_17rocblas_diagonal_iiT1_lPT2_llS9_llPT3_lli,@function
_ZL23rocblas_trmm_rNx_kernelILi32EdPKdKS1_KPdEv13rocblas_fill_17rocblas_diagonal_iiT1_lPT2_llS9_llPT3_lli: ; @_ZL23rocblas_trmm_rNx_kernelILi32EdPKdKS1_KPdEv13rocblas_fill_17rocblas_diagonal_iiT1_lPT2_llS9_llPT3_lli
; %bb.0:
	s_load_dwordx16 s[4:19], s[0:1], 0x10
	s_mov_b32 s28, s3
	s_waitcnt lgkmcnt(0)
	s_mul_i32 s3, s7, s3
	s_mul_hi_u32 s7, s6, s28
	s_add_i32 s7, s7, s3
	s_mul_i32 s6, s6, s28
	s_lshl_b64 s[6:7], s[6:7], 3
	s_add_u32 s4, s4, s6
	s_addc_u32 s5, s5, s7
	s_load_dwordx2 s[24:25], s[4:5], 0x0
	s_waitcnt lgkmcnt(0)
	v_cmp_eq_f64_e64 s[4:5], s[24:25], 0
	s_and_b64 vcc, exec, s[4:5]
	s_cbranch_vccnz .LBB162_15
; %bb.1:
	s_load_dwordx4 s[20:23], s[0:1], 0x0
	s_load_dwordx4 s[4:7], s[0:1], 0x50
	s_mov_b32 s29, 0
	s_lshl_b64 s[30:31], s[28:29], 3
	s_add_u32 s14, s14, s30
	s_addc_u32 s15, s15, s31
	s_waitcnt lgkmcnt(0)
	s_add_u32 s4, s4, s30
	s_addc_u32 s5, s5, s31
	s_load_dwordx2 s[26:27], s[14:15], 0x0
	v_bfe_u32 v4, v0, 10, 10
	s_load_dwordx2 s[14:15], s[4:5], 0x0
	v_and_b32_e32 v5, 0x3ff, v0
	v_lshlrev_b32_e32 v2, 5, v4
	s_mov_b32 s28, s29
	v_add_lshl_u32 v3, v2, v5, 3
	v_mov_b64_e32 v[0:1], s[28:29]
	v_cmp_gt_i32_e32 vcc, s23, v4
	v_cmp_gt_i32_e64 s[4:5], s23, v5
	ds_write2st64_b64 v3, v[0:1], v[0:1] offset1:16
	s_and_b64 s[28:29], vcc, s[4:5]
	v_lshlrev_b32_e32 v0, 3, v5
	s_and_saveexec_b64 s[4:5], s[28:29]
	s_cbranch_execz .LBB162_3
; %bb.2:
	s_add_u32 s8, s8, s30
	s_addc_u32 s9, s9, s31
	s_load_dwordx2 s[8:9], s[8:9], 0x0
	v_mad_u64_u32 v[6:7], s[28:29], s10, v4, 0
	s_lshl_b64 s[12:13], s[12:13], 3
	v_mov_b32_e32 v8, v7
	s_waitcnt lgkmcnt(0)
	s_add_u32 s8, s8, s12
	v_mad_u64_u32 v[8:9], s[10:11], s11, v4, v[8:9]
	s_addc_u32 s9, s9, s13
	v_mov_b32_e32 v7, v8
	v_lshl_add_u64 v[6:7], v[6:7], 3, s[8:9]
	v_mov_b32_e32 v1, 0
	v_lshl_add_u64 v[6:7], v[6:7], 0, v[0:1]
	flat_load_dwordx2 v[6:7], v[6:7]
	s_waitcnt vmcnt(0) lgkmcnt(0)
	ds_write_b64 v3, v[6:7]
.LBB162_3:
	s_or_b64 exec, exec, s[4:5]
	s_add_i32 s3, s22, -1
	s_ashr_i32 s4, s3, 31
	s_lshr_b32 s4, s4, 27
	s_add_i32 s3, s3, s4
	s_ashr_i32 s4, s3, 5
	s_andn2_b32 s3, s3, 31
	s_sub_i32 s3, s22, s3
	s_cmp_ge_i32 s2, s4
	s_cselect_b32 s3, s3, 32
	s_lshl_b32 s4, s2, 5
	v_cmp_gt_i32_e64 s[2:3], s3, v5
	s_ashr_i32 s5, s4, 31
	s_and_b64 s[2:3], vcc, s[2:3]
	s_and_saveexec_b64 s[8:9], s[2:3]
	s_cbranch_execz .LBB162_5
; %bb.4:
	s_lshl_b64 s[10:11], s[18:19], 3
	s_waitcnt lgkmcnt(0)
	s_add_u32 s12, s26, s10
	s_addc_u32 s13, s27, s11
	s_lshl_b64 s[10:11], s[4:5], 3
	s_add_u32 s10, s12, s10
	s_addc_u32 s11, s13, s11
	v_mad_u64_u32 v[6:7], s[12:13], s16, v4, 0
	v_mov_b32_e32 v8, v7
	v_mad_u64_u32 v[8:9], s[12:13], s17, v4, v[8:9]
	v_mov_b32_e32 v7, v8
	v_lshl_add_u64 v[6:7], v[6:7], 3, s[10:11]
	v_mov_b32_e32 v1, 0
	v_lshl_add_u64 v[6:7], v[6:7], 0, v[0:1]
	flat_load_dwordx2 v[6:7], v[6:7]
	v_add_u32_e32 v1, 0x2000, v3
	s_waitcnt vmcnt(0) lgkmcnt(0)
	ds_write_b64 v1, v[6:7]
.LBB162_5:
	s_or_b64 exec, exec, s[8:9]
	s_cmpk_eq_i32 s21, 0x84
	s_cselect_b64 s[8:9], -1, 0
	v_cmp_eq_u32_e32 vcc, v4, v5
	s_and_b64 s[10:11], vcc, s[8:9]
	s_and_saveexec_b64 s[8:9], s[10:11]
; %bb.6:
	v_mov_b32_e32 v6, 0
	v_mov_b32_e32 v7, 0x3ff00000
	ds_write_b64 v3, v[6:7]
; %bb.7:
	s_or_b64 exec, exec, s[8:9]
	s_cmpk_lg_i32 s20, 0x79
	s_cbranch_scc0 .LBB162_9
; %bb.8:
	v_cmp_lt_u32_e32 vcc, v5, v4
	s_and_b64 s[8:9], vcc, exec
	s_cbranch_execz .LBB162_10
	s_branch .LBB162_11
.LBB162_9:
	s_mov_b64 s[8:9], 0
.LBB162_10:
	v_cmp_gt_u32_e32 vcc, v5, v4
	s_andn2_b64 s[8:9], s[8:9], exec
	s_and_b64 s[10:11], vcc, exec
	s_or_b64 s[8:9], s[8:9], s[10:11]
.LBB162_11:
	s_and_saveexec_b64 s[10:11], s[8:9]
; %bb.12:
	v_mov_b32_e32 v6, 0
	v_mov_b32_e32 v7, v6
	ds_write_b64 v3, v[6:7]
; %bb.13:
	s_or_b64 exec, exec, s[10:11]
	s_waitcnt lgkmcnt(0)
	s_barrier
	s_and_saveexec_b64 s[8:9], s[2:3]
	s_cbranch_execz .LBB162_15
; %bb.14:
	v_add_u32_e32 v1, 0x2000, v0
	ds_read2_b64 v[6:9], v1 offset1:32
	v_lshlrev_b32_e32 v5, 3, v2
	ds_read_b128 v[10:13], v5
	ds_read_b128 v[14:17], v5 offset:16
	ds_read2_b64 v[18:21], v1 offset0:64 offset1:96
	ds_read_b128 v[22:25], v5 offset:32
	ds_read_b128 v[26:29], v5 offset:48
	ds_read2_b64 v[30:33], v1 offset0:128 offset1:160
	s_load_dwordx2 s[0:1], s[0:1], 0x60
	s_waitcnt lgkmcnt(0)
	v_fma_f64 v[2:3], v[6:7], v[10:11], 0
	v_fmac_f64_e32 v[2:3], v[8:9], v[12:13]
	ds_read2_b64 v[6:9], v1 offset0:192 offset1:224
	v_fmac_f64_e32 v[2:3], v[18:19], v[14:15]
	v_fmac_f64_e32 v[2:3], v[20:21], v[16:17]
	;; [unrolled: 1-line block ×3, first 2 shown]
	v_add_u32_e32 v1, 0x2800, v0
	v_fmac_f64_e32 v[2:3], v[32:33], v[24:25]
	ds_read2_b64 v[10:13], v1 offset1:32
	ds_read_b128 v[14:17], v5 offset:64
	s_waitcnt lgkmcnt(2)
	v_fmac_f64_e32 v[2:3], v[6:7], v[26:27]
	v_fmac_f64_e32 v[2:3], v[8:9], v[28:29]
	ds_read2_b64 v[6:9], v1 offset0:64 offset1:96
	ds_read_b128 v[18:21], v5 offset:80
	ds_read2_b64 v[22:25], v1 offset0:128 offset1:160
	ds_read_b128 v[26:29], v5 offset:96
	s_waitcnt lgkmcnt(4)
	v_fmac_f64_e32 v[2:3], v[10:11], v[14:15]
	v_fmac_f64_e32 v[2:3], v[12:13], v[16:17]
	ds_read2_b64 v[10:13], v1 offset0:192 offset1:224
	s_waitcnt lgkmcnt(3)
	v_fmac_f64_e32 v[2:3], v[6:7], v[18:19]
	v_fmac_f64_e32 v[2:3], v[8:9], v[20:21]
	ds_read_b128 v[6:9], v5 offset:112
	s_waitcnt lgkmcnt(2)
	v_fmac_f64_e32 v[2:3], v[22:23], v[26:27]
	v_add_u32_e32 v1, 0x3000, v0
	v_fmac_f64_e32 v[2:3], v[24:25], v[28:29]
	ds_read2_b64 v[14:17], v1 offset1:32
	ds_read_b128 v[18:21], v5 offset:128
	s_waitcnt lgkmcnt(2)
	v_fmac_f64_e32 v[2:3], v[10:11], v[6:7]
	v_fmac_f64_e32 v[2:3], v[12:13], v[8:9]
	ds_read2_b64 v[6:9], v1 offset0:64 offset1:96
	ds_read_b128 v[10:13], v5 offset:144
	ds_read2_b64 v[22:25], v1 offset0:128 offset1:160
	ds_read_b128 v[26:29], v5 offset:160
	s_waitcnt lgkmcnt(4)
	v_fmac_f64_e32 v[2:3], v[14:15], v[18:19]
	v_fmac_f64_e32 v[2:3], v[16:17], v[20:21]
	s_lshl_b64 s[0:1], s[0:1], 3
	s_waitcnt lgkmcnt(2)
	v_fmac_f64_e32 v[2:3], v[6:7], v[10:11]
	v_fmac_f64_e32 v[2:3], v[8:9], v[12:13]
	ds_read_b128 v[6:9], v5 offset:176
	ds_read2_b64 v[10:13], v1 offset0:192 offset1:224
	s_waitcnt lgkmcnt(2)
	v_fmac_f64_e32 v[2:3], v[22:23], v[26:27]
	v_add_u32_e32 v1, 0x3800, v0
	ds_read2_b64 v[14:17], v1 offset1:32
	ds_read_b128 v[18:21], v5 offset:192
	v_fmac_f64_e32 v[2:3], v[24:25], v[28:29]
	s_waitcnt lgkmcnt(2)
	v_fmac_f64_e32 v[2:3], v[10:11], v[6:7]
	v_fmac_f64_e32 v[2:3], v[12:13], v[8:9]
	ds_read_b128 v[6:9], v5 offset:208
	s_add_u32 s2, s14, s0
	s_waitcnt lgkmcnt(1)
	v_fmac_f64_e32 v[2:3], v[14:15], v[18:19]
	s_addc_u32 s3, s15, s1
	s_lshl_b64 s[0:1], s[4:5], 3
	v_fmac_f64_e32 v[2:3], v[16:17], v[20:21]
	ds_read2_b64 v[10:13], v1 offset0:64 offset1:96
	ds_read2_b64 v[14:17], v1 offset0:128 offset1:160
	ds_read_b128 v[18:21], v5 offset:224
	ds_read2_b64 v[22:25], v1 offset0:192 offset1:224
	ds_read_b128 v[26:29], v5 offset:240
	s_add_u32 s0, s2, s0
	s_waitcnt lgkmcnt(4)
	v_fmac_f64_e32 v[2:3], v[10:11], v[6:7]
	s_addc_u32 s1, s3, s1
	v_fmac_f64_e32 v[2:3], v[12:13], v[8:9]
	v_mad_u64_u32 v[6:7], s[2:3], s6, v4, 0
	s_waitcnt lgkmcnt(2)
	v_fmac_f64_e32 v[2:3], v[14:15], v[18:19]
	v_mov_b32_e32 v8, v7
	v_fmac_f64_e32 v[2:3], v[16:17], v[20:21]
	v_mad_u64_u32 v[4:5], s[2:3], s7, v4, v[8:9]
	s_waitcnt lgkmcnt(0)
	v_fmac_f64_e32 v[2:3], v[22:23], v[26:27]
	v_mov_b32_e32 v7, v4
	v_fmac_f64_e32 v[2:3], v[24:25], v[28:29]
	v_lshl_add_u64 v[4:5], v[6:7], 3, s[0:1]
	v_mov_b32_e32 v1, 0
	v_mul_f64 v[2:3], s[24:25], v[2:3]
	v_lshl_add_u64 v[0:1], v[4:5], 0, v[0:1]
	flat_store_dwordx2 v[0:1], v[2:3]
.LBB162_15:
	s_endpgm
	.section	.rodata,"a",@progbits
	.p2align	6, 0x0
	.amdhsa_kernel _ZL23rocblas_trmm_rNx_kernelILi32EdPKdKS1_KPdEv13rocblas_fill_17rocblas_diagonal_iiT1_lPT2_llS9_llPT3_lli
		.amdhsa_group_segment_fixed_size 16384
		.amdhsa_private_segment_fixed_size 0
		.amdhsa_kernarg_size 108
		.amdhsa_user_sgpr_count 2
		.amdhsa_user_sgpr_dispatch_ptr 0
		.amdhsa_user_sgpr_queue_ptr 0
		.amdhsa_user_sgpr_kernarg_segment_ptr 1
		.amdhsa_user_sgpr_dispatch_id 0
		.amdhsa_user_sgpr_kernarg_preload_length 0
		.amdhsa_user_sgpr_kernarg_preload_offset 0
		.amdhsa_user_sgpr_private_segment_size 0
		.amdhsa_uses_dynamic_stack 0
		.amdhsa_enable_private_segment 0
		.amdhsa_system_sgpr_workgroup_id_x 1
		.amdhsa_system_sgpr_workgroup_id_y 0
		.amdhsa_system_sgpr_workgroup_id_z 1
		.amdhsa_system_sgpr_workgroup_info 0
		.amdhsa_system_vgpr_workitem_id 1
		.amdhsa_next_free_vgpr 34
		.amdhsa_next_free_sgpr 32
		.amdhsa_accum_offset 36
		.amdhsa_reserve_vcc 1
		.amdhsa_float_round_mode_32 0
		.amdhsa_float_round_mode_16_64 0
		.amdhsa_float_denorm_mode_32 3
		.amdhsa_float_denorm_mode_16_64 3
		.amdhsa_dx10_clamp 1
		.amdhsa_ieee_mode 1
		.amdhsa_fp16_overflow 0
		.amdhsa_tg_split 0
		.amdhsa_exception_fp_ieee_invalid_op 0
		.amdhsa_exception_fp_denorm_src 0
		.amdhsa_exception_fp_ieee_div_zero 0
		.amdhsa_exception_fp_ieee_overflow 0
		.amdhsa_exception_fp_ieee_underflow 0
		.amdhsa_exception_fp_ieee_inexact 0
		.amdhsa_exception_int_div_zero 0
	.end_amdhsa_kernel
	.section	.text._ZL23rocblas_trmm_rNx_kernelILi32EdPKdKS1_KPdEv13rocblas_fill_17rocblas_diagonal_iiT1_lPT2_llS9_llPT3_lli,"axG",@progbits,_ZL23rocblas_trmm_rNx_kernelILi32EdPKdKS1_KPdEv13rocblas_fill_17rocblas_diagonal_iiT1_lPT2_llS9_llPT3_lli,comdat
.Lfunc_end162:
	.size	_ZL23rocblas_trmm_rNx_kernelILi32EdPKdKS1_KPdEv13rocblas_fill_17rocblas_diagonal_iiT1_lPT2_llS9_llPT3_lli, .Lfunc_end162-_ZL23rocblas_trmm_rNx_kernelILi32EdPKdKS1_KPdEv13rocblas_fill_17rocblas_diagonal_iiT1_lPT2_llS9_llPT3_lli
                                        ; -- End function
	.set _ZL23rocblas_trmm_rNx_kernelILi32EdPKdKS1_KPdEv13rocblas_fill_17rocblas_diagonal_iiT1_lPT2_llS9_llPT3_lli.num_vgpr, 34
	.set _ZL23rocblas_trmm_rNx_kernelILi32EdPKdKS1_KPdEv13rocblas_fill_17rocblas_diagonal_iiT1_lPT2_llS9_llPT3_lli.num_agpr, 0
	.set _ZL23rocblas_trmm_rNx_kernelILi32EdPKdKS1_KPdEv13rocblas_fill_17rocblas_diagonal_iiT1_lPT2_llS9_llPT3_lli.numbered_sgpr, 32
	.set _ZL23rocblas_trmm_rNx_kernelILi32EdPKdKS1_KPdEv13rocblas_fill_17rocblas_diagonal_iiT1_lPT2_llS9_llPT3_lli.num_named_barrier, 0
	.set _ZL23rocblas_trmm_rNx_kernelILi32EdPKdKS1_KPdEv13rocblas_fill_17rocblas_diagonal_iiT1_lPT2_llS9_llPT3_lli.private_seg_size, 0
	.set _ZL23rocblas_trmm_rNx_kernelILi32EdPKdKS1_KPdEv13rocblas_fill_17rocblas_diagonal_iiT1_lPT2_llS9_llPT3_lli.uses_vcc, 1
	.set _ZL23rocblas_trmm_rNx_kernelILi32EdPKdKS1_KPdEv13rocblas_fill_17rocblas_diagonal_iiT1_lPT2_llS9_llPT3_lli.uses_flat_scratch, 0
	.set _ZL23rocblas_trmm_rNx_kernelILi32EdPKdKS1_KPdEv13rocblas_fill_17rocblas_diagonal_iiT1_lPT2_llS9_llPT3_lli.has_dyn_sized_stack, 0
	.set _ZL23rocblas_trmm_rNx_kernelILi32EdPKdKS1_KPdEv13rocblas_fill_17rocblas_diagonal_iiT1_lPT2_llS9_llPT3_lli.has_recursion, 0
	.set _ZL23rocblas_trmm_rNx_kernelILi32EdPKdKS1_KPdEv13rocblas_fill_17rocblas_diagonal_iiT1_lPT2_llS9_llPT3_lli.has_indirect_call, 0
	.section	.AMDGPU.csdata,"",@progbits
; Kernel info:
; codeLenInByte = 1176
; TotalNumSgprs: 38
; NumVgprs: 34
; NumAgprs: 0
; TotalNumVgprs: 34
; ScratchSize: 0
; MemoryBound: 0
; FloatMode: 240
; IeeeMode: 1
; LDSByteSize: 16384 bytes/workgroup (compile time only)
; SGPRBlocks: 4
; VGPRBlocks: 4
; NumSGPRsForWavesPerEU: 38
; NumVGPRsForWavesPerEU: 34
; AccumOffset: 36
; Occupancy: 8
; WaveLimiterHint : 1
; COMPUTE_PGM_RSRC2:SCRATCH_EN: 0
; COMPUTE_PGM_RSRC2:USER_SGPR: 2
; COMPUTE_PGM_RSRC2:TRAP_HANDLER: 0
; COMPUTE_PGM_RSRC2:TGID_X_EN: 1
; COMPUTE_PGM_RSRC2:TGID_Y_EN: 0
; COMPUTE_PGM_RSRC2:TGID_Z_EN: 1
; COMPUTE_PGM_RSRC2:TIDIG_COMP_CNT: 1
; COMPUTE_PGM_RSRC3_GFX90A:ACCUM_OFFSET: 8
; COMPUTE_PGM_RSRC3_GFX90A:TG_SPLIT: 0
	.section	.text._ZL23rocblas_trmm_rNx_kernelILi32EddKPKdKPdEv13rocblas_fill_17rocblas_diagonal_iiT1_lPT2_llS9_llPT3_lli,"axG",@progbits,_ZL23rocblas_trmm_rNx_kernelILi32EddKPKdKPdEv13rocblas_fill_17rocblas_diagonal_iiT1_lPT2_llS9_llPT3_lli,comdat
	.globl	_ZL23rocblas_trmm_rNx_kernelILi32EddKPKdKPdEv13rocblas_fill_17rocblas_diagonal_iiT1_lPT2_llS9_llPT3_lli ; -- Begin function _ZL23rocblas_trmm_rNx_kernelILi32EddKPKdKPdEv13rocblas_fill_17rocblas_diagonal_iiT1_lPT2_llS9_llPT3_lli
	.p2align	8
	.type	_ZL23rocblas_trmm_rNx_kernelILi32EddKPKdKPdEv13rocblas_fill_17rocblas_diagonal_iiT1_lPT2_llS9_llPT3_lli,@function
_ZL23rocblas_trmm_rNx_kernelILi32EddKPKdKPdEv13rocblas_fill_17rocblas_diagonal_iiT1_lPT2_llS9_llPT3_lli: ; @_ZL23rocblas_trmm_rNx_kernelILi32EddKPKdKPdEv13rocblas_fill_17rocblas_diagonal_iiT1_lPT2_llS9_llPT3_lli
; %bb.0:
	s_load_dwordx2 s[6:7], s[0:1], 0x10
	s_waitcnt lgkmcnt(0)
	v_cmp_eq_f64_e64 s[8:9], s[6:7], 0
	s_and_b64 vcc, exec, s[8:9]
	s_cbranch_vccnz .LBB163_15
; %bb.1:
	s_load_dwordx4 s[24:27], s[0:1], 0x0
	s_load_dwordx16 s[8:23], s[0:1], 0x20
	s_mov_b32 s4, s3
	s_mov_b32 s5, 0
	s_lshl_b64 s[30:31], s[4:5], 3
	v_bfe_u32 v4, v0, 10, 10
	s_waitcnt lgkmcnt(0)
	s_add_u32 s14, s14, s30
	s_addc_u32 s15, s15, s31
	s_load_dwordx2 s[28:29], s[14:15], 0x0
	s_add_u32 s14, s20, s30
	s_addc_u32 s15, s21, s31
	s_load_dwordx2 s[14:15], s[14:15], 0x0
	v_and_b32_e32 v5, 0x3ff, v0
	v_lshlrev_b32_e32 v2, 5, v4
	s_mov_b32 s4, s5
	v_add_lshl_u32 v3, v2, v5, 3
	v_mov_b64_e32 v[0:1], s[4:5]
	v_cmp_gt_i32_e32 vcc, s27, v4
	v_cmp_gt_i32_e64 s[4:5], s27, v5
	ds_write2st64_b64 v3, v[0:1], v[0:1] offset1:16
	s_and_b64 s[20:21], vcc, s[4:5]
	v_lshlrev_b32_e32 v0, 3, v5
	s_and_saveexec_b64 s[4:5], s[20:21]
	s_cbranch_execz .LBB163_3
; %bb.2:
	s_add_u32 s8, s8, s30
	s_addc_u32 s9, s9, s31
	s_load_dwordx2 s[8:9], s[8:9], 0x0
	v_mad_u64_u32 v[6:7], s[20:21], s10, v4, 0
	s_lshl_b64 s[12:13], s[12:13], 3
	v_mov_b32_e32 v8, v7
	s_waitcnt lgkmcnt(0)
	s_add_u32 s8, s8, s12
	v_mad_u64_u32 v[8:9], s[10:11], s11, v4, v[8:9]
	s_addc_u32 s9, s9, s13
	v_mov_b32_e32 v7, v8
	v_lshl_add_u64 v[6:7], v[6:7], 3, s[8:9]
	v_mov_b32_e32 v1, 0
	v_lshl_add_u64 v[6:7], v[6:7], 0, v[0:1]
	flat_load_dwordx2 v[6:7], v[6:7]
	s_waitcnt vmcnt(0) lgkmcnt(0)
	ds_write_b64 v3, v[6:7]
.LBB163_3:
	s_or_b64 exec, exec, s[4:5]
	s_add_i32 s3, s26, -1
	s_ashr_i32 s4, s3, 31
	s_lshr_b32 s4, s4, 27
	s_add_i32 s3, s3, s4
	s_ashr_i32 s4, s3, 5
	s_andn2_b32 s3, s3, 31
	s_sub_i32 s3, s26, s3
	s_cmp_ge_i32 s2, s4
	s_cselect_b32 s3, s3, 32
	s_lshl_b32 s4, s2, 5
	v_cmp_gt_i32_e64 s[2:3], s3, v5
	s_ashr_i32 s5, s4, 31
	s_and_b64 s[2:3], vcc, s[2:3]
	s_and_saveexec_b64 s[8:9], s[2:3]
	s_cbranch_execz .LBB163_5
; %bb.4:
	s_lshl_b64 s[10:11], s[18:19], 3
	s_waitcnt lgkmcnt(0)
	s_add_u32 s12, s28, s10
	s_addc_u32 s13, s29, s11
	s_lshl_b64 s[10:11], s[4:5], 3
	s_add_u32 s10, s12, s10
	s_addc_u32 s11, s13, s11
	v_mad_u64_u32 v[6:7], s[12:13], s16, v4, 0
	v_mov_b32_e32 v8, v7
	v_mad_u64_u32 v[8:9], s[12:13], s17, v4, v[8:9]
	v_mov_b32_e32 v7, v8
	v_lshl_add_u64 v[6:7], v[6:7], 3, s[10:11]
	v_mov_b32_e32 v1, 0
	v_lshl_add_u64 v[6:7], v[6:7], 0, v[0:1]
	flat_load_dwordx2 v[6:7], v[6:7]
	v_add_u32_e32 v1, 0x2000, v3
	s_waitcnt vmcnt(0) lgkmcnt(0)
	ds_write_b64 v1, v[6:7]
.LBB163_5:
	s_or_b64 exec, exec, s[8:9]
	s_cmpk_eq_i32 s25, 0x84
	s_cselect_b64 s[8:9], -1, 0
	v_cmp_eq_u32_e32 vcc, v4, v5
	s_and_b64 s[10:11], vcc, s[8:9]
	s_and_saveexec_b64 s[8:9], s[10:11]
; %bb.6:
	v_mov_b32_e32 v6, 0
	v_mov_b32_e32 v7, 0x3ff00000
	ds_write_b64 v3, v[6:7]
; %bb.7:
	s_or_b64 exec, exec, s[8:9]
	s_cmpk_lg_i32 s24, 0x79
	s_cbranch_scc0 .LBB163_9
; %bb.8:
	v_cmp_lt_u32_e32 vcc, v5, v4
	s_and_b64 s[8:9], vcc, exec
	s_cbranch_execz .LBB163_10
	s_branch .LBB163_11
.LBB163_9:
	s_mov_b64 s[8:9], 0
.LBB163_10:
	v_cmp_gt_u32_e32 vcc, v5, v4
	s_andn2_b64 s[8:9], s[8:9], exec
	s_and_b64 s[10:11], vcc, exec
	s_or_b64 s[8:9], s[8:9], s[10:11]
.LBB163_11:
	s_and_saveexec_b64 s[10:11], s[8:9]
; %bb.12:
	v_mov_b32_e32 v6, 0
	v_mov_b32_e32 v7, v6
	ds_write_b64 v3, v[6:7]
; %bb.13:
	s_or_b64 exec, exec, s[10:11]
	s_waitcnt lgkmcnt(0)
	s_barrier
	s_and_saveexec_b64 s[8:9], s[2:3]
	s_cbranch_execz .LBB163_15
; %bb.14:
	v_add_u32_e32 v1, 0x2000, v0
	ds_read2_b64 v[6:9], v1 offset1:32
	v_lshlrev_b32_e32 v5, 3, v2
	ds_read_b128 v[10:13], v5
	ds_read_b128 v[14:17], v5 offset:16
	ds_read2_b64 v[18:21], v1 offset0:64 offset1:96
	ds_read_b128 v[22:25], v5 offset:32
	ds_read_b128 v[26:29], v5 offset:48
	ds_read2_b64 v[30:33], v1 offset0:128 offset1:160
	s_load_dwordx2 s[0:1], s[0:1], 0x60
	s_waitcnt lgkmcnt(0)
	v_fma_f64 v[2:3], v[6:7], v[10:11], 0
	v_fmac_f64_e32 v[2:3], v[8:9], v[12:13]
	ds_read2_b64 v[6:9], v1 offset0:192 offset1:224
	v_fmac_f64_e32 v[2:3], v[18:19], v[14:15]
	v_fmac_f64_e32 v[2:3], v[20:21], v[16:17]
	;; [unrolled: 1-line block ×3, first 2 shown]
	v_add_u32_e32 v1, 0x2800, v0
	v_fmac_f64_e32 v[2:3], v[32:33], v[24:25]
	ds_read2_b64 v[10:13], v1 offset1:32
	ds_read_b128 v[14:17], v5 offset:64
	s_waitcnt lgkmcnt(2)
	v_fmac_f64_e32 v[2:3], v[6:7], v[26:27]
	v_fmac_f64_e32 v[2:3], v[8:9], v[28:29]
	ds_read2_b64 v[6:9], v1 offset0:64 offset1:96
	ds_read_b128 v[18:21], v5 offset:80
	ds_read2_b64 v[22:25], v1 offset0:128 offset1:160
	ds_read_b128 v[26:29], v5 offset:96
	s_waitcnt lgkmcnt(4)
	v_fmac_f64_e32 v[2:3], v[10:11], v[14:15]
	v_fmac_f64_e32 v[2:3], v[12:13], v[16:17]
	ds_read2_b64 v[10:13], v1 offset0:192 offset1:224
	s_waitcnt lgkmcnt(3)
	v_fmac_f64_e32 v[2:3], v[6:7], v[18:19]
	v_fmac_f64_e32 v[2:3], v[8:9], v[20:21]
	ds_read_b128 v[6:9], v5 offset:112
	s_waitcnt lgkmcnt(2)
	v_fmac_f64_e32 v[2:3], v[22:23], v[26:27]
	v_add_u32_e32 v1, 0x3000, v0
	v_fmac_f64_e32 v[2:3], v[24:25], v[28:29]
	ds_read2_b64 v[14:17], v1 offset1:32
	ds_read_b128 v[18:21], v5 offset:128
	s_waitcnt lgkmcnt(2)
	v_fmac_f64_e32 v[2:3], v[10:11], v[6:7]
	v_fmac_f64_e32 v[2:3], v[12:13], v[8:9]
	ds_read2_b64 v[6:9], v1 offset0:64 offset1:96
	ds_read_b128 v[10:13], v5 offset:144
	ds_read2_b64 v[22:25], v1 offset0:128 offset1:160
	ds_read_b128 v[26:29], v5 offset:160
	s_waitcnt lgkmcnt(4)
	v_fmac_f64_e32 v[2:3], v[14:15], v[18:19]
	v_fmac_f64_e32 v[2:3], v[16:17], v[20:21]
	s_lshl_b64 s[0:1], s[0:1], 3
	s_waitcnt lgkmcnt(2)
	v_fmac_f64_e32 v[2:3], v[6:7], v[10:11]
	v_fmac_f64_e32 v[2:3], v[8:9], v[12:13]
	ds_read_b128 v[6:9], v5 offset:176
	ds_read2_b64 v[10:13], v1 offset0:192 offset1:224
	s_waitcnt lgkmcnt(2)
	v_fmac_f64_e32 v[2:3], v[22:23], v[26:27]
	v_add_u32_e32 v1, 0x3800, v0
	ds_read2_b64 v[14:17], v1 offset1:32
	ds_read_b128 v[18:21], v5 offset:192
	v_fmac_f64_e32 v[2:3], v[24:25], v[28:29]
	s_waitcnt lgkmcnt(2)
	v_fmac_f64_e32 v[2:3], v[10:11], v[6:7]
	v_fmac_f64_e32 v[2:3], v[12:13], v[8:9]
	ds_read_b128 v[6:9], v5 offset:208
	s_add_u32 s2, s14, s0
	s_waitcnt lgkmcnt(1)
	v_fmac_f64_e32 v[2:3], v[14:15], v[18:19]
	s_addc_u32 s3, s15, s1
	s_lshl_b64 s[0:1], s[4:5], 3
	v_fmac_f64_e32 v[2:3], v[16:17], v[20:21]
	ds_read2_b64 v[10:13], v1 offset0:64 offset1:96
	ds_read2_b64 v[14:17], v1 offset0:128 offset1:160
	ds_read_b128 v[18:21], v5 offset:224
	ds_read2_b64 v[22:25], v1 offset0:192 offset1:224
	ds_read_b128 v[26:29], v5 offset:240
	s_add_u32 s0, s2, s0
	s_waitcnt lgkmcnt(4)
	v_fmac_f64_e32 v[2:3], v[10:11], v[6:7]
	s_addc_u32 s1, s3, s1
	v_fmac_f64_e32 v[2:3], v[12:13], v[8:9]
	v_mad_u64_u32 v[6:7], s[2:3], s22, v4, 0
	s_waitcnt lgkmcnt(2)
	v_fmac_f64_e32 v[2:3], v[14:15], v[18:19]
	v_mov_b32_e32 v8, v7
	v_fmac_f64_e32 v[2:3], v[16:17], v[20:21]
	v_mad_u64_u32 v[4:5], s[2:3], s23, v4, v[8:9]
	s_waitcnt lgkmcnt(0)
	v_fmac_f64_e32 v[2:3], v[22:23], v[26:27]
	v_mov_b32_e32 v7, v4
	v_fmac_f64_e32 v[2:3], v[24:25], v[28:29]
	v_lshl_add_u64 v[4:5], v[6:7], 3, s[0:1]
	v_mov_b32_e32 v1, 0
	v_mul_f64 v[2:3], s[6:7], v[2:3]
	v_lshl_add_u64 v[0:1], v[4:5], 0, v[0:1]
	flat_store_dwordx2 v[0:1], v[2:3]
.LBB163_15:
	s_endpgm
	.section	.rodata,"a",@progbits
	.p2align	6, 0x0
	.amdhsa_kernel _ZL23rocblas_trmm_rNx_kernelILi32EddKPKdKPdEv13rocblas_fill_17rocblas_diagonal_iiT1_lPT2_llS9_llPT3_lli
		.amdhsa_group_segment_fixed_size 16384
		.amdhsa_private_segment_fixed_size 0
		.amdhsa_kernarg_size 108
		.amdhsa_user_sgpr_count 2
		.amdhsa_user_sgpr_dispatch_ptr 0
		.amdhsa_user_sgpr_queue_ptr 0
		.amdhsa_user_sgpr_kernarg_segment_ptr 1
		.amdhsa_user_sgpr_dispatch_id 0
		.amdhsa_user_sgpr_kernarg_preload_length 0
		.amdhsa_user_sgpr_kernarg_preload_offset 0
		.amdhsa_user_sgpr_private_segment_size 0
		.amdhsa_uses_dynamic_stack 0
		.amdhsa_enable_private_segment 0
		.amdhsa_system_sgpr_workgroup_id_x 1
		.amdhsa_system_sgpr_workgroup_id_y 0
		.amdhsa_system_sgpr_workgroup_id_z 1
		.amdhsa_system_sgpr_workgroup_info 0
		.amdhsa_system_vgpr_workitem_id 1
		.amdhsa_next_free_vgpr 34
		.amdhsa_next_free_sgpr 32
		.amdhsa_accum_offset 36
		.amdhsa_reserve_vcc 1
		.amdhsa_float_round_mode_32 0
		.amdhsa_float_round_mode_16_64 0
		.amdhsa_float_denorm_mode_32 3
		.amdhsa_float_denorm_mode_16_64 3
		.amdhsa_dx10_clamp 1
		.amdhsa_ieee_mode 1
		.amdhsa_fp16_overflow 0
		.amdhsa_tg_split 0
		.amdhsa_exception_fp_ieee_invalid_op 0
		.amdhsa_exception_fp_denorm_src 0
		.amdhsa_exception_fp_ieee_div_zero 0
		.amdhsa_exception_fp_ieee_overflow 0
		.amdhsa_exception_fp_ieee_underflow 0
		.amdhsa_exception_fp_ieee_inexact 0
		.amdhsa_exception_int_div_zero 0
	.end_amdhsa_kernel
	.section	.text._ZL23rocblas_trmm_rNx_kernelILi32EddKPKdKPdEv13rocblas_fill_17rocblas_diagonal_iiT1_lPT2_llS9_llPT3_lli,"axG",@progbits,_ZL23rocblas_trmm_rNx_kernelILi32EddKPKdKPdEv13rocblas_fill_17rocblas_diagonal_iiT1_lPT2_llS9_llPT3_lli,comdat
.Lfunc_end163:
	.size	_ZL23rocblas_trmm_rNx_kernelILi32EddKPKdKPdEv13rocblas_fill_17rocblas_diagonal_iiT1_lPT2_llS9_llPT3_lli, .Lfunc_end163-_ZL23rocblas_trmm_rNx_kernelILi32EddKPKdKPdEv13rocblas_fill_17rocblas_diagonal_iiT1_lPT2_llS9_llPT3_lli
                                        ; -- End function
	.set _ZL23rocblas_trmm_rNx_kernelILi32EddKPKdKPdEv13rocblas_fill_17rocblas_diagonal_iiT1_lPT2_llS9_llPT3_lli.num_vgpr, 34
	.set _ZL23rocblas_trmm_rNx_kernelILi32EddKPKdKPdEv13rocblas_fill_17rocblas_diagonal_iiT1_lPT2_llS9_llPT3_lli.num_agpr, 0
	.set _ZL23rocblas_trmm_rNx_kernelILi32EddKPKdKPdEv13rocblas_fill_17rocblas_diagonal_iiT1_lPT2_llS9_llPT3_lli.numbered_sgpr, 32
	.set _ZL23rocblas_trmm_rNx_kernelILi32EddKPKdKPdEv13rocblas_fill_17rocblas_diagonal_iiT1_lPT2_llS9_llPT3_lli.num_named_barrier, 0
	.set _ZL23rocblas_trmm_rNx_kernelILi32EddKPKdKPdEv13rocblas_fill_17rocblas_diagonal_iiT1_lPT2_llS9_llPT3_lli.private_seg_size, 0
	.set _ZL23rocblas_trmm_rNx_kernelILi32EddKPKdKPdEv13rocblas_fill_17rocblas_diagonal_iiT1_lPT2_llS9_llPT3_lli.uses_vcc, 1
	.set _ZL23rocblas_trmm_rNx_kernelILi32EddKPKdKPdEv13rocblas_fill_17rocblas_diagonal_iiT1_lPT2_llS9_llPT3_lli.uses_flat_scratch, 0
	.set _ZL23rocblas_trmm_rNx_kernelILi32EddKPKdKPdEv13rocblas_fill_17rocblas_diagonal_iiT1_lPT2_llS9_llPT3_lli.has_dyn_sized_stack, 0
	.set _ZL23rocblas_trmm_rNx_kernelILi32EddKPKdKPdEv13rocblas_fill_17rocblas_diagonal_iiT1_lPT2_llS9_llPT3_lli.has_recursion, 0
	.set _ZL23rocblas_trmm_rNx_kernelILi32EddKPKdKPdEv13rocblas_fill_17rocblas_diagonal_iiT1_lPT2_llS9_llPT3_lli.has_indirect_call, 0
	.section	.AMDGPU.csdata,"",@progbits
; Kernel info:
; codeLenInByte = 1136
; TotalNumSgprs: 38
; NumVgprs: 34
; NumAgprs: 0
; TotalNumVgprs: 34
; ScratchSize: 0
; MemoryBound: 0
; FloatMode: 240
; IeeeMode: 1
; LDSByteSize: 16384 bytes/workgroup (compile time only)
; SGPRBlocks: 4
; VGPRBlocks: 4
; NumSGPRsForWavesPerEU: 38
; NumVGPRsForWavesPerEU: 34
; AccumOffset: 36
; Occupancy: 8
; WaveLimiterHint : 1
; COMPUTE_PGM_RSRC2:SCRATCH_EN: 0
; COMPUTE_PGM_RSRC2:USER_SGPR: 2
; COMPUTE_PGM_RSRC2:TRAP_HANDLER: 0
; COMPUTE_PGM_RSRC2:TGID_X_EN: 1
; COMPUTE_PGM_RSRC2:TGID_Y_EN: 0
; COMPUTE_PGM_RSRC2:TGID_Z_EN: 1
; COMPUTE_PGM_RSRC2:TIDIG_COMP_CNT: 1
; COMPUTE_PGM_RSRC3_GFX90A:ACCUM_OFFSET: 8
; COMPUTE_PGM_RSRC3_GFX90A:TG_SPLIT: 0
	.section	.text._ZL23rocblas_trmm_rTx_kernelILi32ELb0EdPKdKS1_KPdEv13rocblas_fill_17rocblas_diagonal_iiT2_lPT3_llS9_llPT4_lli,"axG",@progbits,_ZL23rocblas_trmm_rTx_kernelILi32ELb0EdPKdKS1_KPdEv13rocblas_fill_17rocblas_diagonal_iiT2_lPT3_llS9_llPT4_lli,comdat
	.globl	_ZL23rocblas_trmm_rTx_kernelILi32ELb0EdPKdKS1_KPdEv13rocblas_fill_17rocblas_diagonal_iiT2_lPT3_llS9_llPT4_lli ; -- Begin function _ZL23rocblas_trmm_rTx_kernelILi32ELb0EdPKdKS1_KPdEv13rocblas_fill_17rocblas_diagonal_iiT2_lPT3_llS9_llPT4_lli
	.p2align	8
	.type	_ZL23rocblas_trmm_rTx_kernelILi32ELb0EdPKdKS1_KPdEv13rocblas_fill_17rocblas_diagonal_iiT2_lPT3_llS9_llPT4_lli,@function
_ZL23rocblas_trmm_rTx_kernelILi32ELb0EdPKdKS1_KPdEv13rocblas_fill_17rocblas_diagonal_iiT2_lPT3_llS9_llPT4_lli: ; @_ZL23rocblas_trmm_rTx_kernelILi32ELb0EdPKdKS1_KPdEv13rocblas_fill_17rocblas_diagonal_iiT2_lPT3_llS9_llPT4_lli
; %bb.0:
	s_load_dwordx16 s[4:19], s[0:1], 0x10
	s_mov_b32 s28, s3
	s_waitcnt lgkmcnt(0)
	s_mul_i32 s3, s7, s3
	s_mul_hi_u32 s7, s6, s28
	s_add_i32 s7, s7, s3
	s_mul_i32 s6, s6, s28
	s_lshl_b64 s[6:7], s[6:7], 3
	s_add_u32 s4, s4, s6
	s_addc_u32 s5, s5, s7
	s_load_dwordx2 s[24:25], s[4:5], 0x0
	s_waitcnt lgkmcnt(0)
	v_cmp_eq_f64_e64 s[4:5], s[24:25], 0
	s_and_b64 vcc, exec, s[4:5]
	s_cbranch_vccnz .LBB164_15
; %bb.1:
	s_load_dwordx4 s[20:23], s[0:1], 0x0
	s_load_dwordx4 s[4:7], s[0:1], 0x50
	s_mov_b32 s29, 0
	s_lshl_b64 s[30:31], s[28:29], 3
	s_add_u32 s14, s14, s30
	s_addc_u32 s15, s15, s31
	s_waitcnt lgkmcnt(0)
	s_add_u32 s4, s4, s30
	s_addc_u32 s5, s5, s31
	s_load_dwordx2 s[26:27], s[14:15], 0x0
	v_bfe_u32 v2, v0, 10, 10
	s_load_dwordx2 s[14:15], s[4:5], 0x0
	v_and_b32_e32 v4, 0x3ff, v0
	v_lshlrev_b32_e32 v0, 5, v2
	s_mov_b32 s28, s29
	v_add_lshl_u32 v3, v0, v4, 3
	v_mov_b64_e32 v[0:1], s[28:29]
	v_cmp_gt_i32_e32 vcc, s23, v2
	v_cmp_gt_i32_e64 s[4:5], s23, v4
	ds_write2st64_b64 v3, v[0:1], v[0:1] offset1:16
	s_and_b64 s[28:29], vcc, s[4:5]
	v_lshlrev_b32_e32 v0, 3, v4
	s_and_saveexec_b64 s[4:5], s[28:29]
	s_cbranch_execz .LBB164_3
; %bb.2:
	s_add_u32 s8, s8, s30
	s_addc_u32 s9, s9, s31
	s_load_dwordx2 s[8:9], s[8:9], 0x0
	v_mad_u64_u32 v[6:7], s[28:29], s10, v2, 0
	s_lshl_b64 s[12:13], s[12:13], 3
	v_mov_b32_e32 v8, v7
	s_waitcnt lgkmcnt(0)
	s_add_u32 s8, s8, s12
	v_mad_u64_u32 v[8:9], s[10:11], s11, v2, v[8:9]
	s_addc_u32 s9, s9, s13
	v_mov_b32_e32 v7, v8
	v_lshl_add_u64 v[6:7], v[6:7], 3, s[8:9]
	v_mov_b32_e32 v1, 0
	v_lshl_add_u64 v[6:7], v[6:7], 0, v[0:1]
	flat_load_dwordx2 v[6:7], v[6:7]
	s_waitcnt vmcnt(0) lgkmcnt(0)
	ds_write_b64 v3, v[6:7]
.LBB164_3:
	s_or_b64 exec, exec, s[4:5]
	s_add_i32 s3, s22, -1
	s_ashr_i32 s4, s3, 31
	s_lshr_b32 s4, s4, 27
	s_add_i32 s3, s3, s4
	s_ashr_i32 s4, s3, 5
	s_andn2_b32 s3, s3, 31
	s_sub_i32 s3, s22, s3
	s_cmp_ge_i32 s2, s4
	s_cselect_b32 s3, s3, 32
	s_lshl_b32 s4, s2, 5
	v_cmp_gt_i32_e64 s[2:3], s3, v4
	s_ashr_i32 s5, s4, 31
	s_and_b64 s[2:3], vcc, s[2:3]
	s_and_saveexec_b64 s[8:9], s[2:3]
	s_cbranch_execz .LBB164_5
; %bb.4:
	s_lshl_b64 s[10:11], s[18:19], 3
	s_waitcnt lgkmcnt(0)
	s_add_u32 s12, s26, s10
	s_addc_u32 s13, s27, s11
	s_lshl_b64 s[10:11], s[4:5], 3
	s_add_u32 s10, s12, s10
	s_addc_u32 s11, s13, s11
	v_mad_u64_u32 v[6:7], s[12:13], s16, v2, 0
	v_mov_b32_e32 v8, v7
	v_mad_u64_u32 v[8:9], s[12:13], s17, v2, v[8:9]
	v_mov_b32_e32 v7, v8
	v_lshl_add_u64 v[6:7], v[6:7], 3, s[10:11]
	v_mov_b32_e32 v1, 0
	v_lshl_add_u64 v[6:7], v[6:7], 0, v[0:1]
	flat_load_dwordx2 v[6:7], v[6:7]
	v_add_u32_e32 v1, 0x2000, v3
	s_waitcnt vmcnt(0) lgkmcnt(0)
	ds_write_b64 v1, v[6:7]
.LBB164_5:
	s_or_b64 exec, exec, s[8:9]
	s_cmpk_eq_i32 s21, 0x84
	s_cselect_b64 s[8:9], -1, 0
	v_cmp_eq_u32_e32 vcc, v2, v4
	s_and_b64 s[10:11], vcc, s[8:9]
	s_and_saveexec_b64 s[8:9], s[10:11]
; %bb.6:
	v_mov_b32_e32 v6, 0
	v_mov_b32_e32 v7, 0x3ff00000
	ds_write_b64 v3, v[6:7]
; %bb.7:
	s_or_b64 exec, exec, s[8:9]
	s_cmpk_lg_i32 s20, 0x79
	s_cbranch_scc0 .LBB164_9
; %bb.8:
	v_cmp_lt_u32_e32 vcc, v4, v2
	s_and_b64 s[8:9], vcc, exec
	s_cbranch_execz .LBB164_10
	s_branch .LBB164_11
.LBB164_9:
	s_mov_b64 s[8:9], 0
.LBB164_10:
	v_cmp_gt_u32_e32 vcc, v4, v2
	s_andn2_b64 s[8:9], s[8:9], exec
	s_and_b64 s[10:11], vcc, exec
	s_or_b64 s[8:9], s[8:9], s[10:11]
.LBB164_11:
	s_and_saveexec_b64 s[10:11], s[8:9]
; %bb.12:
	v_mov_b32_e32 v4, 0
	v_mov_b32_e32 v5, v4
	ds_write_b64 v3, v[4:5]
; %bb.13:
	s_or_b64 exec, exec, s[10:11]
	s_waitcnt lgkmcnt(0)
	s_barrier
	s_and_saveexec_b64 s[8:9], s[2:3]
	s_cbranch_execz .LBB164_15
; %bb.14:
	v_add_u32_e32 v1, 0x2000, v0
	v_lshlrev_b32_e32 v3, 3, v2
	ds_read2_b64 v[4:7], v1 offset1:32
	ds_read2_b64 v[8:11], v3 offset1:32
	v_add_u32_e32 v30, 0x800, v3
	s_load_dwordx2 s[0:1], s[0:1], 0x60
	s_waitcnt lgkmcnt(0)
	v_fma_f64 v[28:29], v[4:5], v[8:9], 0
	v_fmac_f64_e32 v[28:29], v[6:7], v[10:11]
	ds_read2_b64 v[4:7], v1 offset0:64 offset1:96
	ds_read2_b64 v[8:11], v3 offset0:64 offset1:96
	;; [unrolled: 1-line block ×6, first 2 shown]
	s_waitcnt lgkmcnt(4)
	v_fmac_f64_e32 v[28:29], v[4:5], v[8:9]
	v_add_u32_e32 v1, 0x2800, v0
	v_fmac_f64_e32 v[28:29], v[6:7], v[10:11]
	ds_read2_b64 v[4:7], v1 offset1:32
	s_waitcnt lgkmcnt(3)
	v_fmac_f64_e32 v[28:29], v[12:13], v[16:17]
	v_fmac_f64_e32 v[28:29], v[14:15], v[18:19]
	s_waitcnt lgkmcnt(1)
	v_fmac_f64_e32 v[28:29], v[20:21], v[24:25]
	v_fmac_f64_e32 v[28:29], v[22:23], v[26:27]
	ds_read2_b64 v[8:11], v30 offset1:32
	ds_read2_b64 v[12:15], v1 offset0:64 offset1:96
	ds_read2_b64 v[16:19], v30 offset0:64 offset1:96
	;; [unrolled: 1-line block ×4, first 2 shown]
	s_waitcnt lgkmcnt(4)
	v_fmac_f64_e32 v[28:29], v[4:5], v[8:9]
	v_fmac_f64_e32 v[28:29], v[6:7], v[10:11]
	ds_read2_b64 v[4:7], v1 offset0:192 offset1:224
	ds_read2_b64 v[8:11], v30 offset0:192 offset1:224
	s_waitcnt lgkmcnt(4)
	v_fmac_f64_e32 v[28:29], v[12:13], v[16:17]
	v_add_u32_e32 v1, 0x3000, v0
	v_fmac_f64_e32 v[28:29], v[14:15], v[18:19]
	ds_read2_b64 v[12:15], v1 offset1:32
	s_waitcnt lgkmcnt(3)
	v_fmac_f64_e32 v[28:29], v[20:21], v[24:25]
	v_add_u32_e32 v30, 0x1000, v3
	v_fmac_f64_e32 v[28:29], v[22:23], v[26:27]
	ds_read2_b64 v[16:19], v30 offset1:32
	ds_read2_b64 v[20:23], v1 offset0:64 offset1:96
	ds_read2_b64 v[24:27], v30 offset0:64 offset1:96
	s_waitcnt lgkmcnt(4)
	v_fmac_f64_e32 v[28:29], v[4:5], v[8:9]
	v_fmac_f64_e32 v[28:29], v[6:7], v[10:11]
	s_waitcnt lgkmcnt(2)
	v_fmac_f64_e32 v[28:29], v[12:13], v[16:17]
	v_fmac_f64_e32 v[28:29], v[14:15], v[18:19]
	ds_read2_b64 v[4:7], v1 offset0:128 offset1:160
	ds_read2_b64 v[8:11], v30 offset0:128 offset1:160
	;; [unrolled: 1-line block ×4, first 2 shown]
	s_waitcnt lgkmcnt(4)
	v_fmac_f64_e32 v[28:29], v[20:21], v[24:25]
	v_add_u32_e32 v1, 0x3800, v0
	v_add_u32_e32 v3, 0x1800, v3
	v_fmac_f64_e32 v[28:29], v[22:23], v[26:27]
	ds_read2_b64 v[20:23], v1 offset1:32
	ds_read2_b64 v[24:27], v3 offset1:32
	s_waitcnt lgkmcnt(4)
	v_fmac_f64_e32 v[28:29], v[4:5], v[8:9]
	v_fmac_f64_e32 v[28:29], v[6:7], v[10:11]
	s_waitcnt lgkmcnt(2)
	v_fmac_f64_e32 v[28:29], v[12:13], v[16:17]
	s_lshl_b64 s[0:1], s[0:1], 3
	v_fmac_f64_e32 v[28:29], v[14:15], v[18:19]
	s_add_u32 s2, s14, s0
	s_waitcnt lgkmcnt(0)
	v_fmac_f64_e32 v[28:29], v[20:21], v[24:25]
	s_addc_u32 s3, s15, s1
	s_lshl_b64 s[0:1], s[4:5], 3
	v_fmac_f64_e32 v[28:29], v[22:23], v[26:27]
	ds_read2_b64 v[4:7], v1 offset0:64 offset1:96
	ds_read2_b64 v[8:11], v3 offset0:64 offset1:96
	;; [unrolled: 1-line block ×6, first 2 shown]
	s_add_u32 s0, s2, s0
	s_waitcnt lgkmcnt(4)
	v_fmac_f64_e32 v[28:29], v[4:5], v[8:9]
	s_addc_u32 s1, s3, s1
	v_fmac_f64_e32 v[28:29], v[6:7], v[10:11]
	v_mad_u64_u32 v[6:7], s[2:3], s6, v2, 0
	s_waitcnt lgkmcnt(2)
	v_fmac_f64_e32 v[28:29], v[12:13], v[16:17]
	v_mov_b32_e32 v8, v7
	v_fmac_f64_e32 v[28:29], v[14:15], v[18:19]
	v_mad_u64_u32 v[2:3], s[2:3], s7, v2, v[8:9]
	s_waitcnt lgkmcnt(0)
	v_fmac_f64_e32 v[28:29], v[20:21], v[24:25]
	v_mov_b32_e32 v7, v2
	v_fmac_f64_e32 v[28:29], v[22:23], v[26:27]
	v_lshl_add_u64 v[2:3], v[6:7], 3, s[0:1]
	v_mov_b32_e32 v1, 0
	v_mul_f64 v[4:5], s[24:25], v[28:29]
	v_lshl_add_u64 v[0:1], v[2:3], 0, v[0:1]
	flat_store_dwordx2 v[0:1], v[4:5]
.LBB164_15:
	s_endpgm
	.section	.rodata,"a",@progbits
	.p2align	6, 0x0
	.amdhsa_kernel _ZL23rocblas_trmm_rTx_kernelILi32ELb0EdPKdKS1_KPdEv13rocblas_fill_17rocblas_diagonal_iiT2_lPT3_llS9_llPT4_lli
		.amdhsa_group_segment_fixed_size 16384
		.amdhsa_private_segment_fixed_size 0
		.amdhsa_kernarg_size 108
		.amdhsa_user_sgpr_count 2
		.amdhsa_user_sgpr_dispatch_ptr 0
		.amdhsa_user_sgpr_queue_ptr 0
		.amdhsa_user_sgpr_kernarg_segment_ptr 1
		.amdhsa_user_sgpr_dispatch_id 0
		.amdhsa_user_sgpr_kernarg_preload_length 0
		.amdhsa_user_sgpr_kernarg_preload_offset 0
		.amdhsa_user_sgpr_private_segment_size 0
		.amdhsa_uses_dynamic_stack 0
		.amdhsa_enable_private_segment 0
		.amdhsa_system_sgpr_workgroup_id_x 1
		.amdhsa_system_sgpr_workgroup_id_y 0
		.amdhsa_system_sgpr_workgroup_id_z 1
		.amdhsa_system_sgpr_workgroup_info 0
		.amdhsa_system_vgpr_workitem_id 1
		.amdhsa_next_free_vgpr 31
		.amdhsa_next_free_sgpr 32
		.amdhsa_accum_offset 32
		.amdhsa_reserve_vcc 1
		.amdhsa_float_round_mode_32 0
		.amdhsa_float_round_mode_16_64 0
		.amdhsa_float_denorm_mode_32 3
		.amdhsa_float_denorm_mode_16_64 3
		.amdhsa_dx10_clamp 1
		.amdhsa_ieee_mode 1
		.amdhsa_fp16_overflow 0
		.amdhsa_tg_split 0
		.amdhsa_exception_fp_ieee_invalid_op 0
		.amdhsa_exception_fp_denorm_src 0
		.amdhsa_exception_fp_ieee_div_zero 0
		.amdhsa_exception_fp_ieee_overflow 0
		.amdhsa_exception_fp_ieee_underflow 0
		.amdhsa_exception_fp_ieee_inexact 0
		.amdhsa_exception_int_div_zero 0
	.end_amdhsa_kernel
	.section	.text._ZL23rocblas_trmm_rTx_kernelILi32ELb0EdPKdKS1_KPdEv13rocblas_fill_17rocblas_diagonal_iiT2_lPT3_llS9_llPT4_lli,"axG",@progbits,_ZL23rocblas_trmm_rTx_kernelILi32ELb0EdPKdKS1_KPdEv13rocblas_fill_17rocblas_diagonal_iiT2_lPT3_llS9_llPT4_lli,comdat
.Lfunc_end164:
	.size	_ZL23rocblas_trmm_rTx_kernelILi32ELb0EdPKdKS1_KPdEv13rocblas_fill_17rocblas_diagonal_iiT2_lPT3_llS9_llPT4_lli, .Lfunc_end164-_ZL23rocblas_trmm_rTx_kernelILi32ELb0EdPKdKS1_KPdEv13rocblas_fill_17rocblas_diagonal_iiT2_lPT3_llS9_llPT4_lli
                                        ; -- End function
	.set _ZL23rocblas_trmm_rTx_kernelILi32ELb0EdPKdKS1_KPdEv13rocblas_fill_17rocblas_diagonal_iiT2_lPT3_llS9_llPT4_lli.num_vgpr, 31
	.set _ZL23rocblas_trmm_rTx_kernelILi32ELb0EdPKdKS1_KPdEv13rocblas_fill_17rocblas_diagonal_iiT2_lPT3_llS9_llPT4_lli.num_agpr, 0
	.set _ZL23rocblas_trmm_rTx_kernelILi32ELb0EdPKdKS1_KPdEv13rocblas_fill_17rocblas_diagonal_iiT2_lPT3_llS9_llPT4_lli.numbered_sgpr, 32
	.set _ZL23rocblas_trmm_rTx_kernelILi32ELb0EdPKdKS1_KPdEv13rocblas_fill_17rocblas_diagonal_iiT2_lPT3_llS9_llPT4_lli.num_named_barrier, 0
	.set _ZL23rocblas_trmm_rTx_kernelILi32ELb0EdPKdKS1_KPdEv13rocblas_fill_17rocblas_diagonal_iiT2_lPT3_llS9_llPT4_lli.private_seg_size, 0
	.set _ZL23rocblas_trmm_rTx_kernelILi32ELb0EdPKdKS1_KPdEv13rocblas_fill_17rocblas_diagonal_iiT2_lPT3_llS9_llPT4_lli.uses_vcc, 1
	.set _ZL23rocblas_trmm_rTx_kernelILi32ELb0EdPKdKS1_KPdEv13rocblas_fill_17rocblas_diagonal_iiT2_lPT3_llS9_llPT4_lli.uses_flat_scratch, 0
	.set _ZL23rocblas_trmm_rTx_kernelILi32ELb0EdPKdKS1_KPdEv13rocblas_fill_17rocblas_diagonal_iiT2_lPT3_llS9_llPT4_lli.has_dyn_sized_stack, 0
	.set _ZL23rocblas_trmm_rTx_kernelILi32ELb0EdPKdKS1_KPdEv13rocblas_fill_17rocblas_diagonal_iiT2_lPT3_llS9_llPT4_lli.has_recursion, 0
	.set _ZL23rocblas_trmm_rTx_kernelILi32ELb0EdPKdKS1_KPdEv13rocblas_fill_17rocblas_diagonal_iiT2_lPT3_llS9_llPT4_lli.has_indirect_call, 0
	.section	.AMDGPU.csdata,"",@progbits
; Kernel info:
; codeLenInByte = 1208
; TotalNumSgprs: 38
; NumVgprs: 31
; NumAgprs: 0
; TotalNumVgprs: 31
; ScratchSize: 0
; MemoryBound: 1
; FloatMode: 240
; IeeeMode: 1
; LDSByteSize: 16384 bytes/workgroup (compile time only)
; SGPRBlocks: 4
; VGPRBlocks: 3
; NumSGPRsForWavesPerEU: 38
; NumVGPRsForWavesPerEU: 31
; AccumOffset: 32
; Occupancy: 8
; WaveLimiterHint : 1
; COMPUTE_PGM_RSRC2:SCRATCH_EN: 0
; COMPUTE_PGM_RSRC2:USER_SGPR: 2
; COMPUTE_PGM_RSRC2:TRAP_HANDLER: 0
; COMPUTE_PGM_RSRC2:TGID_X_EN: 1
; COMPUTE_PGM_RSRC2:TGID_Y_EN: 0
; COMPUTE_PGM_RSRC2:TGID_Z_EN: 1
; COMPUTE_PGM_RSRC2:TIDIG_COMP_CNT: 1
; COMPUTE_PGM_RSRC3_GFX90A:ACCUM_OFFSET: 7
; COMPUTE_PGM_RSRC3_GFX90A:TG_SPLIT: 0
	.section	.text._ZL23rocblas_trmm_rTx_kernelILi32ELb0EddKPKdKPdEv13rocblas_fill_17rocblas_diagonal_iiT2_lPT3_llS9_llPT4_lli,"axG",@progbits,_ZL23rocblas_trmm_rTx_kernelILi32ELb0EddKPKdKPdEv13rocblas_fill_17rocblas_diagonal_iiT2_lPT3_llS9_llPT4_lli,comdat
	.globl	_ZL23rocblas_trmm_rTx_kernelILi32ELb0EddKPKdKPdEv13rocblas_fill_17rocblas_diagonal_iiT2_lPT3_llS9_llPT4_lli ; -- Begin function _ZL23rocblas_trmm_rTx_kernelILi32ELb0EddKPKdKPdEv13rocblas_fill_17rocblas_diagonal_iiT2_lPT3_llS9_llPT4_lli
	.p2align	8
	.type	_ZL23rocblas_trmm_rTx_kernelILi32ELb0EddKPKdKPdEv13rocblas_fill_17rocblas_diagonal_iiT2_lPT3_llS9_llPT4_lli,@function
_ZL23rocblas_trmm_rTx_kernelILi32ELb0EddKPKdKPdEv13rocblas_fill_17rocblas_diagonal_iiT2_lPT3_llS9_llPT4_lli: ; @_ZL23rocblas_trmm_rTx_kernelILi32ELb0EddKPKdKPdEv13rocblas_fill_17rocblas_diagonal_iiT2_lPT3_llS9_llPT4_lli
; %bb.0:
	s_load_dwordx2 s[6:7], s[0:1], 0x10
	s_waitcnt lgkmcnt(0)
	v_cmp_eq_f64_e64 s[8:9], s[6:7], 0
	s_and_b64 vcc, exec, s[8:9]
	s_cbranch_vccnz .LBB165_15
; %bb.1:
	s_load_dwordx4 s[24:27], s[0:1], 0x0
	s_load_dwordx16 s[8:23], s[0:1], 0x20
	s_mov_b32 s4, s3
	s_mov_b32 s5, 0
	s_lshl_b64 s[30:31], s[4:5], 3
	v_bfe_u32 v2, v0, 10, 10
	s_waitcnt lgkmcnt(0)
	s_add_u32 s14, s14, s30
	s_addc_u32 s15, s15, s31
	s_load_dwordx2 s[28:29], s[14:15], 0x0
	s_add_u32 s14, s20, s30
	s_addc_u32 s15, s21, s31
	s_load_dwordx2 s[14:15], s[14:15], 0x0
	v_and_b32_e32 v4, 0x3ff, v0
	v_lshlrev_b32_e32 v0, 5, v2
	s_mov_b32 s4, s5
	v_add_lshl_u32 v3, v0, v4, 3
	v_mov_b64_e32 v[0:1], s[4:5]
	v_cmp_gt_i32_e32 vcc, s27, v2
	v_cmp_gt_i32_e64 s[4:5], s27, v4
	ds_write2st64_b64 v3, v[0:1], v[0:1] offset1:16
	s_and_b64 s[20:21], vcc, s[4:5]
	v_lshlrev_b32_e32 v0, 3, v4
	s_and_saveexec_b64 s[4:5], s[20:21]
	s_cbranch_execz .LBB165_3
; %bb.2:
	s_add_u32 s8, s8, s30
	s_addc_u32 s9, s9, s31
	s_load_dwordx2 s[8:9], s[8:9], 0x0
	v_mad_u64_u32 v[6:7], s[20:21], s10, v2, 0
	s_lshl_b64 s[12:13], s[12:13], 3
	v_mov_b32_e32 v8, v7
	s_waitcnt lgkmcnt(0)
	s_add_u32 s8, s8, s12
	v_mad_u64_u32 v[8:9], s[10:11], s11, v2, v[8:9]
	s_addc_u32 s9, s9, s13
	v_mov_b32_e32 v7, v8
	v_lshl_add_u64 v[6:7], v[6:7], 3, s[8:9]
	v_mov_b32_e32 v1, 0
	v_lshl_add_u64 v[6:7], v[6:7], 0, v[0:1]
	flat_load_dwordx2 v[6:7], v[6:7]
	s_waitcnt vmcnt(0) lgkmcnt(0)
	ds_write_b64 v3, v[6:7]
.LBB165_3:
	s_or_b64 exec, exec, s[4:5]
	s_add_i32 s3, s26, -1
	s_ashr_i32 s4, s3, 31
	s_lshr_b32 s4, s4, 27
	s_add_i32 s3, s3, s4
	s_ashr_i32 s4, s3, 5
	s_andn2_b32 s3, s3, 31
	s_sub_i32 s3, s26, s3
	s_cmp_ge_i32 s2, s4
	s_cselect_b32 s3, s3, 32
	s_lshl_b32 s4, s2, 5
	v_cmp_gt_i32_e64 s[2:3], s3, v4
	s_ashr_i32 s5, s4, 31
	s_and_b64 s[2:3], vcc, s[2:3]
	s_and_saveexec_b64 s[8:9], s[2:3]
	s_cbranch_execz .LBB165_5
; %bb.4:
	s_lshl_b64 s[10:11], s[18:19], 3
	s_waitcnt lgkmcnt(0)
	s_add_u32 s12, s28, s10
	s_addc_u32 s13, s29, s11
	s_lshl_b64 s[10:11], s[4:5], 3
	s_add_u32 s10, s12, s10
	s_addc_u32 s11, s13, s11
	v_mad_u64_u32 v[6:7], s[12:13], s16, v2, 0
	v_mov_b32_e32 v8, v7
	v_mad_u64_u32 v[8:9], s[12:13], s17, v2, v[8:9]
	v_mov_b32_e32 v7, v8
	v_lshl_add_u64 v[6:7], v[6:7], 3, s[10:11]
	v_mov_b32_e32 v1, 0
	v_lshl_add_u64 v[6:7], v[6:7], 0, v[0:1]
	flat_load_dwordx2 v[6:7], v[6:7]
	v_add_u32_e32 v1, 0x2000, v3
	s_waitcnt vmcnt(0) lgkmcnt(0)
	ds_write_b64 v1, v[6:7]
.LBB165_5:
	s_or_b64 exec, exec, s[8:9]
	s_cmpk_eq_i32 s25, 0x84
	s_cselect_b64 s[8:9], -1, 0
	v_cmp_eq_u32_e32 vcc, v2, v4
	s_and_b64 s[10:11], vcc, s[8:9]
	s_and_saveexec_b64 s[8:9], s[10:11]
; %bb.6:
	v_mov_b32_e32 v6, 0
	v_mov_b32_e32 v7, 0x3ff00000
	ds_write_b64 v3, v[6:7]
; %bb.7:
	s_or_b64 exec, exec, s[8:9]
	s_cmpk_lg_i32 s24, 0x79
	s_cbranch_scc0 .LBB165_9
; %bb.8:
	v_cmp_lt_u32_e32 vcc, v4, v2
	s_and_b64 s[8:9], vcc, exec
	s_cbranch_execz .LBB165_10
	s_branch .LBB165_11
.LBB165_9:
	s_mov_b64 s[8:9], 0
.LBB165_10:
	v_cmp_gt_u32_e32 vcc, v4, v2
	s_andn2_b64 s[8:9], s[8:9], exec
	s_and_b64 s[10:11], vcc, exec
	s_or_b64 s[8:9], s[8:9], s[10:11]
.LBB165_11:
	s_and_saveexec_b64 s[10:11], s[8:9]
; %bb.12:
	v_mov_b32_e32 v4, 0
	v_mov_b32_e32 v5, v4
	ds_write_b64 v3, v[4:5]
; %bb.13:
	s_or_b64 exec, exec, s[10:11]
	s_waitcnt lgkmcnt(0)
	s_barrier
	s_and_saveexec_b64 s[8:9], s[2:3]
	s_cbranch_execz .LBB165_15
; %bb.14:
	v_add_u32_e32 v1, 0x2000, v0
	v_lshlrev_b32_e32 v3, 3, v2
	ds_read2_b64 v[4:7], v1 offset1:32
	ds_read2_b64 v[8:11], v3 offset1:32
	v_add_u32_e32 v30, 0x800, v3
	s_load_dwordx2 s[0:1], s[0:1], 0x60
	s_waitcnt lgkmcnt(0)
	v_fma_f64 v[28:29], v[4:5], v[8:9], 0
	v_fmac_f64_e32 v[28:29], v[6:7], v[10:11]
	ds_read2_b64 v[4:7], v1 offset0:64 offset1:96
	ds_read2_b64 v[8:11], v3 offset0:64 offset1:96
	;; [unrolled: 1-line block ×6, first 2 shown]
	s_waitcnt lgkmcnt(4)
	v_fmac_f64_e32 v[28:29], v[4:5], v[8:9]
	v_add_u32_e32 v1, 0x2800, v0
	v_fmac_f64_e32 v[28:29], v[6:7], v[10:11]
	ds_read2_b64 v[4:7], v1 offset1:32
	s_waitcnt lgkmcnt(3)
	v_fmac_f64_e32 v[28:29], v[12:13], v[16:17]
	v_fmac_f64_e32 v[28:29], v[14:15], v[18:19]
	s_waitcnt lgkmcnt(1)
	v_fmac_f64_e32 v[28:29], v[20:21], v[24:25]
	v_fmac_f64_e32 v[28:29], v[22:23], v[26:27]
	ds_read2_b64 v[8:11], v30 offset1:32
	ds_read2_b64 v[12:15], v1 offset0:64 offset1:96
	ds_read2_b64 v[16:19], v30 offset0:64 offset1:96
	;; [unrolled: 1-line block ×4, first 2 shown]
	s_waitcnt lgkmcnt(4)
	v_fmac_f64_e32 v[28:29], v[4:5], v[8:9]
	v_fmac_f64_e32 v[28:29], v[6:7], v[10:11]
	ds_read2_b64 v[4:7], v1 offset0:192 offset1:224
	ds_read2_b64 v[8:11], v30 offset0:192 offset1:224
	s_waitcnt lgkmcnt(4)
	v_fmac_f64_e32 v[28:29], v[12:13], v[16:17]
	v_add_u32_e32 v1, 0x3000, v0
	v_fmac_f64_e32 v[28:29], v[14:15], v[18:19]
	ds_read2_b64 v[12:15], v1 offset1:32
	s_waitcnt lgkmcnt(3)
	v_fmac_f64_e32 v[28:29], v[20:21], v[24:25]
	v_add_u32_e32 v30, 0x1000, v3
	v_fmac_f64_e32 v[28:29], v[22:23], v[26:27]
	ds_read2_b64 v[16:19], v30 offset1:32
	ds_read2_b64 v[20:23], v1 offset0:64 offset1:96
	ds_read2_b64 v[24:27], v30 offset0:64 offset1:96
	s_waitcnt lgkmcnt(4)
	v_fmac_f64_e32 v[28:29], v[4:5], v[8:9]
	v_fmac_f64_e32 v[28:29], v[6:7], v[10:11]
	s_waitcnt lgkmcnt(2)
	v_fmac_f64_e32 v[28:29], v[12:13], v[16:17]
	v_fmac_f64_e32 v[28:29], v[14:15], v[18:19]
	ds_read2_b64 v[4:7], v1 offset0:128 offset1:160
	ds_read2_b64 v[8:11], v30 offset0:128 offset1:160
	;; [unrolled: 1-line block ×4, first 2 shown]
	s_waitcnt lgkmcnt(4)
	v_fmac_f64_e32 v[28:29], v[20:21], v[24:25]
	v_add_u32_e32 v1, 0x3800, v0
	v_add_u32_e32 v3, 0x1800, v3
	v_fmac_f64_e32 v[28:29], v[22:23], v[26:27]
	ds_read2_b64 v[20:23], v1 offset1:32
	ds_read2_b64 v[24:27], v3 offset1:32
	s_waitcnt lgkmcnt(4)
	v_fmac_f64_e32 v[28:29], v[4:5], v[8:9]
	v_fmac_f64_e32 v[28:29], v[6:7], v[10:11]
	s_waitcnt lgkmcnt(2)
	v_fmac_f64_e32 v[28:29], v[12:13], v[16:17]
	s_lshl_b64 s[0:1], s[0:1], 3
	v_fmac_f64_e32 v[28:29], v[14:15], v[18:19]
	s_add_u32 s2, s14, s0
	s_waitcnt lgkmcnt(0)
	v_fmac_f64_e32 v[28:29], v[20:21], v[24:25]
	s_addc_u32 s3, s15, s1
	s_lshl_b64 s[0:1], s[4:5], 3
	v_fmac_f64_e32 v[28:29], v[22:23], v[26:27]
	ds_read2_b64 v[4:7], v1 offset0:64 offset1:96
	ds_read2_b64 v[8:11], v3 offset0:64 offset1:96
	;; [unrolled: 1-line block ×6, first 2 shown]
	s_add_u32 s0, s2, s0
	s_waitcnt lgkmcnt(4)
	v_fmac_f64_e32 v[28:29], v[4:5], v[8:9]
	s_addc_u32 s1, s3, s1
	v_fmac_f64_e32 v[28:29], v[6:7], v[10:11]
	v_mad_u64_u32 v[6:7], s[2:3], s22, v2, 0
	s_waitcnt lgkmcnt(2)
	v_fmac_f64_e32 v[28:29], v[12:13], v[16:17]
	v_mov_b32_e32 v8, v7
	v_fmac_f64_e32 v[28:29], v[14:15], v[18:19]
	v_mad_u64_u32 v[2:3], s[2:3], s23, v2, v[8:9]
	s_waitcnt lgkmcnt(0)
	v_fmac_f64_e32 v[28:29], v[20:21], v[24:25]
	v_mov_b32_e32 v7, v2
	v_fmac_f64_e32 v[28:29], v[22:23], v[26:27]
	v_lshl_add_u64 v[2:3], v[6:7], 3, s[0:1]
	v_mov_b32_e32 v1, 0
	v_mul_f64 v[4:5], s[6:7], v[28:29]
	v_lshl_add_u64 v[0:1], v[2:3], 0, v[0:1]
	flat_store_dwordx2 v[0:1], v[4:5]
.LBB165_15:
	s_endpgm
	.section	.rodata,"a",@progbits
	.p2align	6, 0x0
	.amdhsa_kernel _ZL23rocblas_trmm_rTx_kernelILi32ELb0EddKPKdKPdEv13rocblas_fill_17rocblas_diagonal_iiT2_lPT3_llS9_llPT4_lli
		.amdhsa_group_segment_fixed_size 16384
		.amdhsa_private_segment_fixed_size 0
		.amdhsa_kernarg_size 108
		.amdhsa_user_sgpr_count 2
		.amdhsa_user_sgpr_dispatch_ptr 0
		.amdhsa_user_sgpr_queue_ptr 0
		.amdhsa_user_sgpr_kernarg_segment_ptr 1
		.amdhsa_user_sgpr_dispatch_id 0
		.amdhsa_user_sgpr_kernarg_preload_length 0
		.amdhsa_user_sgpr_kernarg_preload_offset 0
		.amdhsa_user_sgpr_private_segment_size 0
		.amdhsa_uses_dynamic_stack 0
		.amdhsa_enable_private_segment 0
		.amdhsa_system_sgpr_workgroup_id_x 1
		.amdhsa_system_sgpr_workgroup_id_y 0
		.amdhsa_system_sgpr_workgroup_id_z 1
		.amdhsa_system_sgpr_workgroup_info 0
		.amdhsa_system_vgpr_workitem_id 1
		.amdhsa_next_free_vgpr 31
		.amdhsa_next_free_sgpr 32
		.amdhsa_accum_offset 32
		.amdhsa_reserve_vcc 1
		.amdhsa_float_round_mode_32 0
		.amdhsa_float_round_mode_16_64 0
		.amdhsa_float_denorm_mode_32 3
		.amdhsa_float_denorm_mode_16_64 3
		.amdhsa_dx10_clamp 1
		.amdhsa_ieee_mode 1
		.amdhsa_fp16_overflow 0
		.amdhsa_tg_split 0
		.amdhsa_exception_fp_ieee_invalid_op 0
		.amdhsa_exception_fp_denorm_src 0
		.amdhsa_exception_fp_ieee_div_zero 0
		.amdhsa_exception_fp_ieee_overflow 0
		.amdhsa_exception_fp_ieee_underflow 0
		.amdhsa_exception_fp_ieee_inexact 0
		.amdhsa_exception_int_div_zero 0
	.end_amdhsa_kernel
	.section	.text._ZL23rocblas_trmm_rTx_kernelILi32ELb0EddKPKdKPdEv13rocblas_fill_17rocblas_diagonal_iiT2_lPT3_llS9_llPT4_lli,"axG",@progbits,_ZL23rocblas_trmm_rTx_kernelILi32ELb0EddKPKdKPdEv13rocblas_fill_17rocblas_diagonal_iiT2_lPT3_llS9_llPT4_lli,comdat
.Lfunc_end165:
	.size	_ZL23rocblas_trmm_rTx_kernelILi32ELb0EddKPKdKPdEv13rocblas_fill_17rocblas_diagonal_iiT2_lPT3_llS9_llPT4_lli, .Lfunc_end165-_ZL23rocblas_trmm_rTx_kernelILi32ELb0EddKPKdKPdEv13rocblas_fill_17rocblas_diagonal_iiT2_lPT3_llS9_llPT4_lli
                                        ; -- End function
	.set _ZL23rocblas_trmm_rTx_kernelILi32ELb0EddKPKdKPdEv13rocblas_fill_17rocblas_diagonal_iiT2_lPT3_llS9_llPT4_lli.num_vgpr, 31
	.set _ZL23rocblas_trmm_rTx_kernelILi32ELb0EddKPKdKPdEv13rocblas_fill_17rocblas_diagonal_iiT2_lPT3_llS9_llPT4_lli.num_agpr, 0
	.set _ZL23rocblas_trmm_rTx_kernelILi32ELb0EddKPKdKPdEv13rocblas_fill_17rocblas_diagonal_iiT2_lPT3_llS9_llPT4_lli.numbered_sgpr, 32
	.set _ZL23rocblas_trmm_rTx_kernelILi32ELb0EddKPKdKPdEv13rocblas_fill_17rocblas_diagonal_iiT2_lPT3_llS9_llPT4_lli.num_named_barrier, 0
	.set _ZL23rocblas_trmm_rTx_kernelILi32ELb0EddKPKdKPdEv13rocblas_fill_17rocblas_diagonal_iiT2_lPT3_llS9_llPT4_lli.private_seg_size, 0
	.set _ZL23rocblas_trmm_rTx_kernelILi32ELb0EddKPKdKPdEv13rocblas_fill_17rocblas_diagonal_iiT2_lPT3_llS9_llPT4_lli.uses_vcc, 1
	.set _ZL23rocblas_trmm_rTx_kernelILi32ELb0EddKPKdKPdEv13rocblas_fill_17rocblas_diagonal_iiT2_lPT3_llS9_llPT4_lli.uses_flat_scratch, 0
	.set _ZL23rocblas_trmm_rTx_kernelILi32ELb0EddKPKdKPdEv13rocblas_fill_17rocblas_diagonal_iiT2_lPT3_llS9_llPT4_lli.has_dyn_sized_stack, 0
	.set _ZL23rocblas_trmm_rTx_kernelILi32ELb0EddKPKdKPdEv13rocblas_fill_17rocblas_diagonal_iiT2_lPT3_llS9_llPT4_lli.has_recursion, 0
	.set _ZL23rocblas_trmm_rTx_kernelILi32ELb0EddKPKdKPdEv13rocblas_fill_17rocblas_diagonal_iiT2_lPT3_llS9_llPT4_lli.has_indirect_call, 0
	.section	.AMDGPU.csdata,"",@progbits
; Kernel info:
; codeLenInByte = 1168
; TotalNumSgprs: 38
; NumVgprs: 31
; NumAgprs: 0
; TotalNumVgprs: 31
; ScratchSize: 0
; MemoryBound: 1
; FloatMode: 240
; IeeeMode: 1
; LDSByteSize: 16384 bytes/workgroup (compile time only)
; SGPRBlocks: 4
; VGPRBlocks: 3
; NumSGPRsForWavesPerEU: 38
; NumVGPRsForWavesPerEU: 31
; AccumOffset: 32
; Occupancy: 8
; WaveLimiterHint : 1
; COMPUTE_PGM_RSRC2:SCRATCH_EN: 0
; COMPUTE_PGM_RSRC2:USER_SGPR: 2
; COMPUTE_PGM_RSRC2:TRAP_HANDLER: 0
; COMPUTE_PGM_RSRC2:TGID_X_EN: 1
; COMPUTE_PGM_RSRC2:TGID_Y_EN: 0
; COMPUTE_PGM_RSRC2:TGID_Z_EN: 1
; COMPUTE_PGM_RSRC2:TIDIG_COMP_CNT: 1
; COMPUTE_PGM_RSRC3_GFX90A:ACCUM_OFFSET: 7
; COMPUTE_PGM_RSRC3_GFX90A:TG_SPLIT: 0
	.section	.text._ZL23rocblas_trmm_rTx_kernelILi32ELb1EdPKdKS1_KPdEv13rocblas_fill_17rocblas_diagonal_iiT2_lPT3_llS9_llPT4_lli,"axG",@progbits,_ZL23rocblas_trmm_rTx_kernelILi32ELb1EdPKdKS1_KPdEv13rocblas_fill_17rocblas_diagonal_iiT2_lPT3_llS9_llPT4_lli,comdat
	.globl	_ZL23rocblas_trmm_rTx_kernelILi32ELb1EdPKdKS1_KPdEv13rocblas_fill_17rocblas_diagonal_iiT2_lPT3_llS9_llPT4_lli ; -- Begin function _ZL23rocblas_trmm_rTx_kernelILi32ELb1EdPKdKS1_KPdEv13rocblas_fill_17rocblas_diagonal_iiT2_lPT3_llS9_llPT4_lli
	.p2align	8
	.type	_ZL23rocblas_trmm_rTx_kernelILi32ELb1EdPKdKS1_KPdEv13rocblas_fill_17rocblas_diagonal_iiT2_lPT3_llS9_llPT4_lli,@function
_ZL23rocblas_trmm_rTx_kernelILi32ELb1EdPKdKS1_KPdEv13rocblas_fill_17rocblas_diagonal_iiT2_lPT3_llS9_llPT4_lli: ; @_ZL23rocblas_trmm_rTx_kernelILi32ELb1EdPKdKS1_KPdEv13rocblas_fill_17rocblas_diagonal_iiT2_lPT3_llS9_llPT4_lli
; %bb.0:
	s_load_dwordx16 s[4:19], s[0:1], 0x10
	s_mov_b32 s28, s3
	s_waitcnt lgkmcnt(0)
	s_mul_i32 s3, s7, s3
	s_mul_hi_u32 s7, s6, s28
	s_add_i32 s7, s7, s3
	s_mul_i32 s6, s6, s28
	s_lshl_b64 s[6:7], s[6:7], 3
	s_add_u32 s4, s4, s6
	s_addc_u32 s5, s5, s7
	s_load_dwordx2 s[24:25], s[4:5], 0x0
	s_waitcnt lgkmcnt(0)
	v_cmp_eq_f64_e64 s[4:5], s[24:25], 0
	s_and_b64 vcc, exec, s[4:5]
	s_cbranch_vccnz .LBB166_15
; %bb.1:
	s_load_dwordx4 s[20:23], s[0:1], 0x0
	s_load_dwordx4 s[4:7], s[0:1], 0x50
	s_mov_b32 s29, 0
	s_lshl_b64 s[30:31], s[28:29], 3
	s_add_u32 s14, s14, s30
	s_addc_u32 s15, s15, s31
	s_waitcnt lgkmcnt(0)
	s_add_u32 s4, s4, s30
	s_addc_u32 s5, s5, s31
	s_load_dwordx2 s[26:27], s[14:15], 0x0
	v_bfe_u32 v2, v0, 10, 10
	s_load_dwordx2 s[14:15], s[4:5], 0x0
	v_and_b32_e32 v4, 0x3ff, v0
	v_lshlrev_b32_e32 v0, 5, v2
	s_mov_b32 s28, s29
	v_add_lshl_u32 v3, v0, v4, 3
	v_mov_b64_e32 v[0:1], s[28:29]
	v_cmp_gt_i32_e32 vcc, s23, v2
	v_cmp_gt_i32_e64 s[4:5], s23, v4
	ds_write2st64_b64 v3, v[0:1], v[0:1] offset1:16
	s_and_b64 s[28:29], vcc, s[4:5]
	v_lshlrev_b32_e32 v0, 3, v4
	s_and_saveexec_b64 s[4:5], s[28:29]
	s_cbranch_execz .LBB166_3
; %bb.2:
	s_add_u32 s8, s8, s30
	s_addc_u32 s9, s9, s31
	s_load_dwordx2 s[8:9], s[8:9], 0x0
	v_mad_u64_u32 v[6:7], s[28:29], s10, v2, 0
	s_lshl_b64 s[12:13], s[12:13], 3
	v_mov_b32_e32 v8, v7
	s_waitcnt lgkmcnt(0)
	s_add_u32 s8, s8, s12
	v_mad_u64_u32 v[8:9], s[10:11], s11, v2, v[8:9]
	s_addc_u32 s9, s9, s13
	v_mov_b32_e32 v7, v8
	v_lshl_add_u64 v[6:7], v[6:7], 3, s[8:9]
	v_mov_b32_e32 v1, 0
	v_lshl_add_u64 v[6:7], v[6:7], 0, v[0:1]
	flat_load_dwordx2 v[6:7], v[6:7]
	s_waitcnt vmcnt(0) lgkmcnt(0)
	ds_write_b64 v3, v[6:7]
.LBB166_3:
	s_or_b64 exec, exec, s[4:5]
	s_add_i32 s3, s22, -1
	s_ashr_i32 s4, s3, 31
	s_lshr_b32 s4, s4, 27
	s_add_i32 s3, s3, s4
	s_ashr_i32 s4, s3, 5
	s_andn2_b32 s3, s3, 31
	s_sub_i32 s3, s22, s3
	s_cmp_ge_i32 s2, s4
	s_cselect_b32 s3, s3, 32
	s_lshl_b32 s4, s2, 5
	v_cmp_gt_i32_e64 s[2:3], s3, v4
	s_ashr_i32 s5, s4, 31
	s_and_b64 s[2:3], vcc, s[2:3]
	s_and_saveexec_b64 s[8:9], s[2:3]
	s_cbranch_execz .LBB166_5
; %bb.4:
	s_lshl_b64 s[10:11], s[18:19], 3
	s_waitcnt lgkmcnt(0)
	s_add_u32 s12, s26, s10
	s_addc_u32 s13, s27, s11
	s_lshl_b64 s[10:11], s[4:5], 3
	s_add_u32 s10, s12, s10
	s_addc_u32 s11, s13, s11
	v_mad_u64_u32 v[6:7], s[12:13], s16, v2, 0
	v_mov_b32_e32 v8, v7
	v_mad_u64_u32 v[8:9], s[12:13], s17, v2, v[8:9]
	v_mov_b32_e32 v7, v8
	v_lshl_add_u64 v[6:7], v[6:7], 3, s[10:11]
	v_mov_b32_e32 v1, 0
	v_lshl_add_u64 v[6:7], v[6:7], 0, v[0:1]
	flat_load_dwordx2 v[6:7], v[6:7]
	v_add_u32_e32 v1, 0x2000, v3
	s_waitcnt vmcnt(0) lgkmcnt(0)
	ds_write_b64 v1, v[6:7]
.LBB166_5:
	s_or_b64 exec, exec, s[8:9]
	s_cmpk_eq_i32 s21, 0x84
	s_cselect_b64 s[8:9], -1, 0
	v_cmp_eq_u32_e32 vcc, v2, v4
	s_and_b64 s[10:11], vcc, s[8:9]
	s_and_saveexec_b64 s[8:9], s[10:11]
; %bb.6:
	v_mov_b32_e32 v6, 0
	v_mov_b32_e32 v7, 0x3ff00000
	ds_write_b64 v3, v[6:7]
; %bb.7:
	s_or_b64 exec, exec, s[8:9]
	s_cmpk_lg_i32 s20, 0x79
	s_cbranch_scc0 .LBB166_9
; %bb.8:
	v_cmp_lt_u32_e32 vcc, v4, v2
	s_and_b64 s[8:9], vcc, exec
	s_cbranch_execz .LBB166_10
	s_branch .LBB166_11
.LBB166_9:
	s_mov_b64 s[8:9], 0
.LBB166_10:
	v_cmp_gt_u32_e32 vcc, v4, v2
	s_andn2_b64 s[8:9], s[8:9], exec
	s_and_b64 s[10:11], vcc, exec
	s_or_b64 s[8:9], s[8:9], s[10:11]
.LBB166_11:
	s_and_saveexec_b64 s[10:11], s[8:9]
; %bb.12:
	v_mov_b32_e32 v4, 0
	v_mov_b32_e32 v5, v4
	ds_write_b64 v3, v[4:5]
; %bb.13:
	s_or_b64 exec, exec, s[10:11]
	s_waitcnt lgkmcnt(0)
	s_barrier
	s_and_saveexec_b64 s[8:9], s[2:3]
	s_cbranch_execz .LBB166_15
; %bb.14:
	v_add_u32_e32 v1, 0x2000, v0
	v_lshlrev_b32_e32 v3, 3, v2
	ds_read2_b64 v[4:7], v1 offset1:32
	ds_read2_b64 v[8:11], v3 offset1:32
	v_add_u32_e32 v30, 0x800, v3
	s_load_dwordx2 s[0:1], s[0:1], 0x60
	s_waitcnt lgkmcnt(0)
	v_fma_f64 v[28:29], v[4:5], v[8:9], 0
	v_fmac_f64_e32 v[28:29], v[6:7], v[10:11]
	ds_read2_b64 v[4:7], v1 offset0:64 offset1:96
	ds_read2_b64 v[8:11], v3 offset0:64 offset1:96
	;; [unrolled: 1-line block ×6, first 2 shown]
	s_waitcnt lgkmcnt(4)
	v_fmac_f64_e32 v[28:29], v[4:5], v[8:9]
	v_add_u32_e32 v1, 0x2800, v0
	v_fmac_f64_e32 v[28:29], v[6:7], v[10:11]
	ds_read2_b64 v[4:7], v1 offset1:32
	s_waitcnt lgkmcnt(3)
	v_fmac_f64_e32 v[28:29], v[12:13], v[16:17]
	v_fmac_f64_e32 v[28:29], v[14:15], v[18:19]
	s_waitcnt lgkmcnt(1)
	v_fmac_f64_e32 v[28:29], v[20:21], v[24:25]
	v_fmac_f64_e32 v[28:29], v[22:23], v[26:27]
	ds_read2_b64 v[8:11], v30 offset1:32
	ds_read2_b64 v[12:15], v1 offset0:64 offset1:96
	ds_read2_b64 v[16:19], v30 offset0:64 offset1:96
	;; [unrolled: 1-line block ×4, first 2 shown]
	s_waitcnt lgkmcnt(4)
	v_fmac_f64_e32 v[28:29], v[4:5], v[8:9]
	v_fmac_f64_e32 v[28:29], v[6:7], v[10:11]
	ds_read2_b64 v[4:7], v1 offset0:192 offset1:224
	ds_read2_b64 v[8:11], v30 offset0:192 offset1:224
	s_waitcnt lgkmcnt(4)
	v_fmac_f64_e32 v[28:29], v[12:13], v[16:17]
	v_add_u32_e32 v1, 0x3000, v0
	v_fmac_f64_e32 v[28:29], v[14:15], v[18:19]
	ds_read2_b64 v[12:15], v1 offset1:32
	s_waitcnt lgkmcnt(3)
	v_fmac_f64_e32 v[28:29], v[20:21], v[24:25]
	v_add_u32_e32 v30, 0x1000, v3
	v_fmac_f64_e32 v[28:29], v[22:23], v[26:27]
	ds_read2_b64 v[16:19], v30 offset1:32
	ds_read2_b64 v[20:23], v1 offset0:64 offset1:96
	ds_read2_b64 v[24:27], v30 offset0:64 offset1:96
	s_waitcnt lgkmcnt(4)
	v_fmac_f64_e32 v[28:29], v[4:5], v[8:9]
	v_fmac_f64_e32 v[28:29], v[6:7], v[10:11]
	s_waitcnt lgkmcnt(2)
	v_fmac_f64_e32 v[28:29], v[12:13], v[16:17]
	v_fmac_f64_e32 v[28:29], v[14:15], v[18:19]
	ds_read2_b64 v[4:7], v1 offset0:128 offset1:160
	ds_read2_b64 v[8:11], v30 offset0:128 offset1:160
	;; [unrolled: 1-line block ×4, first 2 shown]
	s_waitcnt lgkmcnt(4)
	v_fmac_f64_e32 v[28:29], v[20:21], v[24:25]
	v_add_u32_e32 v1, 0x3800, v0
	v_add_u32_e32 v3, 0x1800, v3
	v_fmac_f64_e32 v[28:29], v[22:23], v[26:27]
	ds_read2_b64 v[20:23], v1 offset1:32
	ds_read2_b64 v[24:27], v3 offset1:32
	s_waitcnt lgkmcnt(4)
	v_fmac_f64_e32 v[28:29], v[4:5], v[8:9]
	v_fmac_f64_e32 v[28:29], v[6:7], v[10:11]
	s_waitcnt lgkmcnt(2)
	v_fmac_f64_e32 v[28:29], v[12:13], v[16:17]
	s_lshl_b64 s[0:1], s[0:1], 3
	v_fmac_f64_e32 v[28:29], v[14:15], v[18:19]
	s_add_u32 s2, s14, s0
	s_waitcnt lgkmcnt(0)
	v_fmac_f64_e32 v[28:29], v[20:21], v[24:25]
	s_addc_u32 s3, s15, s1
	s_lshl_b64 s[0:1], s[4:5], 3
	v_fmac_f64_e32 v[28:29], v[22:23], v[26:27]
	ds_read2_b64 v[4:7], v1 offset0:64 offset1:96
	ds_read2_b64 v[8:11], v3 offset0:64 offset1:96
	;; [unrolled: 1-line block ×6, first 2 shown]
	s_add_u32 s0, s2, s0
	s_waitcnt lgkmcnt(4)
	v_fmac_f64_e32 v[28:29], v[4:5], v[8:9]
	s_addc_u32 s1, s3, s1
	v_fmac_f64_e32 v[28:29], v[6:7], v[10:11]
	v_mad_u64_u32 v[6:7], s[2:3], s6, v2, 0
	s_waitcnt lgkmcnt(2)
	v_fmac_f64_e32 v[28:29], v[12:13], v[16:17]
	v_mov_b32_e32 v8, v7
	v_fmac_f64_e32 v[28:29], v[14:15], v[18:19]
	v_mad_u64_u32 v[2:3], s[2:3], s7, v2, v[8:9]
	s_waitcnt lgkmcnt(0)
	v_fmac_f64_e32 v[28:29], v[20:21], v[24:25]
	v_mov_b32_e32 v7, v2
	v_fmac_f64_e32 v[28:29], v[22:23], v[26:27]
	v_lshl_add_u64 v[2:3], v[6:7], 3, s[0:1]
	v_mov_b32_e32 v1, 0
	v_mul_f64 v[4:5], s[24:25], v[28:29]
	v_lshl_add_u64 v[0:1], v[2:3], 0, v[0:1]
	flat_store_dwordx2 v[0:1], v[4:5]
.LBB166_15:
	s_endpgm
	.section	.rodata,"a",@progbits
	.p2align	6, 0x0
	.amdhsa_kernel _ZL23rocblas_trmm_rTx_kernelILi32ELb1EdPKdKS1_KPdEv13rocblas_fill_17rocblas_diagonal_iiT2_lPT3_llS9_llPT4_lli
		.amdhsa_group_segment_fixed_size 16384
		.amdhsa_private_segment_fixed_size 0
		.amdhsa_kernarg_size 108
		.amdhsa_user_sgpr_count 2
		.amdhsa_user_sgpr_dispatch_ptr 0
		.amdhsa_user_sgpr_queue_ptr 0
		.amdhsa_user_sgpr_kernarg_segment_ptr 1
		.amdhsa_user_sgpr_dispatch_id 0
		.amdhsa_user_sgpr_kernarg_preload_length 0
		.amdhsa_user_sgpr_kernarg_preload_offset 0
		.amdhsa_user_sgpr_private_segment_size 0
		.amdhsa_uses_dynamic_stack 0
		.amdhsa_enable_private_segment 0
		.amdhsa_system_sgpr_workgroup_id_x 1
		.amdhsa_system_sgpr_workgroup_id_y 0
		.amdhsa_system_sgpr_workgroup_id_z 1
		.amdhsa_system_sgpr_workgroup_info 0
		.amdhsa_system_vgpr_workitem_id 1
		.amdhsa_next_free_vgpr 31
		.amdhsa_next_free_sgpr 32
		.amdhsa_accum_offset 32
		.amdhsa_reserve_vcc 1
		.amdhsa_float_round_mode_32 0
		.amdhsa_float_round_mode_16_64 0
		.amdhsa_float_denorm_mode_32 3
		.amdhsa_float_denorm_mode_16_64 3
		.amdhsa_dx10_clamp 1
		.amdhsa_ieee_mode 1
		.amdhsa_fp16_overflow 0
		.amdhsa_tg_split 0
		.amdhsa_exception_fp_ieee_invalid_op 0
		.amdhsa_exception_fp_denorm_src 0
		.amdhsa_exception_fp_ieee_div_zero 0
		.amdhsa_exception_fp_ieee_overflow 0
		.amdhsa_exception_fp_ieee_underflow 0
		.amdhsa_exception_fp_ieee_inexact 0
		.amdhsa_exception_int_div_zero 0
	.end_amdhsa_kernel
	.section	.text._ZL23rocblas_trmm_rTx_kernelILi32ELb1EdPKdKS1_KPdEv13rocblas_fill_17rocblas_diagonal_iiT2_lPT3_llS9_llPT4_lli,"axG",@progbits,_ZL23rocblas_trmm_rTx_kernelILi32ELb1EdPKdKS1_KPdEv13rocblas_fill_17rocblas_diagonal_iiT2_lPT3_llS9_llPT4_lli,comdat
.Lfunc_end166:
	.size	_ZL23rocblas_trmm_rTx_kernelILi32ELb1EdPKdKS1_KPdEv13rocblas_fill_17rocblas_diagonal_iiT2_lPT3_llS9_llPT4_lli, .Lfunc_end166-_ZL23rocblas_trmm_rTx_kernelILi32ELb1EdPKdKS1_KPdEv13rocblas_fill_17rocblas_diagonal_iiT2_lPT3_llS9_llPT4_lli
                                        ; -- End function
	.set _ZL23rocblas_trmm_rTx_kernelILi32ELb1EdPKdKS1_KPdEv13rocblas_fill_17rocblas_diagonal_iiT2_lPT3_llS9_llPT4_lli.num_vgpr, 31
	.set _ZL23rocblas_trmm_rTx_kernelILi32ELb1EdPKdKS1_KPdEv13rocblas_fill_17rocblas_diagonal_iiT2_lPT3_llS9_llPT4_lli.num_agpr, 0
	.set _ZL23rocblas_trmm_rTx_kernelILi32ELb1EdPKdKS1_KPdEv13rocblas_fill_17rocblas_diagonal_iiT2_lPT3_llS9_llPT4_lli.numbered_sgpr, 32
	.set _ZL23rocblas_trmm_rTx_kernelILi32ELb1EdPKdKS1_KPdEv13rocblas_fill_17rocblas_diagonal_iiT2_lPT3_llS9_llPT4_lli.num_named_barrier, 0
	.set _ZL23rocblas_trmm_rTx_kernelILi32ELb1EdPKdKS1_KPdEv13rocblas_fill_17rocblas_diagonal_iiT2_lPT3_llS9_llPT4_lli.private_seg_size, 0
	.set _ZL23rocblas_trmm_rTx_kernelILi32ELb1EdPKdKS1_KPdEv13rocblas_fill_17rocblas_diagonal_iiT2_lPT3_llS9_llPT4_lli.uses_vcc, 1
	.set _ZL23rocblas_trmm_rTx_kernelILi32ELb1EdPKdKS1_KPdEv13rocblas_fill_17rocblas_diagonal_iiT2_lPT3_llS9_llPT4_lli.uses_flat_scratch, 0
	.set _ZL23rocblas_trmm_rTx_kernelILi32ELb1EdPKdKS1_KPdEv13rocblas_fill_17rocblas_diagonal_iiT2_lPT3_llS9_llPT4_lli.has_dyn_sized_stack, 0
	.set _ZL23rocblas_trmm_rTx_kernelILi32ELb1EdPKdKS1_KPdEv13rocblas_fill_17rocblas_diagonal_iiT2_lPT3_llS9_llPT4_lli.has_recursion, 0
	.set _ZL23rocblas_trmm_rTx_kernelILi32ELb1EdPKdKS1_KPdEv13rocblas_fill_17rocblas_diagonal_iiT2_lPT3_llS9_llPT4_lli.has_indirect_call, 0
	.section	.AMDGPU.csdata,"",@progbits
; Kernel info:
; codeLenInByte = 1208
; TotalNumSgprs: 38
; NumVgprs: 31
; NumAgprs: 0
; TotalNumVgprs: 31
; ScratchSize: 0
; MemoryBound: 1
; FloatMode: 240
; IeeeMode: 1
; LDSByteSize: 16384 bytes/workgroup (compile time only)
; SGPRBlocks: 4
; VGPRBlocks: 3
; NumSGPRsForWavesPerEU: 38
; NumVGPRsForWavesPerEU: 31
; AccumOffset: 32
; Occupancy: 8
; WaveLimiterHint : 1
; COMPUTE_PGM_RSRC2:SCRATCH_EN: 0
; COMPUTE_PGM_RSRC2:USER_SGPR: 2
; COMPUTE_PGM_RSRC2:TRAP_HANDLER: 0
; COMPUTE_PGM_RSRC2:TGID_X_EN: 1
; COMPUTE_PGM_RSRC2:TGID_Y_EN: 0
; COMPUTE_PGM_RSRC2:TGID_Z_EN: 1
; COMPUTE_PGM_RSRC2:TIDIG_COMP_CNT: 1
; COMPUTE_PGM_RSRC3_GFX90A:ACCUM_OFFSET: 7
; COMPUTE_PGM_RSRC3_GFX90A:TG_SPLIT: 0
	.section	.text._ZL23rocblas_trmm_rTx_kernelILi32ELb1EddKPKdKPdEv13rocblas_fill_17rocblas_diagonal_iiT2_lPT3_llS9_llPT4_lli,"axG",@progbits,_ZL23rocblas_trmm_rTx_kernelILi32ELb1EddKPKdKPdEv13rocblas_fill_17rocblas_diagonal_iiT2_lPT3_llS9_llPT4_lli,comdat
	.globl	_ZL23rocblas_trmm_rTx_kernelILi32ELb1EddKPKdKPdEv13rocblas_fill_17rocblas_diagonal_iiT2_lPT3_llS9_llPT4_lli ; -- Begin function _ZL23rocblas_trmm_rTx_kernelILi32ELb1EddKPKdKPdEv13rocblas_fill_17rocblas_diagonal_iiT2_lPT3_llS9_llPT4_lli
	.p2align	8
	.type	_ZL23rocblas_trmm_rTx_kernelILi32ELb1EddKPKdKPdEv13rocblas_fill_17rocblas_diagonal_iiT2_lPT3_llS9_llPT4_lli,@function
_ZL23rocblas_trmm_rTx_kernelILi32ELb1EddKPKdKPdEv13rocblas_fill_17rocblas_diagonal_iiT2_lPT3_llS9_llPT4_lli: ; @_ZL23rocblas_trmm_rTx_kernelILi32ELb1EddKPKdKPdEv13rocblas_fill_17rocblas_diagonal_iiT2_lPT3_llS9_llPT4_lli
; %bb.0:
	s_load_dwordx2 s[6:7], s[0:1], 0x10
	s_waitcnt lgkmcnt(0)
	v_cmp_eq_f64_e64 s[8:9], s[6:7], 0
	s_and_b64 vcc, exec, s[8:9]
	s_cbranch_vccnz .LBB167_15
; %bb.1:
	s_load_dwordx4 s[24:27], s[0:1], 0x0
	s_load_dwordx16 s[8:23], s[0:1], 0x20
	s_mov_b32 s4, s3
	s_mov_b32 s5, 0
	s_lshl_b64 s[30:31], s[4:5], 3
	v_bfe_u32 v2, v0, 10, 10
	s_waitcnt lgkmcnt(0)
	s_add_u32 s14, s14, s30
	s_addc_u32 s15, s15, s31
	s_load_dwordx2 s[28:29], s[14:15], 0x0
	s_add_u32 s14, s20, s30
	s_addc_u32 s15, s21, s31
	s_load_dwordx2 s[14:15], s[14:15], 0x0
	v_and_b32_e32 v4, 0x3ff, v0
	v_lshlrev_b32_e32 v0, 5, v2
	s_mov_b32 s4, s5
	v_add_lshl_u32 v3, v0, v4, 3
	v_mov_b64_e32 v[0:1], s[4:5]
	v_cmp_gt_i32_e32 vcc, s27, v2
	v_cmp_gt_i32_e64 s[4:5], s27, v4
	ds_write2st64_b64 v3, v[0:1], v[0:1] offset1:16
	s_and_b64 s[20:21], vcc, s[4:5]
	v_lshlrev_b32_e32 v0, 3, v4
	s_and_saveexec_b64 s[4:5], s[20:21]
	s_cbranch_execz .LBB167_3
; %bb.2:
	s_add_u32 s8, s8, s30
	s_addc_u32 s9, s9, s31
	s_load_dwordx2 s[8:9], s[8:9], 0x0
	v_mad_u64_u32 v[6:7], s[20:21], s10, v2, 0
	s_lshl_b64 s[12:13], s[12:13], 3
	v_mov_b32_e32 v8, v7
	s_waitcnt lgkmcnt(0)
	s_add_u32 s8, s8, s12
	v_mad_u64_u32 v[8:9], s[10:11], s11, v2, v[8:9]
	s_addc_u32 s9, s9, s13
	v_mov_b32_e32 v7, v8
	v_lshl_add_u64 v[6:7], v[6:7], 3, s[8:9]
	v_mov_b32_e32 v1, 0
	v_lshl_add_u64 v[6:7], v[6:7], 0, v[0:1]
	flat_load_dwordx2 v[6:7], v[6:7]
	s_waitcnt vmcnt(0) lgkmcnt(0)
	ds_write_b64 v3, v[6:7]
.LBB167_3:
	s_or_b64 exec, exec, s[4:5]
	s_add_i32 s3, s26, -1
	s_ashr_i32 s4, s3, 31
	s_lshr_b32 s4, s4, 27
	s_add_i32 s3, s3, s4
	s_ashr_i32 s4, s3, 5
	s_andn2_b32 s3, s3, 31
	s_sub_i32 s3, s26, s3
	s_cmp_ge_i32 s2, s4
	s_cselect_b32 s3, s3, 32
	s_lshl_b32 s4, s2, 5
	v_cmp_gt_i32_e64 s[2:3], s3, v4
	s_ashr_i32 s5, s4, 31
	s_and_b64 s[2:3], vcc, s[2:3]
	s_and_saveexec_b64 s[8:9], s[2:3]
	s_cbranch_execz .LBB167_5
; %bb.4:
	s_lshl_b64 s[10:11], s[18:19], 3
	s_waitcnt lgkmcnt(0)
	s_add_u32 s12, s28, s10
	s_addc_u32 s13, s29, s11
	s_lshl_b64 s[10:11], s[4:5], 3
	s_add_u32 s10, s12, s10
	s_addc_u32 s11, s13, s11
	v_mad_u64_u32 v[6:7], s[12:13], s16, v2, 0
	v_mov_b32_e32 v8, v7
	v_mad_u64_u32 v[8:9], s[12:13], s17, v2, v[8:9]
	v_mov_b32_e32 v7, v8
	v_lshl_add_u64 v[6:7], v[6:7], 3, s[10:11]
	v_mov_b32_e32 v1, 0
	v_lshl_add_u64 v[6:7], v[6:7], 0, v[0:1]
	flat_load_dwordx2 v[6:7], v[6:7]
	v_add_u32_e32 v1, 0x2000, v3
	s_waitcnt vmcnt(0) lgkmcnt(0)
	ds_write_b64 v1, v[6:7]
.LBB167_5:
	s_or_b64 exec, exec, s[8:9]
	s_cmpk_eq_i32 s25, 0x84
	s_cselect_b64 s[8:9], -1, 0
	v_cmp_eq_u32_e32 vcc, v2, v4
	s_and_b64 s[10:11], vcc, s[8:9]
	s_and_saveexec_b64 s[8:9], s[10:11]
; %bb.6:
	v_mov_b32_e32 v6, 0
	v_mov_b32_e32 v7, 0x3ff00000
	ds_write_b64 v3, v[6:7]
; %bb.7:
	s_or_b64 exec, exec, s[8:9]
	s_cmpk_lg_i32 s24, 0x79
	s_cbranch_scc0 .LBB167_9
; %bb.8:
	v_cmp_lt_u32_e32 vcc, v4, v2
	s_and_b64 s[8:9], vcc, exec
	s_cbranch_execz .LBB167_10
	s_branch .LBB167_11
.LBB167_9:
	s_mov_b64 s[8:9], 0
.LBB167_10:
	v_cmp_gt_u32_e32 vcc, v4, v2
	s_andn2_b64 s[8:9], s[8:9], exec
	s_and_b64 s[10:11], vcc, exec
	s_or_b64 s[8:9], s[8:9], s[10:11]
.LBB167_11:
	s_and_saveexec_b64 s[10:11], s[8:9]
; %bb.12:
	v_mov_b32_e32 v4, 0
	v_mov_b32_e32 v5, v4
	ds_write_b64 v3, v[4:5]
; %bb.13:
	s_or_b64 exec, exec, s[10:11]
	s_waitcnt lgkmcnt(0)
	s_barrier
	s_and_saveexec_b64 s[8:9], s[2:3]
	s_cbranch_execz .LBB167_15
; %bb.14:
	v_add_u32_e32 v1, 0x2000, v0
	v_lshlrev_b32_e32 v3, 3, v2
	ds_read2_b64 v[4:7], v1 offset1:32
	ds_read2_b64 v[8:11], v3 offset1:32
	v_add_u32_e32 v30, 0x800, v3
	s_load_dwordx2 s[0:1], s[0:1], 0x60
	s_waitcnt lgkmcnt(0)
	v_fma_f64 v[28:29], v[4:5], v[8:9], 0
	v_fmac_f64_e32 v[28:29], v[6:7], v[10:11]
	ds_read2_b64 v[4:7], v1 offset0:64 offset1:96
	ds_read2_b64 v[8:11], v3 offset0:64 offset1:96
	;; [unrolled: 1-line block ×6, first 2 shown]
	s_waitcnt lgkmcnt(4)
	v_fmac_f64_e32 v[28:29], v[4:5], v[8:9]
	v_add_u32_e32 v1, 0x2800, v0
	v_fmac_f64_e32 v[28:29], v[6:7], v[10:11]
	ds_read2_b64 v[4:7], v1 offset1:32
	s_waitcnt lgkmcnt(3)
	v_fmac_f64_e32 v[28:29], v[12:13], v[16:17]
	v_fmac_f64_e32 v[28:29], v[14:15], v[18:19]
	s_waitcnt lgkmcnt(1)
	v_fmac_f64_e32 v[28:29], v[20:21], v[24:25]
	v_fmac_f64_e32 v[28:29], v[22:23], v[26:27]
	ds_read2_b64 v[8:11], v30 offset1:32
	ds_read2_b64 v[12:15], v1 offset0:64 offset1:96
	ds_read2_b64 v[16:19], v30 offset0:64 offset1:96
	;; [unrolled: 1-line block ×4, first 2 shown]
	s_waitcnt lgkmcnt(4)
	v_fmac_f64_e32 v[28:29], v[4:5], v[8:9]
	v_fmac_f64_e32 v[28:29], v[6:7], v[10:11]
	ds_read2_b64 v[4:7], v1 offset0:192 offset1:224
	ds_read2_b64 v[8:11], v30 offset0:192 offset1:224
	s_waitcnt lgkmcnt(4)
	v_fmac_f64_e32 v[28:29], v[12:13], v[16:17]
	v_add_u32_e32 v1, 0x3000, v0
	v_fmac_f64_e32 v[28:29], v[14:15], v[18:19]
	ds_read2_b64 v[12:15], v1 offset1:32
	s_waitcnt lgkmcnt(3)
	v_fmac_f64_e32 v[28:29], v[20:21], v[24:25]
	v_add_u32_e32 v30, 0x1000, v3
	v_fmac_f64_e32 v[28:29], v[22:23], v[26:27]
	ds_read2_b64 v[16:19], v30 offset1:32
	ds_read2_b64 v[20:23], v1 offset0:64 offset1:96
	ds_read2_b64 v[24:27], v30 offset0:64 offset1:96
	s_waitcnt lgkmcnt(4)
	v_fmac_f64_e32 v[28:29], v[4:5], v[8:9]
	v_fmac_f64_e32 v[28:29], v[6:7], v[10:11]
	s_waitcnt lgkmcnt(2)
	v_fmac_f64_e32 v[28:29], v[12:13], v[16:17]
	v_fmac_f64_e32 v[28:29], v[14:15], v[18:19]
	ds_read2_b64 v[4:7], v1 offset0:128 offset1:160
	ds_read2_b64 v[8:11], v30 offset0:128 offset1:160
	;; [unrolled: 1-line block ×4, first 2 shown]
	s_waitcnt lgkmcnt(4)
	v_fmac_f64_e32 v[28:29], v[20:21], v[24:25]
	v_add_u32_e32 v1, 0x3800, v0
	v_add_u32_e32 v3, 0x1800, v3
	v_fmac_f64_e32 v[28:29], v[22:23], v[26:27]
	ds_read2_b64 v[20:23], v1 offset1:32
	ds_read2_b64 v[24:27], v3 offset1:32
	s_waitcnt lgkmcnt(4)
	v_fmac_f64_e32 v[28:29], v[4:5], v[8:9]
	v_fmac_f64_e32 v[28:29], v[6:7], v[10:11]
	s_waitcnt lgkmcnt(2)
	v_fmac_f64_e32 v[28:29], v[12:13], v[16:17]
	s_lshl_b64 s[0:1], s[0:1], 3
	v_fmac_f64_e32 v[28:29], v[14:15], v[18:19]
	s_add_u32 s2, s14, s0
	s_waitcnt lgkmcnt(0)
	v_fmac_f64_e32 v[28:29], v[20:21], v[24:25]
	s_addc_u32 s3, s15, s1
	s_lshl_b64 s[0:1], s[4:5], 3
	v_fmac_f64_e32 v[28:29], v[22:23], v[26:27]
	ds_read2_b64 v[4:7], v1 offset0:64 offset1:96
	ds_read2_b64 v[8:11], v3 offset0:64 offset1:96
	;; [unrolled: 1-line block ×6, first 2 shown]
	s_add_u32 s0, s2, s0
	s_waitcnt lgkmcnt(4)
	v_fmac_f64_e32 v[28:29], v[4:5], v[8:9]
	s_addc_u32 s1, s3, s1
	v_fmac_f64_e32 v[28:29], v[6:7], v[10:11]
	v_mad_u64_u32 v[6:7], s[2:3], s22, v2, 0
	s_waitcnt lgkmcnt(2)
	v_fmac_f64_e32 v[28:29], v[12:13], v[16:17]
	v_mov_b32_e32 v8, v7
	v_fmac_f64_e32 v[28:29], v[14:15], v[18:19]
	v_mad_u64_u32 v[2:3], s[2:3], s23, v2, v[8:9]
	s_waitcnt lgkmcnt(0)
	v_fmac_f64_e32 v[28:29], v[20:21], v[24:25]
	v_mov_b32_e32 v7, v2
	v_fmac_f64_e32 v[28:29], v[22:23], v[26:27]
	v_lshl_add_u64 v[2:3], v[6:7], 3, s[0:1]
	v_mov_b32_e32 v1, 0
	v_mul_f64 v[4:5], s[6:7], v[28:29]
	v_lshl_add_u64 v[0:1], v[2:3], 0, v[0:1]
	flat_store_dwordx2 v[0:1], v[4:5]
.LBB167_15:
	s_endpgm
	.section	.rodata,"a",@progbits
	.p2align	6, 0x0
	.amdhsa_kernel _ZL23rocblas_trmm_rTx_kernelILi32ELb1EddKPKdKPdEv13rocblas_fill_17rocblas_diagonal_iiT2_lPT3_llS9_llPT4_lli
		.amdhsa_group_segment_fixed_size 16384
		.amdhsa_private_segment_fixed_size 0
		.amdhsa_kernarg_size 108
		.amdhsa_user_sgpr_count 2
		.amdhsa_user_sgpr_dispatch_ptr 0
		.amdhsa_user_sgpr_queue_ptr 0
		.amdhsa_user_sgpr_kernarg_segment_ptr 1
		.amdhsa_user_sgpr_dispatch_id 0
		.amdhsa_user_sgpr_kernarg_preload_length 0
		.amdhsa_user_sgpr_kernarg_preload_offset 0
		.amdhsa_user_sgpr_private_segment_size 0
		.amdhsa_uses_dynamic_stack 0
		.amdhsa_enable_private_segment 0
		.amdhsa_system_sgpr_workgroup_id_x 1
		.amdhsa_system_sgpr_workgroup_id_y 0
		.amdhsa_system_sgpr_workgroup_id_z 1
		.amdhsa_system_sgpr_workgroup_info 0
		.amdhsa_system_vgpr_workitem_id 1
		.amdhsa_next_free_vgpr 31
		.amdhsa_next_free_sgpr 32
		.amdhsa_accum_offset 32
		.amdhsa_reserve_vcc 1
		.amdhsa_float_round_mode_32 0
		.amdhsa_float_round_mode_16_64 0
		.amdhsa_float_denorm_mode_32 3
		.amdhsa_float_denorm_mode_16_64 3
		.amdhsa_dx10_clamp 1
		.amdhsa_ieee_mode 1
		.amdhsa_fp16_overflow 0
		.amdhsa_tg_split 0
		.amdhsa_exception_fp_ieee_invalid_op 0
		.amdhsa_exception_fp_denorm_src 0
		.amdhsa_exception_fp_ieee_div_zero 0
		.amdhsa_exception_fp_ieee_overflow 0
		.amdhsa_exception_fp_ieee_underflow 0
		.amdhsa_exception_fp_ieee_inexact 0
		.amdhsa_exception_int_div_zero 0
	.end_amdhsa_kernel
	.section	.text._ZL23rocblas_trmm_rTx_kernelILi32ELb1EddKPKdKPdEv13rocblas_fill_17rocblas_diagonal_iiT2_lPT3_llS9_llPT4_lli,"axG",@progbits,_ZL23rocblas_trmm_rTx_kernelILi32ELb1EddKPKdKPdEv13rocblas_fill_17rocblas_diagonal_iiT2_lPT3_llS9_llPT4_lli,comdat
.Lfunc_end167:
	.size	_ZL23rocblas_trmm_rTx_kernelILi32ELb1EddKPKdKPdEv13rocblas_fill_17rocblas_diagonal_iiT2_lPT3_llS9_llPT4_lli, .Lfunc_end167-_ZL23rocblas_trmm_rTx_kernelILi32ELb1EddKPKdKPdEv13rocblas_fill_17rocblas_diagonal_iiT2_lPT3_llS9_llPT4_lli
                                        ; -- End function
	.set _ZL23rocblas_trmm_rTx_kernelILi32ELb1EddKPKdKPdEv13rocblas_fill_17rocblas_diagonal_iiT2_lPT3_llS9_llPT4_lli.num_vgpr, 31
	.set _ZL23rocblas_trmm_rTx_kernelILi32ELb1EddKPKdKPdEv13rocblas_fill_17rocblas_diagonal_iiT2_lPT3_llS9_llPT4_lli.num_agpr, 0
	.set _ZL23rocblas_trmm_rTx_kernelILi32ELb1EddKPKdKPdEv13rocblas_fill_17rocblas_diagonal_iiT2_lPT3_llS9_llPT4_lli.numbered_sgpr, 32
	.set _ZL23rocblas_trmm_rTx_kernelILi32ELb1EddKPKdKPdEv13rocblas_fill_17rocblas_diagonal_iiT2_lPT3_llS9_llPT4_lli.num_named_barrier, 0
	.set _ZL23rocblas_trmm_rTx_kernelILi32ELb1EddKPKdKPdEv13rocblas_fill_17rocblas_diagonal_iiT2_lPT3_llS9_llPT4_lli.private_seg_size, 0
	.set _ZL23rocblas_trmm_rTx_kernelILi32ELb1EddKPKdKPdEv13rocblas_fill_17rocblas_diagonal_iiT2_lPT3_llS9_llPT4_lli.uses_vcc, 1
	.set _ZL23rocblas_trmm_rTx_kernelILi32ELb1EddKPKdKPdEv13rocblas_fill_17rocblas_diagonal_iiT2_lPT3_llS9_llPT4_lli.uses_flat_scratch, 0
	.set _ZL23rocblas_trmm_rTx_kernelILi32ELb1EddKPKdKPdEv13rocblas_fill_17rocblas_diagonal_iiT2_lPT3_llS9_llPT4_lli.has_dyn_sized_stack, 0
	.set _ZL23rocblas_trmm_rTx_kernelILi32ELb1EddKPKdKPdEv13rocblas_fill_17rocblas_diagonal_iiT2_lPT3_llS9_llPT4_lli.has_recursion, 0
	.set _ZL23rocblas_trmm_rTx_kernelILi32ELb1EddKPKdKPdEv13rocblas_fill_17rocblas_diagonal_iiT2_lPT3_llS9_llPT4_lli.has_indirect_call, 0
	.section	.AMDGPU.csdata,"",@progbits
; Kernel info:
; codeLenInByte = 1168
; TotalNumSgprs: 38
; NumVgprs: 31
; NumAgprs: 0
; TotalNumVgprs: 31
; ScratchSize: 0
; MemoryBound: 1
; FloatMode: 240
; IeeeMode: 1
; LDSByteSize: 16384 bytes/workgroup (compile time only)
; SGPRBlocks: 4
; VGPRBlocks: 3
; NumSGPRsForWavesPerEU: 38
; NumVGPRsForWavesPerEU: 31
; AccumOffset: 32
; Occupancy: 8
; WaveLimiterHint : 1
; COMPUTE_PGM_RSRC2:SCRATCH_EN: 0
; COMPUTE_PGM_RSRC2:USER_SGPR: 2
; COMPUTE_PGM_RSRC2:TRAP_HANDLER: 0
; COMPUTE_PGM_RSRC2:TGID_X_EN: 1
; COMPUTE_PGM_RSRC2:TGID_Y_EN: 0
; COMPUTE_PGM_RSRC2:TGID_Z_EN: 1
; COMPUTE_PGM_RSRC2:TIDIG_COMP_CNT: 1
; COMPUTE_PGM_RSRC3_GFX90A:ACCUM_OFFSET: 7
; COMPUTE_PGM_RSRC3_GFX90A:TG_SPLIT: 0
	.section	.text._ZL23rocblas_trmm_lNx_kernelILi16E19rocblas_complex_numIfEPKS1_KS3_KPS1_Ev13rocblas_fill_17rocblas_diagonal_iiT1_lPT2_llSB_llPT3_lli,"axG",@progbits,_ZL23rocblas_trmm_lNx_kernelILi16E19rocblas_complex_numIfEPKS1_KS3_KPS1_Ev13rocblas_fill_17rocblas_diagonal_iiT1_lPT2_llSB_llPT3_lli,comdat
	.globl	_ZL23rocblas_trmm_lNx_kernelILi16E19rocblas_complex_numIfEPKS1_KS3_KPS1_Ev13rocblas_fill_17rocblas_diagonal_iiT1_lPT2_llSB_llPT3_lli ; -- Begin function _ZL23rocblas_trmm_lNx_kernelILi16E19rocblas_complex_numIfEPKS1_KS3_KPS1_Ev13rocblas_fill_17rocblas_diagonal_iiT1_lPT2_llSB_llPT3_lli
	.p2align	8
	.type	_ZL23rocblas_trmm_lNx_kernelILi16E19rocblas_complex_numIfEPKS1_KS3_KPS1_Ev13rocblas_fill_17rocblas_diagonal_iiT1_lPT2_llSB_llPT3_lli,@function
_ZL23rocblas_trmm_lNx_kernelILi16E19rocblas_complex_numIfEPKS1_KS3_KPS1_Ev13rocblas_fill_17rocblas_diagonal_iiT1_lPT2_llSB_llPT3_lli: ; @_ZL23rocblas_trmm_lNx_kernelILi16E19rocblas_complex_numIfEPKS1_KS3_KPS1_Ev13rocblas_fill_17rocblas_diagonal_iiT1_lPT2_llSB_llPT3_lli
; %bb.0:
	s_load_dwordx16 s[4:19], s[0:1], 0x10
	s_mov_b32 s28, s3
	s_mov_b32 s29, 0
	s_waitcnt lgkmcnt(0)
	s_mul_i32 s3, s7, s3
	s_mul_hi_u32 s7, s6, s28
	s_add_i32 s7, s7, s3
	s_mul_i32 s6, s6, s28
	s_lshl_b64 s[6:7], s[6:7], 3
	s_add_u32 s4, s4, s6
	s_addc_u32 s5, s5, s7
	s_load_dwordx2 s[24:25], s[4:5], 0x0
	s_waitcnt lgkmcnt(0)
	v_cmp_neq_f32_e64 s[4:5], s24, 0
	v_cmp_neq_f32_e64 s[6:7], s25, 0
	s_or_b64 s[4:5], s[4:5], s[6:7]
	s_andn2_b64 vcc, exec, s[4:5]
	s_cbranch_vccnz .LBB168_15
; %bb.1:
	s_load_dwordx4 s[20:23], s[0:1], 0x0
	s_load_dwordx4 s[4:7], s[0:1], 0x50
	s_lshl_b64 s[30:31], s[28:29], 3
	s_add_u32 s14, s14, s30
	s_addc_u32 s15, s15, s31
	s_load_dwordx2 s[26:27], s[14:15], 0x0
	s_waitcnt lgkmcnt(0)
	s_add_u32 s4, s4, s30
	s_addc_u32 s5, s5, s31
	s_load_dwordx2 s[14:15], s[4:5], 0x0
	v_bfe_u32 v2, v0, 10, 10
	v_and_b32_e32 v5, 0x3ff, v0
	v_lshlrev_b32_e32 v3, 4, v2
	s_mov_b32 s28, s29
	v_add_lshl_u32 v4, v3, v5, 3
	v_mov_b64_e32 v[0:1], s[28:29]
	v_cmp_gt_i32_e64 s[4:5], s22, v2
	v_cmp_gt_i32_e32 vcc, s22, v5
	ds_write2st64_b64 v4, v[0:1], v[0:1] offset1:4
	s_and_b64 s[28:29], s[4:5], vcc
	v_lshlrev_b32_e32 v0, 3, v5
	s_and_saveexec_b64 s[4:5], s[28:29]
	s_cbranch_execz .LBB168_3
; %bb.2:
	s_add_u32 s8, s8, s30
	s_addc_u32 s9, s9, s31
	s_load_dwordx2 s[8:9], s[8:9], 0x0
	v_mad_u64_u32 v[6:7], s[28:29], s10, v2, 0
	s_lshl_b64 s[12:13], s[12:13], 3
	v_mov_b32_e32 v8, v7
	s_waitcnt lgkmcnt(0)
	s_add_u32 s8, s8, s12
	v_mad_u64_u32 v[8:9], s[10:11], s11, v2, v[8:9]
	s_addc_u32 s9, s9, s13
	v_mov_b32_e32 v7, v8
	v_lshl_add_u64 v[6:7], v[6:7], 3, s[8:9]
	v_mov_b32_e32 v1, 0
	v_lshl_add_u64 v[6:7], v[6:7], 0, v[0:1]
	flat_load_dwordx2 v[6:7], v[6:7]
	s_waitcnt vmcnt(0) lgkmcnt(0)
	ds_write_b64 v4, v[6:7]
.LBB168_3:
	s_or_b64 exec, exec, s[4:5]
	s_add_i32 s3, s23, -1
	s_ashr_i32 s4, s3, 31
	s_lshr_b32 s4, s4, 28
	s_add_i32 s3, s3, s4
	s_ashr_i32 s4, s3, 4
	s_and_b32 s3, s3, -16
	s_sub_i32 s3, s23, s3
	s_cmp_ge_i32 s2, s4
	s_cselect_b32 s3, s3, 16
	s_lshl_b32 s10, s2, 4
	v_cmp_gt_i32_e64 s[2:3], s3, v2
	s_ashr_i32 s11, s10, 31
	s_and_b64 s[2:3], vcc, s[2:3]
	s_and_saveexec_b64 s[4:5], s[2:3]
	s_cbranch_execz .LBB168_5
; %bb.4:
	s_lshl_b64 s[8:9], s[18:19], 3
	s_add_u32 s12, s26, s8
	s_addc_u32 s13, s27, s9
	s_mul_i32 s8, s16, s11
	s_mul_hi_u32 s9, s16, s10
	s_add_i32 s8, s9, s8
	s_mul_i32 s9, s17, s10
	s_add_i32 s9, s8, s9
	s_mul_i32 s8, s16, s10
	s_lshl_b64 s[8:9], s[8:9], 3
	s_add_u32 s8, s12, s8
	s_addc_u32 s9, s13, s9
	v_mad_u64_u32 v[6:7], s[12:13], s16, v2, 0
	v_mov_b32_e32 v8, v7
	v_mad_u64_u32 v[8:9], s[12:13], s17, v2, v[8:9]
	v_mov_b32_e32 v7, v8
	v_lshl_add_u64 v[6:7], v[6:7], 3, s[8:9]
	v_mov_b32_e32 v1, 0
	v_lshl_add_u64 v[6:7], v[6:7], 0, v[0:1]
	flat_load_dwordx2 v[6:7], v[6:7]
	v_add_u32_e32 v1, 0x800, v4
	s_waitcnt vmcnt(0) lgkmcnt(0)
	ds_write_b64 v1, v[6:7]
.LBB168_5:
	s_or_b64 exec, exec, s[4:5]
	s_cmpk_eq_i32 s21, 0x84
	s_cselect_b64 s[4:5], -1, 0
	v_cmp_eq_u32_e32 vcc, v2, v5
	s_and_b64 s[8:9], vcc, s[4:5]
	s_and_saveexec_b64 s[4:5], s[8:9]
; %bb.6:
	v_mov_b32_e32 v6, 1.0
	v_mov_b32_e32 v7, 0
	ds_write_b64 v4, v[6:7]
; %bb.7:
	s_or_b64 exec, exec, s[4:5]
	s_cmpk_lg_i32 s20, 0x79
	s_cbranch_scc0 .LBB168_9
; %bb.8:
	v_cmp_lt_u32_e32 vcc, v5, v2
	s_and_b64 s[4:5], vcc, exec
	s_cbranch_execz .LBB168_10
	s_branch .LBB168_11
.LBB168_9:
	s_mov_b64 s[4:5], 0
.LBB168_10:
	v_cmp_gt_u32_e32 vcc, v5, v2
	s_andn2_b64 s[4:5], s[4:5], exec
	s_and_b64 s[8:9], vcc, exec
	s_or_b64 s[4:5], s[4:5], s[8:9]
.LBB168_11:
	s_and_saveexec_b64 s[8:9], s[4:5]
; %bb.12:
	v_mov_b32_e32 v6, 0
	v_mov_b32_e32 v7, v6
	ds_write_b64 v4, v[6:7]
; %bb.13:
	s_or_b64 exec, exec, s[8:9]
	s_waitcnt lgkmcnt(0)
	s_barrier
	s_and_saveexec_b64 s[4:5], s[2:3]
	s_cbranch_execz .LBB168_15
; %bb.14:
	v_lshlrev_b32_e32 v1, 3, v3
	ds_read_b128 v[4:7], v1 offset:2048
	ds_read2_b64 v[8:11], v0 offset1:16
	ds_read_b128 v[12:15], v1 offset:2064
	ds_read_b128 v[16:19], v1 offset:2080
	;; [unrolled: 1-line block ×3, first 2 shown]
	ds_read2_b64 v[24:27], v0 offset0:32 offset1:48
	s_load_dwordx2 s[0:1], s[0:1], 0x60
	s_mul_i32 s2, s6, s11
	s_waitcnt lgkmcnt(0)
	v_mul_f32_e32 v3, v4, v9
	v_fmac_f32_e32 v3, v5, v8
	v_mul_f32_e32 v28, v6, v11
	v_add_f32_e32 v3, 0, v3
	v_fmac_f32_e32 v28, v7, v10
	v_add_f32_e32 v3, v3, v28
	v_mul_f32_e32 v32, v12, v25
	ds_read2_b64 v[28:31], v0 offset0:64 offset1:80
	v_fmac_f32_e32 v32, v13, v24
	v_add_f32_e32 v3, v3, v32
	v_mul_f32_e32 v32, v14, v27
	v_fmac_f32_e32 v32, v15, v26
	v_add_f32_e32 v3, v3, v32
	ds_read2_b64 v[32:35], v0 offset0:96 offset1:112
	s_waitcnt lgkmcnt(1)
	v_mul_f32_e32 v36, v16, v29
	v_fmac_f32_e32 v36, v17, v28
	v_add_f32_e32 v3, v3, v36
	v_mul_f32_e32 v36, v18, v31
	v_fmac_f32_e32 v36, v19, v30
	v_add_f32_e32 v3, v3, v36
	s_waitcnt lgkmcnt(0)
	v_mul_f32_e32 v36, v20, v33
	v_fmac_f32_e32 v36, v21, v32
	v_add_f32_e32 v3, v3, v36
	ds_read_b128 v[36:39], v1 offset:2112
	ds_read2_b64 v[40:43], v0 offset0:128 offset1:144
	v_mul_f32_e32 v44, v22, v35
	v_fmac_f32_e32 v44, v23, v34
	v_add_f32_e32 v3, v3, v44
	ds_read_b128 v[44:47], v1 offset:2128
	ds_read2_b64 v[48:51], v0 offset0:160 offset1:176
	s_waitcnt lgkmcnt(2)
	v_mul_f32_e32 v52, v36, v41
	v_fmac_f32_e32 v52, v37, v40
	v_add_f32_e32 v3, v3, v52
	v_mul_f32_e32 v52, v38, v43
	v_fmac_f32_e32 v52, v39, v42
	v_add_f32_e32 v3, v3, v52
	s_waitcnt lgkmcnt(0)
	v_mul_f32_e32 v52, v44, v49
	v_fmac_f32_e32 v52, v45, v48
	v_add_f32_e32 v3, v3, v52
	v_mul_f32_e32 v52, v46, v51
	v_fmac_f32_e32 v52, v47, v50
	v_mul_f32_e32 v5, v5, v9
	v_add_f32_e32 v3, v3, v52
	ds_read2_b64 v[52:55], v0 offset0:192 offset1:208
	v_fma_f32 v56, v4, v8, -v5
	v_mul_f32_e32 v4, v7, v11
	v_fma_f32 v57, v6, v10, -v4
	ds_read_b128 v[4:7], v1 offset:2144
	ds_read_b128 v[8:11], v1 offset:2160
	v_mul_f32_e32 v1, v13, v25
	v_fma_f32 v1, v12, v24, -v1
	v_mul_f32_e32 v12, v15, v27
	v_fma_f32 v25, v14, v26, -v12
	ds_read2_b64 v[12:15], v0 offset0:224 offset1:240
	s_waitcnt lgkmcnt(2)
	v_mul_f32_e32 v24, v4, v53
	v_fmac_f32_e32 v24, v5, v52
	v_add_f32_e32 v3, v3, v24
	v_mul_f32_e32 v24, v6, v55
	v_fmac_f32_e32 v24, v7, v54
	v_add_f32_e32 v3, v3, v24
	s_waitcnt lgkmcnt(0)
	v_mul_f32_e32 v24, v8, v13
	v_fmac_f32_e32 v24, v9, v12
	v_add_f32_e32 v3, v3, v24
	v_mul_f32_e32 v24, v10, v15
	v_fmac_f32_e32 v24, v11, v14
	v_add_f32_e32 v24, v3, v24
	v_add_f32_e32 v3, 0, v56
	;; [unrolled: 1-line block ×4, first 2 shown]
	v_mul_f32_e32 v3, v17, v29
	v_add_f32_e32 v1, v1, v25
	v_fma_f32 v3, v16, v28, -v3
	v_add_f32_e32 v1, v1, v3
	v_mul_f32_e32 v3, v19, v31
	v_fma_f32 v3, v18, v30, -v3
	v_add_f32_e32 v1, v1, v3
	v_mul_f32_e32 v3, v21, v33
	;; [unrolled: 3-line block ×9, first 2 shown]
	s_lshl_b64 s[0:1], s[0:1], 3
	v_fma_f32 v3, v6, v54, -v3
	s_mul_hi_u32 s3, s6, s10
	s_add_u32 s5, s14, s0
	v_add_f32_e32 v1, v1, v3
	v_mul_f32_e32 v3, v9, v13
	s_mul_i32 s4, s7, s10
	s_addc_u32 s8, s15, s1
	s_add_i32 s0, s3, s2
	v_fma_f32 v3, v8, v12, -v3
	s_add_i32 s1, s0, s4
	s_mul_i32 s0, s6, s10
	v_add_f32_e32 v1, v1, v3
	v_mul_f32_e32 v3, v11, v15
	v_mad_u64_u32 v[6:7], s[2:3], s6, v2, 0
	s_lshl_b64 s[0:1], s[0:1], 3
	v_fma_f32 v3, v10, v14, -v3
	v_mov_b32_e32 v8, v7
	s_add_u32 s0, s5, s0
	v_add_f32_e32 v4, v1, v3
	v_mad_u64_u32 v[2:3], s[2:3], s7, v2, v[8:9]
	s_addc_u32 s1, s8, s1
	v_mov_b32_e32 v7, v2
	v_lshl_add_u64 v[2:3], v[6:7], 3, s[0:1]
	v_mov_b32_e32 v1, 0
	v_lshl_add_u64 v[0:1], v[2:3], 0, v[0:1]
	v_pk_mul_f32 v[2:3], s[24:25], v[24:25] op_sel:[1,0] op_sel_hi:[0,0]
	v_pk_fma_f32 v[6:7], s[24:25], v[4:5], v[2:3] neg_lo:[0,0,1] neg_hi:[0,0,1]
	v_pk_fma_f32 v[2:3], s[24:25], v[4:5], v[2:3] op_sel_hi:[1,0,1]
	s_nop 0
	v_mov_b32_e32 v7, v3
	flat_store_dwordx2 v[0:1], v[6:7]
.LBB168_15:
	s_endpgm
	.section	.rodata,"a",@progbits
	.p2align	6, 0x0
	.amdhsa_kernel _ZL23rocblas_trmm_lNx_kernelILi16E19rocblas_complex_numIfEPKS1_KS3_KPS1_Ev13rocblas_fill_17rocblas_diagonal_iiT1_lPT2_llSB_llPT3_lli
		.amdhsa_group_segment_fixed_size 4096
		.amdhsa_private_segment_fixed_size 0
		.amdhsa_kernarg_size 108
		.amdhsa_user_sgpr_count 2
		.amdhsa_user_sgpr_dispatch_ptr 0
		.amdhsa_user_sgpr_queue_ptr 0
		.amdhsa_user_sgpr_kernarg_segment_ptr 1
		.amdhsa_user_sgpr_dispatch_id 0
		.amdhsa_user_sgpr_kernarg_preload_length 0
		.amdhsa_user_sgpr_kernarg_preload_offset 0
		.amdhsa_user_sgpr_private_segment_size 0
		.amdhsa_uses_dynamic_stack 0
		.amdhsa_enable_private_segment 0
		.amdhsa_system_sgpr_workgroup_id_x 1
		.amdhsa_system_sgpr_workgroup_id_y 0
		.amdhsa_system_sgpr_workgroup_id_z 1
		.amdhsa_system_sgpr_workgroup_info 0
		.amdhsa_system_vgpr_workitem_id 1
		.amdhsa_next_free_vgpr 58
		.amdhsa_next_free_sgpr 32
		.amdhsa_accum_offset 60
		.amdhsa_reserve_vcc 1
		.amdhsa_float_round_mode_32 0
		.amdhsa_float_round_mode_16_64 0
		.amdhsa_float_denorm_mode_32 3
		.amdhsa_float_denorm_mode_16_64 3
		.amdhsa_dx10_clamp 1
		.amdhsa_ieee_mode 1
		.amdhsa_fp16_overflow 0
		.amdhsa_tg_split 0
		.amdhsa_exception_fp_ieee_invalid_op 0
		.amdhsa_exception_fp_denorm_src 0
		.amdhsa_exception_fp_ieee_div_zero 0
		.amdhsa_exception_fp_ieee_overflow 0
		.amdhsa_exception_fp_ieee_underflow 0
		.amdhsa_exception_fp_ieee_inexact 0
		.amdhsa_exception_int_div_zero 0
	.end_amdhsa_kernel
	.section	.text._ZL23rocblas_trmm_lNx_kernelILi16E19rocblas_complex_numIfEPKS1_KS3_KPS1_Ev13rocblas_fill_17rocblas_diagonal_iiT1_lPT2_llSB_llPT3_lli,"axG",@progbits,_ZL23rocblas_trmm_lNx_kernelILi16E19rocblas_complex_numIfEPKS1_KS3_KPS1_Ev13rocblas_fill_17rocblas_diagonal_iiT1_lPT2_llSB_llPT3_lli,comdat
.Lfunc_end168:
	.size	_ZL23rocblas_trmm_lNx_kernelILi16E19rocblas_complex_numIfEPKS1_KS3_KPS1_Ev13rocblas_fill_17rocblas_diagonal_iiT1_lPT2_llSB_llPT3_lli, .Lfunc_end168-_ZL23rocblas_trmm_lNx_kernelILi16E19rocblas_complex_numIfEPKS1_KS3_KPS1_Ev13rocblas_fill_17rocblas_diagonal_iiT1_lPT2_llSB_llPT3_lli
                                        ; -- End function
	.set _ZL23rocblas_trmm_lNx_kernelILi16E19rocblas_complex_numIfEPKS1_KS3_KPS1_Ev13rocblas_fill_17rocblas_diagonal_iiT1_lPT2_llSB_llPT3_lli.num_vgpr, 58
	.set _ZL23rocblas_trmm_lNx_kernelILi16E19rocblas_complex_numIfEPKS1_KS3_KPS1_Ev13rocblas_fill_17rocblas_diagonal_iiT1_lPT2_llSB_llPT3_lli.num_agpr, 0
	.set _ZL23rocblas_trmm_lNx_kernelILi16E19rocblas_complex_numIfEPKS1_KS3_KPS1_Ev13rocblas_fill_17rocblas_diagonal_iiT1_lPT2_llSB_llPT3_lli.numbered_sgpr, 32
	.set _ZL23rocblas_trmm_lNx_kernelILi16E19rocblas_complex_numIfEPKS1_KS3_KPS1_Ev13rocblas_fill_17rocblas_diagonal_iiT1_lPT2_llSB_llPT3_lli.num_named_barrier, 0
	.set _ZL23rocblas_trmm_lNx_kernelILi16E19rocblas_complex_numIfEPKS1_KS3_KPS1_Ev13rocblas_fill_17rocblas_diagonal_iiT1_lPT2_llSB_llPT3_lli.private_seg_size, 0
	.set _ZL23rocblas_trmm_lNx_kernelILi16E19rocblas_complex_numIfEPKS1_KS3_KPS1_Ev13rocblas_fill_17rocblas_diagonal_iiT1_lPT2_llSB_llPT3_lli.uses_vcc, 1
	.set _ZL23rocblas_trmm_lNx_kernelILi16E19rocblas_complex_numIfEPKS1_KS3_KPS1_Ev13rocblas_fill_17rocblas_diagonal_iiT1_lPT2_llSB_llPT3_lli.uses_flat_scratch, 0
	.set _ZL23rocblas_trmm_lNx_kernelILi16E19rocblas_complex_numIfEPKS1_KS3_KPS1_Ev13rocblas_fill_17rocblas_diagonal_iiT1_lPT2_llSB_llPT3_lli.has_dyn_sized_stack, 0
	.set _ZL23rocblas_trmm_lNx_kernelILi16E19rocblas_complex_numIfEPKS1_KS3_KPS1_Ev13rocblas_fill_17rocblas_diagonal_iiT1_lPT2_llSB_llPT3_lli.has_recursion, 0
	.set _ZL23rocblas_trmm_lNx_kernelILi16E19rocblas_complex_numIfEPKS1_KS3_KPS1_Ev13rocblas_fill_17rocblas_diagonal_iiT1_lPT2_llSB_llPT3_lli.has_indirect_call, 0
	.section	.AMDGPU.csdata,"",@progbits
; Kernel info:
; codeLenInByte = 1380
; TotalNumSgprs: 38
; NumVgprs: 58
; NumAgprs: 0
; TotalNumVgprs: 58
; ScratchSize: 0
; MemoryBound: 0
; FloatMode: 240
; IeeeMode: 1
; LDSByteSize: 4096 bytes/workgroup (compile time only)
; SGPRBlocks: 4
; VGPRBlocks: 7
; NumSGPRsForWavesPerEU: 38
; NumVGPRsForWavesPerEU: 58
; AccumOffset: 60
; Occupancy: 8
; WaveLimiterHint : 1
; COMPUTE_PGM_RSRC2:SCRATCH_EN: 0
; COMPUTE_PGM_RSRC2:USER_SGPR: 2
; COMPUTE_PGM_RSRC2:TRAP_HANDLER: 0
; COMPUTE_PGM_RSRC2:TGID_X_EN: 1
; COMPUTE_PGM_RSRC2:TGID_Y_EN: 0
; COMPUTE_PGM_RSRC2:TGID_Z_EN: 1
; COMPUTE_PGM_RSRC2:TIDIG_COMP_CNT: 1
; COMPUTE_PGM_RSRC3_GFX90A:ACCUM_OFFSET: 14
; COMPUTE_PGM_RSRC3_GFX90A:TG_SPLIT: 0
	.section	.text._ZL23rocblas_trmm_lNx_kernelILi16E19rocblas_complex_numIfES1_KPKS1_KPS1_Ev13rocblas_fill_17rocblas_diagonal_iiT1_lPT2_llSB_llPT3_lli,"axG",@progbits,_ZL23rocblas_trmm_lNx_kernelILi16E19rocblas_complex_numIfES1_KPKS1_KPS1_Ev13rocblas_fill_17rocblas_diagonal_iiT1_lPT2_llSB_llPT3_lli,comdat
	.globl	_ZL23rocblas_trmm_lNx_kernelILi16E19rocblas_complex_numIfES1_KPKS1_KPS1_Ev13rocblas_fill_17rocblas_diagonal_iiT1_lPT2_llSB_llPT3_lli ; -- Begin function _ZL23rocblas_trmm_lNx_kernelILi16E19rocblas_complex_numIfES1_KPKS1_KPS1_Ev13rocblas_fill_17rocblas_diagonal_iiT1_lPT2_llSB_llPT3_lli
	.p2align	8
	.type	_ZL23rocblas_trmm_lNx_kernelILi16E19rocblas_complex_numIfES1_KPKS1_KPS1_Ev13rocblas_fill_17rocblas_diagonal_iiT1_lPT2_llSB_llPT3_lli,@function
_ZL23rocblas_trmm_lNx_kernelILi16E19rocblas_complex_numIfES1_KPKS1_KPS1_Ev13rocblas_fill_17rocblas_diagonal_iiT1_lPT2_llSB_llPT3_lli: ; @_ZL23rocblas_trmm_lNx_kernelILi16E19rocblas_complex_numIfES1_KPKS1_KPS1_Ev13rocblas_fill_17rocblas_diagonal_iiT1_lPT2_llSB_llPT3_lli
; %bb.0:
	s_load_dwordx2 s[6:7], s[0:1], 0x10
	s_mov_b32 s5, 0
	s_waitcnt lgkmcnt(0)
	v_cmp_neq_f32_e64 s[8:9], s6, 0
	v_cmp_neq_f32_e64 s[10:11], s7, 0
	s_or_b64 s[8:9], s[8:9], s[10:11]
	s_andn2_b64 vcc, exec, s[8:9]
	s_cbranch_vccnz .LBB169_15
; %bb.1:
	s_load_dwordx16 s[8:23], s[0:1], 0x20
	s_load_dwordx4 s[24:27], s[0:1], 0x0
	s_mov_b32 s4, s3
	s_lshl_b64 s[30:31], s[4:5], 3
	v_bfe_u32 v2, v0, 10, 10
	s_waitcnt lgkmcnt(0)
	s_add_u32 s14, s14, s30
	s_addc_u32 s15, s15, s31
	s_load_dwordx2 s[28:29], s[14:15], 0x0
	s_add_u32 s14, s20, s30
	s_addc_u32 s15, s21, s31
	s_load_dwordx2 s[14:15], s[14:15], 0x0
	v_and_b32_e32 v5, 0x3ff, v0
	v_lshlrev_b32_e32 v3, 4, v2
	s_mov_b32 s4, s5
	v_add_lshl_u32 v4, v3, v5, 3
	v_mov_b64_e32 v[0:1], s[4:5]
	v_cmp_gt_i32_e64 s[4:5], s26, v2
	v_cmp_gt_i32_e32 vcc, s26, v5
	ds_write2st64_b64 v4, v[0:1], v[0:1] offset1:4
	s_and_b64 s[20:21], s[4:5], vcc
	v_lshlrev_b32_e32 v0, 3, v5
	s_and_saveexec_b64 s[4:5], s[20:21]
	s_cbranch_execz .LBB169_3
; %bb.2:
	s_add_u32 s8, s8, s30
	s_addc_u32 s9, s9, s31
	s_load_dwordx2 s[8:9], s[8:9], 0x0
	v_mad_u64_u32 v[6:7], s[20:21], s10, v2, 0
	s_lshl_b64 s[12:13], s[12:13], 3
	v_mov_b32_e32 v8, v7
	s_waitcnt lgkmcnt(0)
	s_add_u32 s8, s8, s12
	v_mad_u64_u32 v[8:9], s[10:11], s11, v2, v[8:9]
	s_addc_u32 s9, s9, s13
	v_mov_b32_e32 v7, v8
	v_lshl_add_u64 v[6:7], v[6:7], 3, s[8:9]
	v_mov_b32_e32 v1, 0
	v_lshl_add_u64 v[6:7], v[6:7], 0, v[0:1]
	flat_load_dwordx2 v[6:7], v[6:7]
	s_waitcnt vmcnt(0) lgkmcnt(0)
	ds_write_b64 v4, v[6:7]
.LBB169_3:
	s_or_b64 exec, exec, s[4:5]
	s_add_i32 s3, s27, -1
	s_ashr_i32 s4, s3, 31
	s_lshr_b32 s4, s4, 28
	s_add_i32 s3, s3, s4
	s_ashr_i32 s4, s3, 4
	s_and_b32 s3, s3, -16
	s_sub_i32 s3, s27, s3
	s_cmp_ge_i32 s2, s4
	s_cselect_b32 s3, s3, 16
	s_lshl_b32 s10, s2, 4
	v_cmp_gt_i32_e64 s[2:3], s3, v2
	s_ashr_i32 s11, s10, 31
	s_and_b64 s[2:3], vcc, s[2:3]
	s_and_saveexec_b64 s[4:5], s[2:3]
	s_cbranch_execz .LBB169_5
; %bb.4:
	s_lshl_b64 s[8:9], s[18:19], 3
	s_waitcnt lgkmcnt(0)
	s_add_u32 s12, s28, s8
	s_addc_u32 s13, s29, s9
	s_mul_i32 s8, s16, s11
	s_mul_hi_u32 s9, s16, s10
	s_add_i32 s8, s9, s8
	s_mul_i32 s9, s17, s10
	s_add_i32 s9, s8, s9
	s_mul_i32 s8, s16, s10
	s_lshl_b64 s[8:9], s[8:9], 3
	s_add_u32 s8, s12, s8
	s_addc_u32 s9, s13, s9
	v_mad_u64_u32 v[6:7], s[12:13], s16, v2, 0
	v_mov_b32_e32 v8, v7
	v_mad_u64_u32 v[8:9], s[12:13], s17, v2, v[8:9]
	v_mov_b32_e32 v7, v8
	v_lshl_add_u64 v[6:7], v[6:7], 3, s[8:9]
	v_mov_b32_e32 v1, 0
	v_lshl_add_u64 v[6:7], v[6:7], 0, v[0:1]
	flat_load_dwordx2 v[6:7], v[6:7]
	v_add_u32_e32 v1, 0x800, v4
	s_waitcnt vmcnt(0) lgkmcnt(0)
	ds_write_b64 v1, v[6:7]
.LBB169_5:
	s_or_b64 exec, exec, s[4:5]
	s_cmpk_eq_i32 s25, 0x84
	s_cselect_b64 s[4:5], -1, 0
	v_cmp_eq_u32_e32 vcc, v2, v5
	s_and_b64 s[8:9], vcc, s[4:5]
	s_and_saveexec_b64 s[4:5], s[8:9]
; %bb.6:
	v_mov_b32_e32 v6, 1.0
	v_mov_b32_e32 v7, 0
	ds_write_b64 v4, v[6:7]
; %bb.7:
	s_or_b64 exec, exec, s[4:5]
	s_cmpk_lg_i32 s24, 0x79
	s_cbranch_scc0 .LBB169_9
; %bb.8:
	v_cmp_lt_u32_e32 vcc, v5, v2
	s_and_b64 s[4:5], vcc, exec
	s_cbranch_execz .LBB169_10
	s_branch .LBB169_11
.LBB169_9:
	s_mov_b64 s[4:5], 0
.LBB169_10:
	v_cmp_gt_u32_e32 vcc, v5, v2
	s_andn2_b64 s[4:5], s[4:5], exec
	s_and_b64 s[8:9], vcc, exec
	s_or_b64 s[4:5], s[4:5], s[8:9]
.LBB169_11:
	s_and_saveexec_b64 s[8:9], s[4:5]
; %bb.12:
	v_mov_b32_e32 v6, 0
	v_mov_b32_e32 v7, v6
	ds_write_b64 v4, v[6:7]
; %bb.13:
	s_or_b64 exec, exec, s[8:9]
	s_waitcnt lgkmcnt(0)
	s_barrier
	s_and_saveexec_b64 s[4:5], s[2:3]
	s_cbranch_execz .LBB169_15
; %bb.14:
	v_lshlrev_b32_e32 v1, 3, v3
	ds_read_b128 v[4:7], v1 offset:2048
	ds_read2_b64 v[8:11], v0 offset1:16
	ds_read_b128 v[12:15], v1 offset:2064
	ds_read_b128 v[16:19], v1 offset:2080
	;; [unrolled: 1-line block ×3, first 2 shown]
	ds_read2_b64 v[24:27], v0 offset0:32 offset1:48
	s_load_dwordx2 s[0:1], s[0:1], 0x60
	s_mul_i32 s2, s22, s11
	s_waitcnt lgkmcnt(0)
	v_mul_f32_e32 v3, v4, v9
	v_fmac_f32_e32 v3, v5, v8
	v_mul_f32_e32 v28, v6, v11
	v_add_f32_e32 v3, 0, v3
	v_fmac_f32_e32 v28, v7, v10
	v_add_f32_e32 v3, v3, v28
	v_mul_f32_e32 v32, v12, v25
	ds_read2_b64 v[28:31], v0 offset0:64 offset1:80
	v_fmac_f32_e32 v32, v13, v24
	v_add_f32_e32 v3, v3, v32
	v_mul_f32_e32 v32, v14, v27
	v_fmac_f32_e32 v32, v15, v26
	v_add_f32_e32 v3, v3, v32
	ds_read2_b64 v[32:35], v0 offset0:96 offset1:112
	s_waitcnt lgkmcnt(1)
	v_mul_f32_e32 v36, v16, v29
	v_fmac_f32_e32 v36, v17, v28
	v_add_f32_e32 v3, v3, v36
	v_mul_f32_e32 v36, v18, v31
	v_fmac_f32_e32 v36, v19, v30
	v_add_f32_e32 v3, v3, v36
	s_waitcnt lgkmcnt(0)
	v_mul_f32_e32 v36, v20, v33
	v_fmac_f32_e32 v36, v21, v32
	v_add_f32_e32 v3, v3, v36
	ds_read_b128 v[36:39], v1 offset:2112
	ds_read2_b64 v[40:43], v0 offset0:128 offset1:144
	v_mul_f32_e32 v44, v22, v35
	v_fmac_f32_e32 v44, v23, v34
	v_add_f32_e32 v3, v3, v44
	ds_read_b128 v[44:47], v1 offset:2128
	ds_read2_b64 v[48:51], v0 offset0:160 offset1:176
	s_waitcnt lgkmcnt(2)
	v_mul_f32_e32 v52, v36, v41
	v_fmac_f32_e32 v52, v37, v40
	v_add_f32_e32 v3, v3, v52
	v_mul_f32_e32 v52, v38, v43
	v_fmac_f32_e32 v52, v39, v42
	v_add_f32_e32 v3, v3, v52
	s_waitcnt lgkmcnt(0)
	v_mul_f32_e32 v52, v44, v49
	v_fmac_f32_e32 v52, v45, v48
	v_add_f32_e32 v3, v3, v52
	v_mul_f32_e32 v52, v46, v51
	v_fmac_f32_e32 v52, v47, v50
	v_mul_f32_e32 v5, v5, v9
	v_add_f32_e32 v3, v3, v52
	ds_read2_b64 v[52:55], v0 offset0:192 offset1:208
	v_fma_f32 v56, v4, v8, -v5
	v_mul_f32_e32 v4, v7, v11
	v_fma_f32 v57, v6, v10, -v4
	ds_read_b128 v[4:7], v1 offset:2144
	ds_read_b128 v[8:11], v1 offset:2160
	v_mul_f32_e32 v1, v13, v25
	v_fma_f32 v1, v12, v24, -v1
	v_mul_f32_e32 v12, v15, v27
	v_fma_f32 v25, v14, v26, -v12
	ds_read2_b64 v[12:15], v0 offset0:224 offset1:240
	s_waitcnt lgkmcnt(2)
	v_mul_f32_e32 v24, v4, v53
	v_fmac_f32_e32 v24, v5, v52
	v_add_f32_e32 v3, v3, v24
	v_mul_f32_e32 v24, v6, v55
	v_fmac_f32_e32 v24, v7, v54
	v_add_f32_e32 v3, v3, v24
	s_waitcnt lgkmcnt(0)
	v_mul_f32_e32 v24, v8, v13
	v_fmac_f32_e32 v24, v9, v12
	v_add_f32_e32 v3, v3, v24
	v_mul_f32_e32 v24, v10, v15
	v_fmac_f32_e32 v24, v11, v14
	v_add_f32_e32 v24, v3, v24
	v_add_f32_e32 v3, 0, v56
	;; [unrolled: 1-line block ×4, first 2 shown]
	v_mul_f32_e32 v3, v17, v29
	v_add_f32_e32 v1, v1, v25
	v_fma_f32 v3, v16, v28, -v3
	v_add_f32_e32 v1, v1, v3
	v_mul_f32_e32 v3, v19, v31
	v_fma_f32 v3, v18, v30, -v3
	v_add_f32_e32 v1, v1, v3
	v_mul_f32_e32 v3, v21, v33
	v_fma_f32 v3, v20, v32, -v3
	v_add_f32_e32 v1, v1, v3
	v_mul_f32_e32 v3, v23, v35
	v_fma_f32 v3, v22, v34, -v3
	v_add_f32_e32 v1, v1, v3
	v_mul_f32_e32 v3, v37, v41
	v_fma_f32 v3, v36, v40, -v3
	v_add_f32_e32 v1, v1, v3
	v_mul_f32_e32 v3, v39, v43
	v_fma_f32 v3, v38, v42, -v3
	v_add_f32_e32 v1, v1, v3
	v_mul_f32_e32 v3, v45, v49
	v_fma_f32 v3, v44, v48, -v3
	v_add_f32_e32 v1, v1, v3
	v_mul_f32_e32 v3, v47, v51
	v_fma_f32 v3, v46, v50, -v3
	v_add_f32_e32 v1, v1, v3
	v_mul_f32_e32 v3, v5, v53
	v_fma_f32 v3, v4, v52, -v3
	v_add_f32_e32 v1, v1, v3
	v_mul_f32_e32 v3, v7, v55
	s_lshl_b64 s[0:1], s[0:1], 3
	v_fma_f32 v3, v6, v54, -v3
	s_mul_hi_u32 s3, s22, s10
	s_add_u32 s5, s14, s0
	v_add_f32_e32 v1, v1, v3
	v_mul_f32_e32 v3, v9, v13
	s_mul_i32 s4, s23, s10
	s_addc_u32 s8, s15, s1
	s_add_i32 s0, s3, s2
	v_fma_f32 v3, v8, v12, -v3
	s_add_i32 s1, s0, s4
	s_mul_i32 s0, s22, s10
	v_add_f32_e32 v1, v1, v3
	v_mul_f32_e32 v3, v11, v15
	v_mad_u64_u32 v[6:7], s[2:3], s22, v2, 0
	s_lshl_b64 s[0:1], s[0:1], 3
	v_fma_f32 v3, v10, v14, -v3
	v_mov_b32_e32 v8, v7
	s_add_u32 s0, s5, s0
	v_add_f32_e32 v4, v1, v3
	v_mad_u64_u32 v[2:3], s[2:3], s23, v2, v[8:9]
	s_addc_u32 s1, s8, s1
	v_mov_b32_e32 v7, v2
	v_lshl_add_u64 v[2:3], v[6:7], 3, s[0:1]
	v_mov_b32_e32 v1, 0
	v_lshl_add_u64 v[0:1], v[2:3], 0, v[0:1]
	v_pk_mul_f32 v[2:3], s[6:7], v[24:25] op_sel:[1,0] op_sel_hi:[0,0]
	v_pk_fma_f32 v[6:7], s[6:7], v[4:5], v[2:3] neg_lo:[0,0,1] neg_hi:[0,0,1]
	v_pk_fma_f32 v[2:3], s[6:7], v[4:5], v[2:3] op_sel_hi:[1,0,1]
	s_nop 0
	v_mov_b32_e32 v7, v3
	flat_store_dwordx2 v[0:1], v[6:7]
.LBB169_15:
	s_endpgm
	.section	.rodata,"a",@progbits
	.p2align	6, 0x0
	.amdhsa_kernel _ZL23rocblas_trmm_lNx_kernelILi16E19rocblas_complex_numIfES1_KPKS1_KPS1_Ev13rocblas_fill_17rocblas_diagonal_iiT1_lPT2_llSB_llPT3_lli
		.amdhsa_group_segment_fixed_size 4096
		.amdhsa_private_segment_fixed_size 0
		.amdhsa_kernarg_size 108
		.amdhsa_user_sgpr_count 2
		.amdhsa_user_sgpr_dispatch_ptr 0
		.amdhsa_user_sgpr_queue_ptr 0
		.amdhsa_user_sgpr_kernarg_segment_ptr 1
		.amdhsa_user_sgpr_dispatch_id 0
		.amdhsa_user_sgpr_kernarg_preload_length 0
		.amdhsa_user_sgpr_kernarg_preload_offset 0
		.amdhsa_user_sgpr_private_segment_size 0
		.amdhsa_uses_dynamic_stack 0
		.amdhsa_enable_private_segment 0
		.amdhsa_system_sgpr_workgroup_id_x 1
		.amdhsa_system_sgpr_workgroup_id_y 0
		.amdhsa_system_sgpr_workgroup_id_z 1
		.amdhsa_system_sgpr_workgroup_info 0
		.amdhsa_system_vgpr_workitem_id 1
		.amdhsa_next_free_vgpr 58
		.amdhsa_next_free_sgpr 32
		.amdhsa_accum_offset 60
		.amdhsa_reserve_vcc 1
		.amdhsa_float_round_mode_32 0
		.amdhsa_float_round_mode_16_64 0
		.amdhsa_float_denorm_mode_32 3
		.amdhsa_float_denorm_mode_16_64 3
		.amdhsa_dx10_clamp 1
		.amdhsa_ieee_mode 1
		.amdhsa_fp16_overflow 0
		.amdhsa_tg_split 0
		.amdhsa_exception_fp_ieee_invalid_op 0
		.amdhsa_exception_fp_denorm_src 0
		.amdhsa_exception_fp_ieee_div_zero 0
		.amdhsa_exception_fp_ieee_overflow 0
		.amdhsa_exception_fp_ieee_underflow 0
		.amdhsa_exception_fp_ieee_inexact 0
		.amdhsa_exception_int_div_zero 0
	.end_amdhsa_kernel
	.section	.text._ZL23rocblas_trmm_lNx_kernelILi16E19rocblas_complex_numIfES1_KPKS1_KPS1_Ev13rocblas_fill_17rocblas_diagonal_iiT1_lPT2_llSB_llPT3_lli,"axG",@progbits,_ZL23rocblas_trmm_lNx_kernelILi16E19rocblas_complex_numIfES1_KPKS1_KPS1_Ev13rocblas_fill_17rocblas_diagonal_iiT1_lPT2_llSB_llPT3_lli,comdat
.Lfunc_end169:
	.size	_ZL23rocblas_trmm_lNx_kernelILi16E19rocblas_complex_numIfES1_KPKS1_KPS1_Ev13rocblas_fill_17rocblas_diagonal_iiT1_lPT2_llSB_llPT3_lli, .Lfunc_end169-_ZL23rocblas_trmm_lNx_kernelILi16E19rocblas_complex_numIfES1_KPKS1_KPS1_Ev13rocblas_fill_17rocblas_diagonal_iiT1_lPT2_llSB_llPT3_lli
                                        ; -- End function
	.set _ZL23rocblas_trmm_lNx_kernelILi16E19rocblas_complex_numIfES1_KPKS1_KPS1_Ev13rocblas_fill_17rocblas_diagonal_iiT1_lPT2_llSB_llPT3_lli.num_vgpr, 58
	.set _ZL23rocblas_trmm_lNx_kernelILi16E19rocblas_complex_numIfES1_KPKS1_KPS1_Ev13rocblas_fill_17rocblas_diagonal_iiT1_lPT2_llSB_llPT3_lli.num_agpr, 0
	.set _ZL23rocblas_trmm_lNx_kernelILi16E19rocblas_complex_numIfES1_KPKS1_KPS1_Ev13rocblas_fill_17rocblas_diagonal_iiT1_lPT2_llSB_llPT3_lli.numbered_sgpr, 32
	.set _ZL23rocblas_trmm_lNx_kernelILi16E19rocblas_complex_numIfES1_KPKS1_KPS1_Ev13rocblas_fill_17rocblas_diagonal_iiT1_lPT2_llSB_llPT3_lli.num_named_barrier, 0
	.set _ZL23rocblas_trmm_lNx_kernelILi16E19rocblas_complex_numIfES1_KPKS1_KPS1_Ev13rocblas_fill_17rocblas_diagonal_iiT1_lPT2_llSB_llPT3_lli.private_seg_size, 0
	.set _ZL23rocblas_trmm_lNx_kernelILi16E19rocblas_complex_numIfES1_KPKS1_KPS1_Ev13rocblas_fill_17rocblas_diagonal_iiT1_lPT2_llSB_llPT3_lli.uses_vcc, 1
	.set _ZL23rocblas_trmm_lNx_kernelILi16E19rocblas_complex_numIfES1_KPKS1_KPS1_Ev13rocblas_fill_17rocblas_diagonal_iiT1_lPT2_llSB_llPT3_lli.uses_flat_scratch, 0
	.set _ZL23rocblas_trmm_lNx_kernelILi16E19rocblas_complex_numIfES1_KPKS1_KPS1_Ev13rocblas_fill_17rocblas_diagonal_iiT1_lPT2_llSB_llPT3_lli.has_dyn_sized_stack, 0
	.set _ZL23rocblas_trmm_lNx_kernelILi16E19rocblas_complex_numIfES1_KPKS1_KPS1_Ev13rocblas_fill_17rocblas_diagonal_iiT1_lPT2_llSB_llPT3_lli.has_recursion, 0
	.set _ZL23rocblas_trmm_lNx_kernelILi16E19rocblas_complex_numIfES1_KPKS1_KPS1_Ev13rocblas_fill_17rocblas_diagonal_iiT1_lPT2_llSB_llPT3_lli.has_indirect_call, 0
	.section	.AMDGPU.csdata,"",@progbits
; Kernel info:
; codeLenInByte = 1344
; TotalNumSgprs: 38
; NumVgprs: 58
; NumAgprs: 0
; TotalNumVgprs: 58
; ScratchSize: 0
; MemoryBound: 0
; FloatMode: 240
; IeeeMode: 1
; LDSByteSize: 4096 bytes/workgroup (compile time only)
; SGPRBlocks: 4
; VGPRBlocks: 7
; NumSGPRsForWavesPerEU: 38
; NumVGPRsForWavesPerEU: 58
; AccumOffset: 60
; Occupancy: 8
; WaveLimiterHint : 1
; COMPUTE_PGM_RSRC2:SCRATCH_EN: 0
; COMPUTE_PGM_RSRC2:USER_SGPR: 2
; COMPUTE_PGM_RSRC2:TRAP_HANDLER: 0
; COMPUTE_PGM_RSRC2:TGID_X_EN: 1
; COMPUTE_PGM_RSRC2:TGID_Y_EN: 0
; COMPUTE_PGM_RSRC2:TGID_Z_EN: 1
; COMPUTE_PGM_RSRC2:TIDIG_COMP_CNT: 1
; COMPUTE_PGM_RSRC3_GFX90A:ACCUM_OFFSET: 14
; COMPUTE_PGM_RSRC3_GFX90A:TG_SPLIT: 0
	.section	.text._ZL23rocblas_trmm_lTx_kernelILi16ELb0E19rocblas_complex_numIfEPKS1_KS3_KPS1_Ev13rocblas_fill_17rocblas_diagonal_iiT2_lPT3_llSB_llPT4_lli,"axG",@progbits,_ZL23rocblas_trmm_lTx_kernelILi16ELb0E19rocblas_complex_numIfEPKS1_KS3_KPS1_Ev13rocblas_fill_17rocblas_diagonal_iiT2_lPT3_llSB_llPT4_lli,comdat
	.globl	_ZL23rocblas_trmm_lTx_kernelILi16ELb0E19rocblas_complex_numIfEPKS1_KS3_KPS1_Ev13rocblas_fill_17rocblas_diagonal_iiT2_lPT3_llSB_llPT4_lli ; -- Begin function _ZL23rocblas_trmm_lTx_kernelILi16ELb0E19rocblas_complex_numIfEPKS1_KS3_KPS1_Ev13rocblas_fill_17rocblas_diagonal_iiT2_lPT3_llSB_llPT4_lli
	.p2align	8
	.type	_ZL23rocblas_trmm_lTx_kernelILi16ELb0E19rocblas_complex_numIfEPKS1_KS3_KPS1_Ev13rocblas_fill_17rocblas_diagonal_iiT2_lPT3_llSB_llPT4_lli,@function
_ZL23rocblas_trmm_lTx_kernelILi16ELb0E19rocblas_complex_numIfEPKS1_KS3_KPS1_Ev13rocblas_fill_17rocblas_diagonal_iiT2_lPT3_llSB_llPT4_lli: ; @_ZL23rocblas_trmm_lTx_kernelILi16ELb0E19rocblas_complex_numIfEPKS1_KS3_KPS1_Ev13rocblas_fill_17rocblas_diagonal_iiT2_lPT3_llSB_llPT4_lli
; %bb.0:
	s_load_dwordx16 s[4:19], s[0:1], 0x10
	s_mov_b32 s26, s3
	s_mov_b32 s27, 0
	s_waitcnt lgkmcnt(0)
	s_mul_i32 s3, s7, s3
	s_mul_hi_u32 s7, s6, s26
	s_add_i32 s7, s7, s3
	s_mul_i32 s6, s6, s26
	s_lshl_b64 s[6:7], s[6:7], 3
	s_add_u32 s4, s4, s6
	s_addc_u32 s5, s5, s7
	s_load_dwordx2 s[24:25], s[4:5], 0x0
	s_waitcnt lgkmcnt(0)
	v_cmp_neq_f32_e64 s[4:5], s24, 0
	v_cmp_neq_f32_e64 s[6:7], s25, 0
	s_or_b64 s[4:5], s[4:5], s[6:7]
	s_andn2_b64 vcc, exec, s[4:5]
	s_cbranch_vccnz .LBB170_15
; %bb.1:
	s_load_dwordx4 s[20:23], s[0:1], 0x0
	s_load_dwordx4 s[4:7], s[0:1], 0x50
	s_lshl_b64 s[30:31], s[26:27], 3
	s_add_u32 s8, s8, s30
	s_addc_u32 s9, s9, s31
	s_load_dwordx2 s[28:29], s[8:9], 0x0
	s_add_u32 s8, s14, s30
	s_addc_u32 s9, s15, s31
	s_waitcnt lgkmcnt(0)
	s_add_u32 s4, s4, s30
	s_addc_u32 s5, s5, s31
	s_load_dwordx2 s[14:15], s[8:9], 0x0
	v_bfe_u32 v2, v0, 10, 10
	s_load_dwordx2 s[8:9], s[4:5], 0x0
	v_and_b32_e32 v5, 0x3ff, v0
	v_lshlrev_b32_e32 v3, 4, v2
	s_mov_b32 s26, s27
	v_add_lshl_u32 v4, v3, v5, 3
	v_mov_b64_e32 v[0:1], s[26:27]
	v_cmp_gt_i32_e64 s[4:5], s22, v2
	v_cmp_gt_i32_e32 vcc, s22, v5
	ds_write2st64_b64 v4, v[0:1], v[0:1] offset1:4
	s_and_b64 s[26:27], s[4:5], vcc
	v_lshlrev_b32_e32 v0, 3, v5
	s_waitcnt lgkmcnt(0)
	s_barrier
	s_and_saveexec_b64 s[4:5], s[26:27]
	s_cbranch_execz .LBB170_3
; %bb.2:
	v_mad_u64_u32 v[6:7], s[26:27], s10, v2, 0
	s_lshl_b64 s[12:13], s[12:13], 3
	v_mov_b32_e32 v8, v7
	s_add_u32 s12, s28, s12
	v_mad_u64_u32 v[8:9], s[10:11], s11, v2, v[8:9]
	s_addc_u32 s13, s29, s13
	v_mov_b32_e32 v7, v8
	v_lshl_add_u64 v[6:7], v[6:7], 3, s[12:13]
	v_mov_b32_e32 v1, 0
	v_lshl_add_u64 v[6:7], v[6:7], 0, v[0:1]
	flat_load_dwordx2 v[6:7], v[6:7]
	v_lshlrev_b32_e32 v1, 3, v2
	v_lshl_add_u32 v1, v5, 7, v1
	s_waitcnt vmcnt(0) lgkmcnt(0)
	ds_write_b64 v1, v[6:7]
.LBB170_3:
	s_or_b64 exec, exec, s[4:5]
	s_add_i32 s3, s23, -1
	s_ashr_i32 s4, s3, 31
	s_lshr_b32 s4, s4, 28
	s_add_i32 s3, s3, s4
	s_ashr_i32 s4, s3, 4
	s_and_b32 s3, s3, -16
	s_sub_i32 s3, s23, s3
	s_cmp_ge_i32 s2, s4
	s_cselect_b32 s3, s3, 16
	s_lshl_b32 s12, s2, 4
	v_cmp_gt_i32_e64 s[2:3], s3, v2
	s_ashr_i32 s13, s12, 31
	s_and_b64 s[2:3], vcc, s[2:3]
	s_and_saveexec_b64 s[4:5], s[2:3]
	s_cbranch_execz .LBB170_5
; %bb.4:
	s_lshl_b64 s[10:11], s[18:19], 3
	s_add_u32 s14, s14, s10
	s_addc_u32 s15, s15, s11
	s_mul_i32 s10, s16, s13
	s_mul_hi_u32 s11, s16, s12
	s_add_i32 s10, s11, s10
	s_mul_i32 s11, s17, s12
	s_add_i32 s11, s10, s11
	s_mul_i32 s10, s16, s12
	s_lshl_b64 s[10:11], s[10:11], 3
	s_add_u32 s10, s14, s10
	s_addc_u32 s11, s15, s11
	v_mad_u64_u32 v[6:7], s[14:15], s16, v2, 0
	v_mov_b32_e32 v8, v7
	v_mad_u64_u32 v[8:9], s[14:15], s17, v2, v[8:9]
	v_mov_b32_e32 v7, v8
	v_lshl_add_u64 v[6:7], v[6:7], 3, s[10:11]
	v_mov_b32_e32 v1, 0
	v_lshl_add_u64 v[6:7], v[6:7], 0, v[0:1]
	flat_load_dwordx2 v[6:7], v[6:7]
	v_add_u32_e32 v1, 0x800, v4
	s_waitcnt vmcnt(0) lgkmcnt(0)
	ds_write_b64 v1, v[6:7]
.LBB170_5:
	s_or_b64 exec, exec, s[4:5]
	s_cmpk_eq_i32 s21, 0x84
	s_cselect_b64 s[4:5], -1, 0
	v_cmp_eq_u32_e32 vcc, v2, v5
	s_and_b64 s[10:11], vcc, s[4:5]
	s_and_saveexec_b64 s[4:5], s[10:11]
; %bb.6:
	v_mov_b32_e32 v6, 1.0
	v_mov_b32_e32 v7, 0
	ds_write_b64 v4, v[6:7]
; %bb.7:
	s_or_b64 exec, exec, s[4:5]
	s_cmpk_lg_i32 s20, 0x7a
	s_waitcnt lgkmcnt(0)
	s_barrier
	s_cbranch_scc0 .LBB170_9
; %bb.8:
	v_cmp_lt_u32_e32 vcc, v5, v2
	s_and_b64 s[4:5], vcc, exec
	s_cbranch_execz .LBB170_10
	s_branch .LBB170_11
.LBB170_9:
	s_mov_b64 s[4:5], 0
.LBB170_10:
	v_cmp_gt_u32_e32 vcc, v5, v2
	s_andn2_b64 s[4:5], s[4:5], exec
	s_and_b64 s[10:11], vcc, exec
	s_or_b64 s[4:5], s[4:5], s[10:11]
.LBB170_11:
	s_and_saveexec_b64 s[10:11], s[4:5]
; %bb.12:
	v_mov_b32_e32 v6, 0
	v_mov_b32_e32 v7, v6
	ds_write_b64 v4, v[6:7]
; %bb.13:
	s_or_b64 exec, exec, s[10:11]
	s_waitcnt lgkmcnt(0)
	s_barrier
	s_and_saveexec_b64 s[4:5], s[2:3]
	s_cbranch_execz .LBB170_15
; %bb.14:
	v_lshlrev_b32_e32 v1, 3, v3
	ds_read_b128 v[4:7], v1 offset:2048
	ds_read2_b64 v[8:11], v0 offset1:16
	ds_read_b128 v[12:15], v1 offset:2064
	ds_read_b128 v[16:19], v1 offset:2080
	;; [unrolled: 1-line block ×3, first 2 shown]
	ds_read2_b64 v[24:27], v0 offset0:32 offset1:48
	s_load_dwordx2 s[0:1], s[0:1], 0x60
	s_mul_i32 s2, s6, s13
	s_waitcnt lgkmcnt(0)
	v_mul_f32_e32 v3, v4, v9
	v_fmac_f32_e32 v3, v5, v8
	v_mul_f32_e32 v28, v6, v11
	v_add_f32_e32 v3, 0, v3
	v_fmac_f32_e32 v28, v7, v10
	v_add_f32_e32 v3, v3, v28
	v_mul_f32_e32 v32, v12, v25
	ds_read2_b64 v[28:31], v0 offset0:64 offset1:80
	v_fmac_f32_e32 v32, v13, v24
	v_add_f32_e32 v3, v3, v32
	v_mul_f32_e32 v32, v14, v27
	v_fmac_f32_e32 v32, v15, v26
	v_add_f32_e32 v3, v3, v32
	ds_read2_b64 v[32:35], v0 offset0:96 offset1:112
	s_waitcnt lgkmcnt(1)
	v_mul_f32_e32 v36, v16, v29
	v_fmac_f32_e32 v36, v17, v28
	v_add_f32_e32 v3, v3, v36
	v_mul_f32_e32 v36, v18, v31
	v_fmac_f32_e32 v36, v19, v30
	v_add_f32_e32 v3, v3, v36
	s_waitcnt lgkmcnt(0)
	v_mul_f32_e32 v36, v20, v33
	v_fmac_f32_e32 v36, v21, v32
	v_add_f32_e32 v3, v3, v36
	ds_read_b128 v[36:39], v1 offset:2112
	ds_read2_b64 v[40:43], v0 offset0:128 offset1:144
	v_mul_f32_e32 v44, v22, v35
	v_fmac_f32_e32 v44, v23, v34
	v_add_f32_e32 v3, v3, v44
	ds_read_b128 v[44:47], v1 offset:2128
	ds_read2_b64 v[48:51], v0 offset0:160 offset1:176
	s_waitcnt lgkmcnt(2)
	v_mul_f32_e32 v52, v36, v41
	v_fmac_f32_e32 v52, v37, v40
	v_add_f32_e32 v3, v3, v52
	v_mul_f32_e32 v52, v38, v43
	v_fmac_f32_e32 v52, v39, v42
	v_add_f32_e32 v3, v3, v52
	s_waitcnt lgkmcnt(0)
	v_mul_f32_e32 v52, v44, v49
	v_fmac_f32_e32 v52, v45, v48
	v_add_f32_e32 v3, v3, v52
	v_mul_f32_e32 v52, v46, v51
	v_fmac_f32_e32 v52, v47, v50
	v_mul_f32_e32 v5, v5, v9
	v_add_f32_e32 v3, v3, v52
	ds_read2_b64 v[52:55], v0 offset0:192 offset1:208
	v_fma_f32 v56, v4, v8, -v5
	v_mul_f32_e32 v4, v7, v11
	v_fma_f32 v57, v6, v10, -v4
	ds_read_b128 v[4:7], v1 offset:2144
	ds_read_b128 v[8:11], v1 offset:2160
	v_mul_f32_e32 v1, v13, v25
	v_fma_f32 v1, v12, v24, -v1
	v_mul_f32_e32 v12, v15, v27
	v_fma_f32 v25, v14, v26, -v12
	ds_read2_b64 v[12:15], v0 offset0:224 offset1:240
	s_waitcnt lgkmcnt(2)
	v_mul_f32_e32 v24, v4, v53
	v_fmac_f32_e32 v24, v5, v52
	v_add_f32_e32 v3, v3, v24
	v_mul_f32_e32 v24, v6, v55
	v_fmac_f32_e32 v24, v7, v54
	v_add_f32_e32 v3, v3, v24
	s_waitcnt lgkmcnt(0)
	v_mul_f32_e32 v24, v8, v13
	v_fmac_f32_e32 v24, v9, v12
	v_add_f32_e32 v3, v3, v24
	v_mul_f32_e32 v24, v10, v15
	v_fmac_f32_e32 v24, v11, v14
	v_add_f32_e32 v24, v3, v24
	v_add_f32_e32 v3, 0, v56
	v_add_f32_e32 v3, v3, v57
	v_add_f32_e32 v1, v3, v1
	v_mul_f32_e32 v3, v17, v29
	v_add_f32_e32 v1, v1, v25
	v_fma_f32 v3, v16, v28, -v3
	v_add_f32_e32 v1, v1, v3
	v_mul_f32_e32 v3, v19, v31
	v_fma_f32 v3, v18, v30, -v3
	v_add_f32_e32 v1, v1, v3
	v_mul_f32_e32 v3, v21, v33
	;; [unrolled: 3-line block ×9, first 2 shown]
	s_lshl_b64 s[0:1], s[0:1], 3
	v_fma_f32 v3, v6, v54, -v3
	s_mul_hi_u32 s3, s6, s12
	s_add_u32 s5, s8, s0
	v_add_f32_e32 v1, v1, v3
	v_mul_f32_e32 v3, v9, v13
	s_mul_i32 s4, s7, s12
	s_addc_u32 s8, s9, s1
	s_add_i32 s0, s3, s2
	v_fma_f32 v3, v8, v12, -v3
	s_add_i32 s1, s0, s4
	s_mul_i32 s0, s6, s12
	v_add_f32_e32 v1, v1, v3
	v_mul_f32_e32 v3, v11, v15
	v_mad_u64_u32 v[6:7], s[2:3], s6, v2, 0
	s_lshl_b64 s[0:1], s[0:1], 3
	v_fma_f32 v3, v10, v14, -v3
	v_mov_b32_e32 v8, v7
	s_add_u32 s0, s5, s0
	v_add_f32_e32 v4, v1, v3
	v_mad_u64_u32 v[2:3], s[2:3], s7, v2, v[8:9]
	s_addc_u32 s1, s8, s1
	v_mov_b32_e32 v7, v2
	v_lshl_add_u64 v[2:3], v[6:7], 3, s[0:1]
	v_mov_b32_e32 v1, 0
	v_lshl_add_u64 v[0:1], v[2:3], 0, v[0:1]
	v_pk_mul_f32 v[2:3], s[24:25], v[24:25] op_sel:[1,0] op_sel_hi:[0,0]
	v_pk_fma_f32 v[6:7], s[24:25], v[4:5], v[2:3] neg_lo:[0,0,1] neg_hi:[0,0,1]
	v_pk_fma_f32 v[2:3], s[24:25], v[4:5], v[2:3] op_sel_hi:[1,0,1]
	s_nop 0
	v_mov_b32_e32 v7, v3
	flat_store_dwordx2 v[0:1], v[6:7]
.LBB170_15:
	s_endpgm
	.section	.rodata,"a",@progbits
	.p2align	6, 0x0
	.amdhsa_kernel _ZL23rocblas_trmm_lTx_kernelILi16ELb0E19rocblas_complex_numIfEPKS1_KS3_KPS1_Ev13rocblas_fill_17rocblas_diagonal_iiT2_lPT3_llSB_llPT4_lli
		.amdhsa_group_segment_fixed_size 4096
		.amdhsa_private_segment_fixed_size 0
		.amdhsa_kernarg_size 108
		.amdhsa_user_sgpr_count 2
		.amdhsa_user_sgpr_dispatch_ptr 0
		.amdhsa_user_sgpr_queue_ptr 0
		.amdhsa_user_sgpr_kernarg_segment_ptr 1
		.amdhsa_user_sgpr_dispatch_id 0
		.amdhsa_user_sgpr_kernarg_preload_length 0
		.amdhsa_user_sgpr_kernarg_preload_offset 0
		.amdhsa_user_sgpr_private_segment_size 0
		.amdhsa_uses_dynamic_stack 0
		.amdhsa_enable_private_segment 0
		.amdhsa_system_sgpr_workgroup_id_x 1
		.amdhsa_system_sgpr_workgroup_id_y 0
		.amdhsa_system_sgpr_workgroup_id_z 1
		.amdhsa_system_sgpr_workgroup_info 0
		.amdhsa_system_vgpr_workitem_id 1
		.amdhsa_next_free_vgpr 58
		.amdhsa_next_free_sgpr 32
		.amdhsa_accum_offset 60
		.amdhsa_reserve_vcc 1
		.amdhsa_float_round_mode_32 0
		.amdhsa_float_round_mode_16_64 0
		.amdhsa_float_denorm_mode_32 3
		.amdhsa_float_denorm_mode_16_64 3
		.amdhsa_dx10_clamp 1
		.amdhsa_ieee_mode 1
		.amdhsa_fp16_overflow 0
		.amdhsa_tg_split 0
		.amdhsa_exception_fp_ieee_invalid_op 0
		.amdhsa_exception_fp_denorm_src 0
		.amdhsa_exception_fp_ieee_div_zero 0
		.amdhsa_exception_fp_ieee_overflow 0
		.amdhsa_exception_fp_ieee_underflow 0
		.amdhsa_exception_fp_ieee_inexact 0
		.amdhsa_exception_int_div_zero 0
	.end_amdhsa_kernel
	.section	.text._ZL23rocblas_trmm_lTx_kernelILi16ELb0E19rocblas_complex_numIfEPKS1_KS3_KPS1_Ev13rocblas_fill_17rocblas_diagonal_iiT2_lPT3_llSB_llPT4_lli,"axG",@progbits,_ZL23rocblas_trmm_lTx_kernelILi16ELb0E19rocblas_complex_numIfEPKS1_KS3_KPS1_Ev13rocblas_fill_17rocblas_diagonal_iiT2_lPT3_llSB_llPT4_lli,comdat
.Lfunc_end170:
	.size	_ZL23rocblas_trmm_lTx_kernelILi16ELb0E19rocblas_complex_numIfEPKS1_KS3_KPS1_Ev13rocblas_fill_17rocblas_diagonal_iiT2_lPT3_llSB_llPT4_lli, .Lfunc_end170-_ZL23rocblas_trmm_lTx_kernelILi16ELb0E19rocblas_complex_numIfEPKS1_KS3_KPS1_Ev13rocblas_fill_17rocblas_diagonal_iiT2_lPT3_llSB_llPT4_lli
                                        ; -- End function
	.set _ZL23rocblas_trmm_lTx_kernelILi16ELb0E19rocblas_complex_numIfEPKS1_KS3_KPS1_Ev13rocblas_fill_17rocblas_diagonal_iiT2_lPT3_llSB_llPT4_lli.num_vgpr, 58
	.set _ZL23rocblas_trmm_lTx_kernelILi16ELb0E19rocblas_complex_numIfEPKS1_KS3_KPS1_Ev13rocblas_fill_17rocblas_diagonal_iiT2_lPT3_llSB_llPT4_lli.num_agpr, 0
	.set _ZL23rocblas_trmm_lTx_kernelILi16ELb0E19rocblas_complex_numIfEPKS1_KS3_KPS1_Ev13rocblas_fill_17rocblas_diagonal_iiT2_lPT3_llSB_llPT4_lli.numbered_sgpr, 32
	.set _ZL23rocblas_trmm_lTx_kernelILi16ELb0E19rocblas_complex_numIfEPKS1_KS3_KPS1_Ev13rocblas_fill_17rocblas_diagonal_iiT2_lPT3_llSB_llPT4_lli.num_named_barrier, 0
	.set _ZL23rocblas_trmm_lTx_kernelILi16ELb0E19rocblas_complex_numIfEPKS1_KS3_KPS1_Ev13rocblas_fill_17rocblas_diagonal_iiT2_lPT3_llSB_llPT4_lli.private_seg_size, 0
	.set _ZL23rocblas_trmm_lTx_kernelILi16ELb0E19rocblas_complex_numIfEPKS1_KS3_KPS1_Ev13rocblas_fill_17rocblas_diagonal_iiT2_lPT3_llSB_llPT4_lli.uses_vcc, 1
	.set _ZL23rocblas_trmm_lTx_kernelILi16ELb0E19rocblas_complex_numIfEPKS1_KS3_KPS1_Ev13rocblas_fill_17rocblas_diagonal_iiT2_lPT3_llSB_llPT4_lli.uses_flat_scratch, 0
	.set _ZL23rocblas_trmm_lTx_kernelILi16ELb0E19rocblas_complex_numIfEPKS1_KS3_KPS1_Ev13rocblas_fill_17rocblas_diagonal_iiT2_lPT3_llSB_llPT4_lli.has_dyn_sized_stack, 0
	.set _ZL23rocblas_trmm_lTx_kernelILi16ELb0E19rocblas_complex_numIfEPKS1_KS3_KPS1_Ev13rocblas_fill_17rocblas_diagonal_iiT2_lPT3_llSB_llPT4_lli.has_recursion, 0
	.set _ZL23rocblas_trmm_lTx_kernelILi16ELb0E19rocblas_complex_numIfEPKS1_KS3_KPS1_Ev13rocblas_fill_17rocblas_diagonal_iiT2_lPT3_llSB_llPT4_lli.has_indirect_call, 0
	.section	.AMDGPU.csdata,"",@progbits
; Kernel info:
; codeLenInByte = 1404
; TotalNumSgprs: 38
; NumVgprs: 58
; NumAgprs: 0
; TotalNumVgprs: 58
; ScratchSize: 0
; MemoryBound: 0
; FloatMode: 240
; IeeeMode: 1
; LDSByteSize: 4096 bytes/workgroup (compile time only)
; SGPRBlocks: 4
; VGPRBlocks: 7
; NumSGPRsForWavesPerEU: 38
; NumVGPRsForWavesPerEU: 58
; AccumOffset: 60
; Occupancy: 8
; WaveLimiterHint : 1
; COMPUTE_PGM_RSRC2:SCRATCH_EN: 0
; COMPUTE_PGM_RSRC2:USER_SGPR: 2
; COMPUTE_PGM_RSRC2:TRAP_HANDLER: 0
; COMPUTE_PGM_RSRC2:TGID_X_EN: 1
; COMPUTE_PGM_RSRC2:TGID_Y_EN: 0
; COMPUTE_PGM_RSRC2:TGID_Z_EN: 1
; COMPUTE_PGM_RSRC2:TIDIG_COMP_CNT: 1
; COMPUTE_PGM_RSRC3_GFX90A:ACCUM_OFFSET: 14
; COMPUTE_PGM_RSRC3_GFX90A:TG_SPLIT: 0
	.section	.text._ZL23rocblas_trmm_lTx_kernelILi16ELb0E19rocblas_complex_numIfES1_KPKS1_KPS1_Ev13rocblas_fill_17rocblas_diagonal_iiT2_lPT3_llSB_llPT4_lli,"axG",@progbits,_ZL23rocblas_trmm_lTx_kernelILi16ELb0E19rocblas_complex_numIfES1_KPKS1_KPS1_Ev13rocblas_fill_17rocblas_diagonal_iiT2_lPT3_llSB_llPT4_lli,comdat
	.globl	_ZL23rocblas_trmm_lTx_kernelILi16ELb0E19rocblas_complex_numIfES1_KPKS1_KPS1_Ev13rocblas_fill_17rocblas_diagonal_iiT2_lPT3_llSB_llPT4_lli ; -- Begin function _ZL23rocblas_trmm_lTx_kernelILi16ELb0E19rocblas_complex_numIfES1_KPKS1_KPS1_Ev13rocblas_fill_17rocblas_diagonal_iiT2_lPT3_llSB_llPT4_lli
	.p2align	8
	.type	_ZL23rocblas_trmm_lTx_kernelILi16ELb0E19rocblas_complex_numIfES1_KPKS1_KPS1_Ev13rocblas_fill_17rocblas_diagonal_iiT2_lPT3_llSB_llPT4_lli,@function
_ZL23rocblas_trmm_lTx_kernelILi16ELb0E19rocblas_complex_numIfES1_KPKS1_KPS1_Ev13rocblas_fill_17rocblas_diagonal_iiT2_lPT3_llSB_llPT4_lli: ; @_ZL23rocblas_trmm_lTx_kernelILi16ELb0E19rocblas_complex_numIfES1_KPKS1_KPS1_Ev13rocblas_fill_17rocblas_diagonal_iiT2_lPT3_llSB_llPT4_lli
; %bb.0:
	s_load_dwordx2 s[24:25], s[0:1], 0x10
	s_mov_b32 s29, 0
	s_waitcnt lgkmcnt(0)
	v_cmp_neq_f32_e64 s[4:5], s24, 0
	v_cmp_neq_f32_e64 s[6:7], s25, 0
	s_or_b64 s[4:5], s[4:5], s[6:7]
	s_andn2_b64 vcc, exec, s[4:5]
	s_cbranch_vccnz .LBB171_15
; %bb.1:
	s_load_dwordx16 s[4:19], s[0:1], 0x20
	s_load_dwordx4 s[20:23], s[0:1], 0x0
	s_mov_b32 s28, s3
	s_lshl_b64 s[34:35], s[28:29], 3
	v_bfe_u32 v2, v0, 10, 10
	s_waitcnt lgkmcnt(0)
	s_add_u32 s4, s4, s34
	s_addc_u32 s5, s5, s35
	s_load_dwordx2 s[30:31], s[4:5], 0x0
	s_add_u32 s4, s10, s34
	s_addc_u32 s5, s11, s35
	s_load_dwordx2 s[26:27], s[4:5], 0x0
	;; [unrolled: 3-line block ×3, first 2 shown]
	v_and_b32_e32 v4, 0x3ff, v0
	v_lshlrev_b32_e32 v3, 4, v2
	s_mov_b32 s28, s29
	v_add_lshl_u32 v5, v3, v4, 3
	v_mov_b64_e32 v[0:1], s[28:29]
	v_cmp_gt_i32_e64 s[4:5], s22, v2
	v_cmp_gt_i32_e32 vcc, s22, v4
	ds_write2st64_b64 v5, v[0:1], v[0:1] offset1:4
	s_and_b64 s[16:17], s[4:5], vcc
	v_lshlrev_b32_e32 v0, 3, v4
	s_waitcnt lgkmcnt(0)
	s_barrier
	s_and_saveexec_b64 s[4:5], s[16:17]
	s_cbranch_execz .LBB171_3
; %bb.2:
	v_mad_u64_u32 v[6:7], s[16:17], s6, v2, 0
	s_lshl_b64 s[8:9], s[8:9], 3
	v_mov_b32_e32 v8, v7
	s_add_u32 s8, s30, s8
	v_mad_u64_u32 v[8:9], s[6:7], s7, v2, v[8:9]
	s_addc_u32 s9, s31, s9
	v_mov_b32_e32 v7, v8
	v_lshl_add_u64 v[6:7], v[6:7], 3, s[8:9]
	v_mov_b32_e32 v1, 0
	v_lshl_add_u64 v[6:7], v[6:7], 0, v[0:1]
	flat_load_dwordx2 v[6:7], v[6:7]
	v_lshlrev_b32_e32 v1, 3, v2
	v_lshl_add_u32 v1, v4, 7, v1
	s_waitcnt vmcnt(0) lgkmcnt(0)
	ds_write_b64 v1, v[6:7]
.LBB171_3:
	s_or_b64 exec, exec, s[4:5]
	s_add_i32 s3, s23, -1
	s_ashr_i32 s4, s3, 31
	s_lshr_b32 s4, s4, 28
	s_add_i32 s3, s3, s4
	s_ashr_i32 s4, s3, 4
	s_and_b32 s3, s3, -16
	s_sub_i32 s3, s23, s3
	s_cmp_ge_i32 s2, s4
	s_cselect_b32 s3, s3, 16
	s_lshl_b32 s8, s2, 4
	v_cmp_gt_i32_e64 s[2:3], s3, v2
	s_ashr_i32 s9, s8, 31
	s_and_b64 s[2:3], vcc, s[2:3]
	s_and_saveexec_b64 s[4:5], s[2:3]
	s_cbranch_execz .LBB171_5
; %bb.4:
	s_lshl_b64 s[6:7], s[14:15], 3
	s_add_u32 s14, s26, s6
	s_addc_u32 s15, s27, s7
	s_mul_i32 s6, s12, s9
	s_mul_hi_u32 s7, s12, s8
	s_add_i32 s6, s7, s6
	s_mul_i32 s7, s13, s8
	s_add_i32 s7, s6, s7
	s_mul_i32 s6, s12, s8
	s_lshl_b64 s[6:7], s[6:7], 3
	s_add_u32 s6, s14, s6
	s_addc_u32 s7, s15, s7
	v_mad_u64_u32 v[6:7], s[14:15], s12, v2, 0
	v_mov_b32_e32 v8, v7
	v_mad_u64_u32 v[8:9], s[12:13], s13, v2, v[8:9]
	v_mov_b32_e32 v7, v8
	v_lshl_add_u64 v[6:7], v[6:7], 3, s[6:7]
	v_mov_b32_e32 v1, 0
	v_lshl_add_u64 v[6:7], v[6:7], 0, v[0:1]
	flat_load_dwordx2 v[6:7], v[6:7]
	v_add_u32_e32 v1, 0x800, v5
	s_waitcnt vmcnt(0) lgkmcnt(0)
	ds_write_b64 v1, v[6:7]
.LBB171_5:
	s_or_b64 exec, exec, s[4:5]
	s_cmpk_eq_i32 s21, 0x84
	s_cselect_b64 s[4:5], -1, 0
	v_cmp_eq_u32_e32 vcc, v2, v4
	s_and_b64 s[6:7], vcc, s[4:5]
	s_and_saveexec_b64 s[4:5], s[6:7]
; %bb.6:
	v_mov_b32_e32 v6, 1.0
	v_mov_b32_e32 v7, 0
	ds_write_b64 v5, v[6:7]
; %bb.7:
	s_or_b64 exec, exec, s[4:5]
	s_cmpk_lg_i32 s20, 0x7a
	s_waitcnt lgkmcnt(0)
	s_barrier
	s_cbranch_scc0 .LBB171_9
; %bb.8:
	v_cmp_lt_u32_e32 vcc, v4, v2
	s_and_b64 s[4:5], vcc, exec
	s_cbranch_execz .LBB171_10
	s_branch .LBB171_11
.LBB171_9:
	s_mov_b64 s[4:5], 0
.LBB171_10:
	v_cmp_gt_u32_e32 vcc, v4, v2
	s_andn2_b64 s[4:5], s[4:5], exec
	s_and_b64 s[6:7], vcc, exec
	s_or_b64 s[4:5], s[4:5], s[6:7]
.LBB171_11:
	s_and_saveexec_b64 s[6:7], s[4:5]
; %bb.12:
	v_mov_b32_e32 v6, 0
	v_mov_b32_e32 v7, v6
	ds_write_b64 v5, v[6:7]
; %bb.13:
	s_or_b64 exec, exec, s[6:7]
	s_waitcnt lgkmcnt(0)
	s_barrier
	s_and_saveexec_b64 s[4:5], s[2:3]
	s_cbranch_execz .LBB171_15
; %bb.14:
	v_lshlrev_b32_e32 v1, 3, v3
	ds_read_b128 v[4:7], v1 offset:2048
	ds_read2_b64 v[8:11], v0 offset1:16
	ds_read_b128 v[12:15], v1 offset:2064
	ds_read_b128 v[16:19], v1 offset:2080
	;; [unrolled: 1-line block ×3, first 2 shown]
	ds_read2_b64 v[24:27], v0 offset0:32 offset1:48
	s_load_dwordx2 s[0:1], s[0:1], 0x60
	s_mul_i32 s2, s18, s9
	s_waitcnt lgkmcnt(0)
	v_mul_f32_e32 v3, v4, v9
	v_fmac_f32_e32 v3, v5, v8
	v_mul_f32_e32 v28, v6, v11
	v_add_f32_e32 v3, 0, v3
	v_fmac_f32_e32 v28, v7, v10
	v_add_f32_e32 v3, v3, v28
	v_mul_f32_e32 v32, v12, v25
	ds_read2_b64 v[28:31], v0 offset0:64 offset1:80
	v_fmac_f32_e32 v32, v13, v24
	v_add_f32_e32 v3, v3, v32
	v_mul_f32_e32 v32, v14, v27
	v_fmac_f32_e32 v32, v15, v26
	v_add_f32_e32 v3, v3, v32
	ds_read2_b64 v[32:35], v0 offset0:96 offset1:112
	s_waitcnt lgkmcnt(1)
	v_mul_f32_e32 v36, v16, v29
	v_fmac_f32_e32 v36, v17, v28
	v_add_f32_e32 v3, v3, v36
	v_mul_f32_e32 v36, v18, v31
	v_fmac_f32_e32 v36, v19, v30
	v_add_f32_e32 v3, v3, v36
	s_waitcnt lgkmcnt(0)
	v_mul_f32_e32 v36, v20, v33
	v_fmac_f32_e32 v36, v21, v32
	v_add_f32_e32 v3, v3, v36
	ds_read_b128 v[36:39], v1 offset:2112
	ds_read2_b64 v[40:43], v0 offset0:128 offset1:144
	v_mul_f32_e32 v44, v22, v35
	v_fmac_f32_e32 v44, v23, v34
	v_add_f32_e32 v3, v3, v44
	ds_read_b128 v[44:47], v1 offset:2128
	ds_read2_b64 v[48:51], v0 offset0:160 offset1:176
	s_waitcnt lgkmcnt(2)
	v_mul_f32_e32 v52, v36, v41
	v_fmac_f32_e32 v52, v37, v40
	v_add_f32_e32 v3, v3, v52
	v_mul_f32_e32 v52, v38, v43
	v_fmac_f32_e32 v52, v39, v42
	v_add_f32_e32 v3, v3, v52
	s_waitcnt lgkmcnt(0)
	v_mul_f32_e32 v52, v44, v49
	v_fmac_f32_e32 v52, v45, v48
	v_add_f32_e32 v3, v3, v52
	v_mul_f32_e32 v52, v46, v51
	v_fmac_f32_e32 v52, v47, v50
	v_mul_f32_e32 v5, v5, v9
	v_add_f32_e32 v3, v3, v52
	ds_read2_b64 v[52:55], v0 offset0:192 offset1:208
	v_fma_f32 v56, v4, v8, -v5
	v_mul_f32_e32 v4, v7, v11
	v_fma_f32 v57, v6, v10, -v4
	ds_read_b128 v[4:7], v1 offset:2144
	ds_read_b128 v[8:11], v1 offset:2160
	v_mul_f32_e32 v1, v13, v25
	v_fma_f32 v1, v12, v24, -v1
	v_mul_f32_e32 v12, v15, v27
	v_fma_f32 v25, v14, v26, -v12
	ds_read2_b64 v[12:15], v0 offset0:224 offset1:240
	s_waitcnt lgkmcnt(2)
	v_mul_f32_e32 v24, v4, v53
	v_fmac_f32_e32 v24, v5, v52
	v_add_f32_e32 v3, v3, v24
	v_mul_f32_e32 v24, v6, v55
	v_fmac_f32_e32 v24, v7, v54
	v_add_f32_e32 v3, v3, v24
	s_waitcnt lgkmcnt(0)
	v_mul_f32_e32 v24, v8, v13
	v_fmac_f32_e32 v24, v9, v12
	v_add_f32_e32 v3, v3, v24
	v_mul_f32_e32 v24, v10, v15
	v_fmac_f32_e32 v24, v11, v14
	v_add_f32_e32 v24, v3, v24
	v_add_f32_e32 v3, 0, v56
	;; [unrolled: 1-line block ×4, first 2 shown]
	v_mul_f32_e32 v3, v17, v29
	v_add_f32_e32 v1, v1, v25
	v_fma_f32 v3, v16, v28, -v3
	v_add_f32_e32 v1, v1, v3
	v_mul_f32_e32 v3, v19, v31
	v_fma_f32 v3, v18, v30, -v3
	v_add_f32_e32 v1, v1, v3
	v_mul_f32_e32 v3, v21, v33
	;; [unrolled: 3-line block ×9, first 2 shown]
	s_lshl_b64 s[0:1], s[0:1], 3
	v_fma_f32 v3, v6, v54, -v3
	s_mul_hi_u32 s3, s18, s8
	s_add_u32 s5, s10, s0
	v_add_f32_e32 v1, v1, v3
	v_mul_f32_e32 v3, v9, v13
	s_mul_i32 s4, s19, s8
	s_addc_u32 s6, s11, s1
	s_add_i32 s0, s3, s2
	v_fma_f32 v3, v8, v12, -v3
	s_add_i32 s1, s0, s4
	s_mul_i32 s0, s18, s8
	v_add_f32_e32 v1, v1, v3
	v_mul_f32_e32 v3, v11, v15
	v_mad_u64_u32 v[6:7], s[2:3], s18, v2, 0
	s_lshl_b64 s[0:1], s[0:1], 3
	v_fma_f32 v3, v10, v14, -v3
	v_mov_b32_e32 v8, v7
	s_add_u32 s0, s5, s0
	v_add_f32_e32 v4, v1, v3
	v_mad_u64_u32 v[2:3], s[2:3], s19, v2, v[8:9]
	s_addc_u32 s1, s6, s1
	v_mov_b32_e32 v7, v2
	v_lshl_add_u64 v[2:3], v[6:7], 3, s[0:1]
	v_mov_b32_e32 v1, 0
	v_lshl_add_u64 v[0:1], v[2:3], 0, v[0:1]
	v_pk_mul_f32 v[2:3], s[24:25], v[24:25] op_sel:[1,0] op_sel_hi:[0,0]
	v_pk_fma_f32 v[6:7], s[24:25], v[4:5], v[2:3] neg_lo:[0,0,1] neg_hi:[0,0,1]
	v_pk_fma_f32 v[2:3], s[24:25], v[4:5], v[2:3] op_sel_hi:[1,0,1]
	s_nop 0
	v_mov_b32_e32 v7, v3
	flat_store_dwordx2 v[0:1], v[6:7]
.LBB171_15:
	s_endpgm
	.section	.rodata,"a",@progbits
	.p2align	6, 0x0
	.amdhsa_kernel _ZL23rocblas_trmm_lTx_kernelILi16ELb0E19rocblas_complex_numIfES1_KPKS1_KPS1_Ev13rocblas_fill_17rocblas_diagonal_iiT2_lPT3_llSB_llPT4_lli
		.amdhsa_group_segment_fixed_size 4096
		.amdhsa_private_segment_fixed_size 0
		.amdhsa_kernarg_size 108
		.amdhsa_user_sgpr_count 2
		.amdhsa_user_sgpr_dispatch_ptr 0
		.amdhsa_user_sgpr_queue_ptr 0
		.amdhsa_user_sgpr_kernarg_segment_ptr 1
		.amdhsa_user_sgpr_dispatch_id 0
		.amdhsa_user_sgpr_kernarg_preload_length 0
		.amdhsa_user_sgpr_kernarg_preload_offset 0
		.amdhsa_user_sgpr_private_segment_size 0
		.amdhsa_uses_dynamic_stack 0
		.amdhsa_enable_private_segment 0
		.amdhsa_system_sgpr_workgroup_id_x 1
		.amdhsa_system_sgpr_workgroup_id_y 0
		.amdhsa_system_sgpr_workgroup_id_z 1
		.amdhsa_system_sgpr_workgroup_info 0
		.amdhsa_system_vgpr_workitem_id 1
		.amdhsa_next_free_vgpr 58
		.amdhsa_next_free_sgpr 36
		.amdhsa_accum_offset 60
		.amdhsa_reserve_vcc 1
		.amdhsa_float_round_mode_32 0
		.amdhsa_float_round_mode_16_64 0
		.amdhsa_float_denorm_mode_32 3
		.amdhsa_float_denorm_mode_16_64 3
		.amdhsa_dx10_clamp 1
		.amdhsa_ieee_mode 1
		.amdhsa_fp16_overflow 0
		.amdhsa_tg_split 0
		.amdhsa_exception_fp_ieee_invalid_op 0
		.amdhsa_exception_fp_denorm_src 0
		.amdhsa_exception_fp_ieee_div_zero 0
		.amdhsa_exception_fp_ieee_overflow 0
		.amdhsa_exception_fp_ieee_underflow 0
		.amdhsa_exception_fp_ieee_inexact 0
		.amdhsa_exception_int_div_zero 0
	.end_amdhsa_kernel
	.section	.text._ZL23rocblas_trmm_lTx_kernelILi16ELb0E19rocblas_complex_numIfES1_KPKS1_KPS1_Ev13rocblas_fill_17rocblas_diagonal_iiT2_lPT3_llSB_llPT4_lli,"axG",@progbits,_ZL23rocblas_trmm_lTx_kernelILi16ELb0E19rocblas_complex_numIfES1_KPKS1_KPS1_Ev13rocblas_fill_17rocblas_diagonal_iiT2_lPT3_llSB_llPT4_lli,comdat
.Lfunc_end171:
	.size	_ZL23rocblas_trmm_lTx_kernelILi16ELb0E19rocblas_complex_numIfES1_KPKS1_KPS1_Ev13rocblas_fill_17rocblas_diagonal_iiT2_lPT3_llSB_llPT4_lli, .Lfunc_end171-_ZL23rocblas_trmm_lTx_kernelILi16ELb0E19rocblas_complex_numIfES1_KPKS1_KPS1_Ev13rocblas_fill_17rocblas_diagonal_iiT2_lPT3_llSB_llPT4_lli
                                        ; -- End function
	.set _ZL23rocblas_trmm_lTx_kernelILi16ELb0E19rocblas_complex_numIfES1_KPKS1_KPS1_Ev13rocblas_fill_17rocblas_diagonal_iiT2_lPT3_llSB_llPT4_lli.num_vgpr, 58
	.set _ZL23rocblas_trmm_lTx_kernelILi16ELb0E19rocblas_complex_numIfES1_KPKS1_KPS1_Ev13rocblas_fill_17rocblas_diagonal_iiT2_lPT3_llSB_llPT4_lli.num_agpr, 0
	.set _ZL23rocblas_trmm_lTx_kernelILi16ELb0E19rocblas_complex_numIfES1_KPKS1_KPS1_Ev13rocblas_fill_17rocblas_diagonal_iiT2_lPT3_llSB_llPT4_lli.numbered_sgpr, 36
	.set _ZL23rocblas_trmm_lTx_kernelILi16ELb0E19rocblas_complex_numIfES1_KPKS1_KPS1_Ev13rocblas_fill_17rocblas_diagonal_iiT2_lPT3_llSB_llPT4_lli.num_named_barrier, 0
	.set _ZL23rocblas_trmm_lTx_kernelILi16ELb0E19rocblas_complex_numIfES1_KPKS1_KPS1_Ev13rocblas_fill_17rocblas_diagonal_iiT2_lPT3_llSB_llPT4_lli.private_seg_size, 0
	.set _ZL23rocblas_trmm_lTx_kernelILi16ELb0E19rocblas_complex_numIfES1_KPKS1_KPS1_Ev13rocblas_fill_17rocblas_diagonal_iiT2_lPT3_llSB_llPT4_lli.uses_vcc, 1
	.set _ZL23rocblas_trmm_lTx_kernelILi16ELb0E19rocblas_complex_numIfES1_KPKS1_KPS1_Ev13rocblas_fill_17rocblas_diagonal_iiT2_lPT3_llSB_llPT4_lli.uses_flat_scratch, 0
	.set _ZL23rocblas_trmm_lTx_kernelILi16ELb0E19rocblas_complex_numIfES1_KPKS1_KPS1_Ev13rocblas_fill_17rocblas_diagonal_iiT2_lPT3_llSB_llPT4_lli.has_dyn_sized_stack, 0
	.set _ZL23rocblas_trmm_lTx_kernelILi16ELb0E19rocblas_complex_numIfES1_KPKS1_KPS1_Ev13rocblas_fill_17rocblas_diagonal_iiT2_lPT3_llSB_llPT4_lli.has_recursion, 0
	.set _ZL23rocblas_trmm_lTx_kernelILi16ELb0E19rocblas_complex_numIfES1_KPKS1_KPS1_Ev13rocblas_fill_17rocblas_diagonal_iiT2_lPT3_llSB_llPT4_lli.has_indirect_call, 0
	.section	.AMDGPU.csdata,"",@progbits
; Kernel info:
; codeLenInByte = 1364
; TotalNumSgprs: 42
; NumVgprs: 58
; NumAgprs: 0
; TotalNumVgprs: 58
; ScratchSize: 0
; MemoryBound: 0
; FloatMode: 240
; IeeeMode: 1
; LDSByteSize: 4096 bytes/workgroup (compile time only)
; SGPRBlocks: 5
; VGPRBlocks: 7
; NumSGPRsForWavesPerEU: 42
; NumVGPRsForWavesPerEU: 58
; AccumOffset: 60
; Occupancy: 8
; WaveLimiterHint : 1
; COMPUTE_PGM_RSRC2:SCRATCH_EN: 0
; COMPUTE_PGM_RSRC2:USER_SGPR: 2
; COMPUTE_PGM_RSRC2:TRAP_HANDLER: 0
; COMPUTE_PGM_RSRC2:TGID_X_EN: 1
; COMPUTE_PGM_RSRC2:TGID_Y_EN: 0
; COMPUTE_PGM_RSRC2:TGID_Z_EN: 1
; COMPUTE_PGM_RSRC2:TIDIG_COMP_CNT: 1
; COMPUTE_PGM_RSRC3_GFX90A:ACCUM_OFFSET: 14
; COMPUTE_PGM_RSRC3_GFX90A:TG_SPLIT: 0
	.section	.text._ZL23rocblas_trmm_lTx_kernelILi16ELb1E19rocblas_complex_numIfEPKS1_KS3_KPS1_Ev13rocblas_fill_17rocblas_diagonal_iiT2_lPT3_llSB_llPT4_lli,"axG",@progbits,_ZL23rocblas_trmm_lTx_kernelILi16ELb1E19rocblas_complex_numIfEPKS1_KS3_KPS1_Ev13rocblas_fill_17rocblas_diagonal_iiT2_lPT3_llSB_llPT4_lli,comdat
	.globl	_ZL23rocblas_trmm_lTx_kernelILi16ELb1E19rocblas_complex_numIfEPKS1_KS3_KPS1_Ev13rocblas_fill_17rocblas_diagonal_iiT2_lPT3_llSB_llPT4_lli ; -- Begin function _ZL23rocblas_trmm_lTx_kernelILi16ELb1E19rocblas_complex_numIfEPKS1_KS3_KPS1_Ev13rocblas_fill_17rocblas_diagonal_iiT2_lPT3_llSB_llPT4_lli
	.p2align	8
	.type	_ZL23rocblas_trmm_lTx_kernelILi16ELb1E19rocblas_complex_numIfEPKS1_KS3_KPS1_Ev13rocblas_fill_17rocblas_diagonal_iiT2_lPT3_llSB_llPT4_lli,@function
_ZL23rocblas_trmm_lTx_kernelILi16ELb1E19rocblas_complex_numIfEPKS1_KS3_KPS1_Ev13rocblas_fill_17rocblas_diagonal_iiT2_lPT3_llSB_llPT4_lli: ; @_ZL23rocblas_trmm_lTx_kernelILi16ELb1E19rocblas_complex_numIfEPKS1_KS3_KPS1_Ev13rocblas_fill_17rocblas_diagonal_iiT2_lPT3_llSB_llPT4_lli
; %bb.0:
	s_load_dwordx16 s[4:19], s[0:1], 0x10
	s_mov_b32 s26, s3
	s_mov_b32 s27, 0
	s_waitcnt lgkmcnt(0)
	s_mul_i32 s3, s7, s3
	s_mul_hi_u32 s7, s6, s26
	s_add_i32 s7, s7, s3
	s_mul_i32 s6, s6, s26
	s_lshl_b64 s[6:7], s[6:7], 3
	s_add_u32 s4, s4, s6
	s_addc_u32 s5, s5, s7
	s_load_dwordx2 s[24:25], s[4:5], 0x0
	s_waitcnt lgkmcnt(0)
	v_cmp_neq_f32_e64 s[4:5], s24, 0
	v_cmp_neq_f32_e64 s[6:7], s25, 0
	s_or_b64 s[4:5], s[4:5], s[6:7]
	s_andn2_b64 vcc, exec, s[4:5]
	s_cbranch_vccnz .LBB172_15
; %bb.1:
	s_load_dwordx4 s[20:23], s[0:1], 0x0
	s_load_dwordx4 s[4:7], s[0:1], 0x50
	s_lshl_b64 s[30:31], s[26:27], 3
	s_add_u32 s8, s8, s30
	s_addc_u32 s9, s9, s31
	s_load_dwordx2 s[28:29], s[8:9], 0x0
	s_add_u32 s8, s14, s30
	s_addc_u32 s9, s15, s31
	s_waitcnt lgkmcnt(0)
	s_add_u32 s4, s4, s30
	s_addc_u32 s5, s5, s31
	s_load_dwordx2 s[14:15], s[8:9], 0x0
	v_bfe_u32 v2, v0, 10, 10
	s_load_dwordx2 s[8:9], s[4:5], 0x0
	v_and_b32_e32 v5, 0x3ff, v0
	v_lshlrev_b32_e32 v3, 4, v2
	s_mov_b32 s26, s27
	v_add_lshl_u32 v4, v3, v5, 3
	v_mov_b64_e32 v[0:1], s[26:27]
	v_cmp_gt_i32_e64 s[4:5], s22, v2
	v_cmp_gt_i32_e32 vcc, s22, v5
	ds_write2st64_b64 v4, v[0:1], v[0:1] offset1:4
	s_and_b64 s[26:27], s[4:5], vcc
	v_lshlrev_b32_e32 v0, 3, v5
	s_waitcnt lgkmcnt(0)
	s_barrier
	s_and_saveexec_b64 s[4:5], s[26:27]
	s_cbranch_execz .LBB172_3
; %bb.2:
	v_mad_u64_u32 v[6:7], s[26:27], s10, v2, 0
	s_lshl_b64 s[12:13], s[12:13], 3
	v_mov_b32_e32 v8, v7
	s_add_u32 s12, s28, s12
	v_mad_u64_u32 v[8:9], s[10:11], s11, v2, v[8:9]
	s_addc_u32 s13, s29, s13
	v_mov_b32_e32 v7, v8
	v_lshl_add_u64 v[6:7], v[6:7], 3, s[12:13]
	v_mov_b32_e32 v1, 0
	v_lshl_add_u64 v[6:7], v[6:7], 0, v[0:1]
	flat_load_dwordx2 v[6:7], v[6:7]
	v_lshlrev_b32_e32 v1, 3, v2
	v_lshl_add_u32 v1, v5, 7, v1
	s_waitcnt vmcnt(0) lgkmcnt(0)
	v_xor_b32_e32 v7, 0x80000000, v7
	ds_write_b64 v1, v[6:7]
.LBB172_3:
	s_or_b64 exec, exec, s[4:5]
	s_add_i32 s3, s23, -1
	s_ashr_i32 s4, s3, 31
	s_lshr_b32 s4, s4, 28
	s_add_i32 s3, s3, s4
	s_ashr_i32 s4, s3, 4
	s_and_b32 s3, s3, -16
	s_sub_i32 s3, s23, s3
	s_cmp_ge_i32 s2, s4
	s_cselect_b32 s3, s3, 16
	s_lshl_b32 s12, s2, 4
	v_cmp_gt_i32_e64 s[2:3], s3, v2
	s_ashr_i32 s13, s12, 31
	s_and_b64 s[2:3], vcc, s[2:3]
	s_and_saveexec_b64 s[4:5], s[2:3]
	s_cbranch_execz .LBB172_5
; %bb.4:
	s_lshl_b64 s[10:11], s[18:19], 3
	s_add_u32 s14, s14, s10
	s_addc_u32 s15, s15, s11
	s_mul_i32 s10, s16, s13
	s_mul_hi_u32 s11, s16, s12
	s_add_i32 s10, s11, s10
	s_mul_i32 s11, s17, s12
	s_add_i32 s11, s10, s11
	s_mul_i32 s10, s16, s12
	s_lshl_b64 s[10:11], s[10:11], 3
	s_add_u32 s10, s14, s10
	s_addc_u32 s11, s15, s11
	v_mad_u64_u32 v[6:7], s[14:15], s16, v2, 0
	v_mov_b32_e32 v8, v7
	v_mad_u64_u32 v[8:9], s[14:15], s17, v2, v[8:9]
	v_mov_b32_e32 v7, v8
	v_lshl_add_u64 v[6:7], v[6:7], 3, s[10:11]
	v_mov_b32_e32 v1, 0
	v_lshl_add_u64 v[6:7], v[6:7], 0, v[0:1]
	flat_load_dwordx2 v[6:7], v[6:7]
	v_add_u32_e32 v1, 0x800, v4
	s_waitcnt vmcnt(0) lgkmcnt(0)
	ds_write_b64 v1, v[6:7]
.LBB172_5:
	s_or_b64 exec, exec, s[4:5]
	s_cmpk_eq_i32 s21, 0x84
	s_cselect_b64 s[4:5], -1, 0
	v_cmp_eq_u32_e32 vcc, v2, v5
	s_and_b64 s[10:11], vcc, s[4:5]
	s_and_saveexec_b64 s[4:5], s[10:11]
; %bb.6:
	v_mov_b32_e32 v6, 1.0
	v_mov_b32_e32 v7, 0
	ds_write_b64 v4, v[6:7]
; %bb.7:
	s_or_b64 exec, exec, s[4:5]
	s_cmpk_lg_i32 s20, 0x7a
	s_waitcnt lgkmcnt(0)
	s_barrier
	s_cbranch_scc0 .LBB172_9
; %bb.8:
	v_cmp_lt_u32_e32 vcc, v5, v2
	s_and_b64 s[4:5], vcc, exec
	s_cbranch_execz .LBB172_10
	s_branch .LBB172_11
.LBB172_9:
	s_mov_b64 s[4:5], 0
.LBB172_10:
	v_cmp_gt_u32_e32 vcc, v5, v2
	s_andn2_b64 s[4:5], s[4:5], exec
	s_and_b64 s[10:11], vcc, exec
	s_or_b64 s[4:5], s[4:5], s[10:11]
.LBB172_11:
	s_and_saveexec_b64 s[10:11], s[4:5]
; %bb.12:
	v_mov_b32_e32 v6, 0
	v_mov_b32_e32 v7, v6
	ds_write_b64 v4, v[6:7]
; %bb.13:
	s_or_b64 exec, exec, s[10:11]
	s_waitcnt lgkmcnt(0)
	s_barrier
	s_and_saveexec_b64 s[4:5], s[2:3]
	s_cbranch_execz .LBB172_15
; %bb.14:
	v_lshlrev_b32_e32 v1, 3, v3
	ds_read_b128 v[4:7], v1 offset:2048
	ds_read2_b64 v[8:11], v0 offset1:16
	ds_read_b128 v[12:15], v1 offset:2064
	ds_read_b128 v[16:19], v1 offset:2080
	;; [unrolled: 1-line block ×3, first 2 shown]
	ds_read2_b64 v[24:27], v0 offset0:32 offset1:48
	s_load_dwordx2 s[0:1], s[0:1], 0x60
	s_mul_i32 s2, s6, s13
	s_waitcnt lgkmcnt(0)
	v_mul_f32_e32 v3, v4, v9
	v_fmac_f32_e32 v3, v5, v8
	v_mul_f32_e32 v28, v6, v11
	v_add_f32_e32 v3, 0, v3
	v_fmac_f32_e32 v28, v7, v10
	v_add_f32_e32 v3, v3, v28
	v_mul_f32_e32 v32, v12, v25
	ds_read2_b64 v[28:31], v0 offset0:64 offset1:80
	v_fmac_f32_e32 v32, v13, v24
	v_add_f32_e32 v3, v3, v32
	v_mul_f32_e32 v32, v14, v27
	v_fmac_f32_e32 v32, v15, v26
	v_add_f32_e32 v3, v3, v32
	ds_read2_b64 v[32:35], v0 offset0:96 offset1:112
	s_waitcnt lgkmcnt(1)
	v_mul_f32_e32 v36, v16, v29
	v_fmac_f32_e32 v36, v17, v28
	v_add_f32_e32 v3, v3, v36
	v_mul_f32_e32 v36, v18, v31
	v_fmac_f32_e32 v36, v19, v30
	v_add_f32_e32 v3, v3, v36
	s_waitcnt lgkmcnt(0)
	v_mul_f32_e32 v36, v20, v33
	v_fmac_f32_e32 v36, v21, v32
	v_add_f32_e32 v3, v3, v36
	ds_read_b128 v[36:39], v1 offset:2112
	ds_read2_b64 v[40:43], v0 offset0:128 offset1:144
	v_mul_f32_e32 v44, v22, v35
	v_fmac_f32_e32 v44, v23, v34
	v_add_f32_e32 v3, v3, v44
	ds_read_b128 v[44:47], v1 offset:2128
	ds_read2_b64 v[48:51], v0 offset0:160 offset1:176
	s_waitcnt lgkmcnt(2)
	v_mul_f32_e32 v52, v36, v41
	v_fmac_f32_e32 v52, v37, v40
	v_add_f32_e32 v3, v3, v52
	v_mul_f32_e32 v52, v38, v43
	v_fmac_f32_e32 v52, v39, v42
	v_add_f32_e32 v3, v3, v52
	s_waitcnt lgkmcnt(0)
	v_mul_f32_e32 v52, v44, v49
	v_fmac_f32_e32 v52, v45, v48
	v_add_f32_e32 v3, v3, v52
	v_mul_f32_e32 v52, v46, v51
	v_fmac_f32_e32 v52, v47, v50
	v_mul_f32_e32 v5, v5, v9
	v_add_f32_e32 v3, v3, v52
	ds_read2_b64 v[52:55], v0 offset0:192 offset1:208
	v_fma_f32 v56, v4, v8, -v5
	v_mul_f32_e32 v4, v7, v11
	v_fma_f32 v57, v6, v10, -v4
	ds_read_b128 v[4:7], v1 offset:2144
	ds_read_b128 v[8:11], v1 offset:2160
	v_mul_f32_e32 v1, v13, v25
	v_fma_f32 v1, v12, v24, -v1
	v_mul_f32_e32 v12, v15, v27
	v_fma_f32 v25, v14, v26, -v12
	ds_read2_b64 v[12:15], v0 offset0:224 offset1:240
	s_waitcnt lgkmcnt(2)
	v_mul_f32_e32 v24, v4, v53
	v_fmac_f32_e32 v24, v5, v52
	v_add_f32_e32 v3, v3, v24
	v_mul_f32_e32 v24, v6, v55
	v_fmac_f32_e32 v24, v7, v54
	v_add_f32_e32 v3, v3, v24
	s_waitcnt lgkmcnt(0)
	v_mul_f32_e32 v24, v8, v13
	v_fmac_f32_e32 v24, v9, v12
	v_add_f32_e32 v3, v3, v24
	v_mul_f32_e32 v24, v10, v15
	v_fmac_f32_e32 v24, v11, v14
	v_add_f32_e32 v24, v3, v24
	v_add_f32_e32 v3, 0, v56
	;; [unrolled: 1-line block ×4, first 2 shown]
	v_mul_f32_e32 v3, v17, v29
	v_add_f32_e32 v1, v1, v25
	v_fma_f32 v3, v16, v28, -v3
	v_add_f32_e32 v1, v1, v3
	v_mul_f32_e32 v3, v19, v31
	v_fma_f32 v3, v18, v30, -v3
	v_add_f32_e32 v1, v1, v3
	v_mul_f32_e32 v3, v21, v33
	;; [unrolled: 3-line block ×9, first 2 shown]
	s_lshl_b64 s[0:1], s[0:1], 3
	v_fma_f32 v3, v6, v54, -v3
	s_mul_hi_u32 s3, s6, s12
	s_add_u32 s5, s8, s0
	v_add_f32_e32 v1, v1, v3
	v_mul_f32_e32 v3, v9, v13
	s_mul_i32 s4, s7, s12
	s_addc_u32 s8, s9, s1
	s_add_i32 s0, s3, s2
	v_fma_f32 v3, v8, v12, -v3
	s_add_i32 s1, s0, s4
	s_mul_i32 s0, s6, s12
	v_add_f32_e32 v1, v1, v3
	v_mul_f32_e32 v3, v11, v15
	v_mad_u64_u32 v[6:7], s[2:3], s6, v2, 0
	s_lshl_b64 s[0:1], s[0:1], 3
	v_fma_f32 v3, v10, v14, -v3
	v_mov_b32_e32 v8, v7
	s_add_u32 s0, s5, s0
	v_add_f32_e32 v4, v1, v3
	v_mad_u64_u32 v[2:3], s[2:3], s7, v2, v[8:9]
	s_addc_u32 s1, s8, s1
	v_mov_b32_e32 v7, v2
	v_lshl_add_u64 v[2:3], v[6:7], 3, s[0:1]
	v_mov_b32_e32 v1, 0
	v_lshl_add_u64 v[0:1], v[2:3], 0, v[0:1]
	v_pk_mul_f32 v[2:3], s[24:25], v[24:25] op_sel:[1,0] op_sel_hi:[0,0]
	v_pk_fma_f32 v[6:7], s[24:25], v[4:5], v[2:3] neg_lo:[0,0,1] neg_hi:[0,0,1]
	v_pk_fma_f32 v[2:3], s[24:25], v[4:5], v[2:3] op_sel_hi:[1,0,1]
	s_nop 0
	v_mov_b32_e32 v7, v3
	flat_store_dwordx2 v[0:1], v[6:7]
.LBB172_15:
	s_endpgm
	.section	.rodata,"a",@progbits
	.p2align	6, 0x0
	.amdhsa_kernel _ZL23rocblas_trmm_lTx_kernelILi16ELb1E19rocblas_complex_numIfEPKS1_KS3_KPS1_Ev13rocblas_fill_17rocblas_diagonal_iiT2_lPT3_llSB_llPT4_lli
		.amdhsa_group_segment_fixed_size 4096
		.amdhsa_private_segment_fixed_size 0
		.amdhsa_kernarg_size 108
		.amdhsa_user_sgpr_count 2
		.amdhsa_user_sgpr_dispatch_ptr 0
		.amdhsa_user_sgpr_queue_ptr 0
		.amdhsa_user_sgpr_kernarg_segment_ptr 1
		.amdhsa_user_sgpr_dispatch_id 0
		.amdhsa_user_sgpr_kernarg_preload_length 0
		.amdhsa_user_sgpr_kernarg_preload_offset 0
		.amdhsa_user_sgpr_private_segment_size 0
		.amdhsa_uses_dynamic_stack 0
		.amdhsa_enable_private_segment 0
		.amdhsa_system_sgpr_workgroup_id_x 1
		.amdhsa_system_sgpr_workgroup_id_y 0
		.amdhsa_system_sgpr_workgroup_id_z 1
		.amdhsa_system_sgpr_workgroup_info 0
		.amdhsa_system_vgpr_workitem_id 1
		.amdhsa_next_free_vgpr 58
		.amdhsa_next_free_sgpr 32
		.amdhsa_accum_offset 60
		.amdhsa_reserve_vcc 1
		.amdhsa_float_round_mode_32 0
		.amdhsa_float_round_mode_16_64 0
		.amdhsa_float_denorm_mode_32 3
		.amdhsa_float_denorm_mode_16_64 3
		.amdhsa_dx10_clamp 1
		.amdhsa_ieee_mode 1
		.amdhsa_fp16_overflow 0
		.amdhsa_tg_split 0
		.amdhsa_exception_fp_ieee_invalid_op 0
		.amdhsa_exception_fp_denorm_src 0
		.amdhsa_exception_fp_ieee_div_zero 0
		.amdhsa_exception_fp_ieee_overflow 0
		.amdhsa_exception_fp_ieee_underflow 0
		.amdhsa_exception_fp_ieee_inexact 0
		.amdhsa_exception_int_div_zero 0
	.end_amdhsa_kernel
	.section	.text._ZL23rocblas_trmm_lTx_kernelILi16ELb1E19rocblas_complex_numIfEPKS1_KS3_KPS1_Ev13rocblas_fill_17rocblas_diagonal_iiT2_lPT3_llSB_llPT4_lli,"axG",@progbits,_ZL23rocblas_trmm_lTx_kernelILi16ELb1E19rocblas_complex_numIfEPKS1_KS3_KPS1_Ev13rocblas_fill_17rocblas_diagonal_iiT2_lPT3_llSB_llPT4_lli,comdat
.Lfunc_end172:
	.size	_ZL23rocblas_trmm_lTx_kernelILi16ELb1E19rocblas_complex_numIfEPKS1_KS3_KPS1_Ev13rocblas_fill_17rocblas_diagonal_iiT2_lPT3_llSB_llPT4_lli, .Lfunc_end172-_ZL23rocblas_trmm_lTx_kernelILi16ELb1E19rocblas_complex_numIfEPKS1_KS3_KPS1_Ev13rocblas_fill_17rocblas_diagonal_iiT2_lPT3_llSB_llPT4_lli
                                        ; -- End function
	.set _ZL23rocblas_trmm_lTx_kernelILi16ELb1E19rocblas_complex_numIfEPKS1_KS3_KPS1_Ev13rocblas_fill_17rocblas_diagonal_iiT2_lPT3_llSB_llPT4_lli.num_vgpr, 58
	.set _ZL23rocblas_trmm_lTx_kernelILi16ELb1E19rocblas_complex_numIfEPKS1_KS3_KPS1_Ev13rocblas_fill_17rocblas_diagonal_iiT2_lPT3_llSB_llPT4_lli.num_agpr, 0
	.set _ZL23rocblas_trmm_lTx_kernelILi16ELb1E19rocblas_complex_numIfEPKS1_KS3_KPS1_Ev13rocblas_fill_17rocblas_diagonal_iiT2_lPT3_llSB_llPT4_lli.numbered_sgpr, 32
	.set _ZL23rocblas_trmm_lTx_kernelILi16ELb1E19rocblas_complex_numIfEPKS1_KS3_KPS1_Ev13rocblas_fill_17rocblas_diagonal_iiT2_lPT3_llSB_llPT4_lli.num_named_barrier, 0
	.set _ZL23rocblas_trmm_lTx_kernelILi16ELb1E19rocblas_complex_numIfEPKS1_KS3_KPS1_Ev13rocblas_fill_17rocblas_diagonal_iiT2_lPT3_llSB_llPT4_lli.private_seg_size, 0
	.set _ZL23rocblas_trmm_lTx_kernelILi16ELb1E19rocblas_complex_numIfEPKS1_KS3_KPS1_Ev13rocblas_fill_17rocblas_diagonal_iiT2_lPT3_llSB_llPT4_lli.uses_vcc, 1
	.set _ZL23rocblas_trmm_lTx_kernelILi16ELb1E19rocblas_complex_numIfEPKS1_KS3_KPS1_Ev13rocblas_fill_17rocblas_diagonal_iiT2_lPT3_llSB_llPT4_lli.uses_flat_scratch, 0
	.set _ZL23rocblas_trmm_lTx_kernelILi16ELb1E19rocblas_complex_numIfEPKS1_KS3_KPS1_Ev13rocblas_fill_17rocblas_diagonal_iiT2_lPT3_llSB_llPT4_lli.has_dyn_sized_stack, 0
	.set _ZL23rocblas_trmm_lTx_kernelILi16ELb1E19rocblas_complex_numIfEPKS1_KS3_KPS1_Ev13rocblas_fill_17rocblas_diagonal_iiT2_lPT3_llSB_llPT4_lli.has_recursion, 0
	.set _ZL23rocblas_trmm_lTx_kernelILi16ELb1E19rocblas_complex_numIfEPKS1_KS3_KPS1_Ev13rocblas_fill_17rocblas_diagonal_iiT2_lPT3_llSB_llPT4_lli.has_indirect_call, 0
	.section	.AMDGPU.csdata,"",@progbits
; Kernel info:
; codeLenInByte = 1412
; TotalNumSgprs: 38
; NumVgprs: 58
; NumAgprs: 0
; TotalNumVgprs: 58
; ScratchSize: 0
; MemoryBound: 0
; FloatMode: 240
; IeeeMode: 1
; LDSByteSize: 4096 bytes/workgroup (compile time only)
; SGPRBlocks: 4
; VGPRBlocks: 7
; NumSGPRsForWavesPerEU: 38
; NumVGPRsForWavesPerEU: 58
; AccumOffset: 60
; Occupancy: 8
; WaveLimiterHint : 1
; COMPUTE_PGM_RSRC2:SCRATCH_EN: 0
; COMPUTE_PGM_RSRC2:USER_SGPR: 2
; COMPUTE_PGM_RSRC2:TRAP_HANDLER: 0
; COMPUTE_PGM_RSRC2:TGID_X_EN: 1
; COMPUTE_PGM_RSRC2:TGID_Y_EN: 0
; COMPUTE_PGM_RSRC2:TGID_Z_EN: 1
; COMPUTE_PGM_RSRC2:TIDIG_COMP_CNT: 1
; COMPUTE_PGM_RSRC3_GFX90A:ACCUM_OFFSET: 14
; COMPUTE_PGM_RSRC3_GFX90A:TG_SPLIT: 0
	.section	.text._ZL23rocblas_trmm_lTx_kernelILi16ELb1E19rocblas_complex_numIfES1_KPKS1_KPS1_Ev13rocblas_fill_17rocblas_diagonal_iiT2_lPT3_llSB_llPT4_lli,"axG",@progbits,_ZL23rocblas_trmm_lTx_kernelILi16ELb1E19rocblas_complex_numIfES1_KPKS1_KPS1_Ev13rocblas_fill_17rocblas_diagonal_iiT2_lPT3_llSB_llPT4_lli,comdat
	.globl	_ZL23rocblas_trmm_lTx_kernelILi16ELb1E19rocblas_complex_numIfES1_KPKS1_KPS1_Ev13rocblas_fill_17rocblas_diagonal_iiT2_lPT3_llSB_llPT4_lli ; -- Begin function _ZL23rocblas_trmm_lTx_kernelILi16ELb1E19rocblas_complex_numIfES1_KPKS1_KPS1_Ev13rocblas_fill_17rocblas_diagonal_iiT2_lPT3_llSB_llPT4_lli
	.p2align	8
	.type	_ZL23rocblas_trmm_lTx_kernelILi16ELb1E19rocblas_complex_numIfES1_KPKS1_KPS1_Ev13rocblas_fill_17rocblas_diagonal_iiT2_lPT3_llSB_llPT4_lli,@function
_ZL23rocblas_trmm_lTx_kernelILi16ELb1E19rocblas_complex_numIfES1_KPKS1_KPS1_Ev13rocblas_fill_17rocblas_diagonal_iiT2_lPT3_llSB_llPT4_lli: ; @_ZL23rocblas_trmm_lTx_kernelILi16ELb1E19rocblas_complex_numIfES1_KPKS1_KPS1_Ev13rocblas_fill_17rocblas_diagonal_iiT2_lPT3_llSB_llPT4_lli
; %bb.0:
	s_load_dwordx2 s[24:25], s[0:1], 0x10
	s_mov_b32 s29, 0
	s_waitcnt lgkmcnt(0)
	v_cmp_neq_f32_e64 s[4:5], s24, 0
	v_cmp_neq_f32_e64 s[6:7], s25, 0
	s_or_b64 s[4:5], s[4:5], s[6:7]
	s_andn2_b64 vcc, exec, s[4:5]
	s_cbranch_vccnz .LBB173_15
; %bb.1:
	s_load_dwordx16 s[4:19], s[0:1], 0x20
	s_load_dwordx4 s[20:23], s[0:1], 0x0
	s_mov_b32 s28, s3
	s_lshl_b64 s[34:35], s[28:29], 3
	v_bfe_u32 v2, v0, 10, 10
	s_waitcnt lgkmcnt(0)
	s_add_u32 s4, s4, s34
	s_addc_u32 s5, s5, s35
	s_load_dwordx2 s[30:31], s[4:5], 0x0
	s_add_u32 s4, s10, s34
	s_addc_u32 s5, s11, s35
	s_load_dwordx2 s[26:27], s[4:5], 0x0
	;; [unrolled: 3-line block ×3, first 2 shown]
	v_and_b32_e32 v4, 0x3ff, v0
	v_lshlrev_b32_e32 v3, 4, v2
	s_mov_b32 s28, s29
	v_add_lshl_u32 v5, v3, v4, 3
	v_mov_b64_e32 v[0:1], s[28:29]
	v_cmp_gt_i32_e64 s[4:5], s22, v2
	v_cmp_gt_i32_e32 vcc, s22, v4
	ds_write2st64_b64 v5, v[0:1], v[0:1] offset1:4
	s_and_b64 s[16:17], s[4:5], vcc
	v_lshlrev_b32_e32 v0, 3, v4
	s_waitcnt lgkmcnt(0)
	s_barrier
	s_and_saveexec_b64 s[4:5], s[16:17]
	s_cbranch_execz .LBB173_3
; %bb.2:
	v_mad_u64_u32 v[6:7], s[16:17], s6, v2, 0
	s_lshl_b64 s[8:9], s[8:9], 3
	v_mov_b32_e32 v8, v7
	s_add_u32 s8, s30, s8
	v_mad_u64_u32 v[8:9], s[6:7], s7, v2, v[8:9]
	s_addc_u32 s9, s31, s9
	v_mov_b32_e32 v7, v8
	v_lshl_add_u64 v[6:7], v[6:7], 3, s[8:9]
	v_mov_b32_e32 v1, 0
	v_lshl_add_u64 v[6:7], v[6:7], 0, v[0:1]
	flat_load_dwordx2 v[6:7], v[6:7]
	v_lshlrev_b32_e32 v1, 3, v2
	v_lshl_add_u32 v1, v4, 7, v1
	s_waitcnt vmcnt(0) lgkmcnt(0)
	v_xor_b32_e32 v7, 0x80000000, v7
	ds_write_b64 v1, v[6:7]
.LBB173_3:
	s_or_b64 exec, exec, s[4:5]
	s_add_i32 s3, s23, -1
	s_ashr_i32 s4, s3, 31
	s_lshr_b32 s4, s4, 28
	s_add_i32 s3, s3, s4
	s_ashr_i32 s4, s3, 4
	s_and_b32 s3, s3, -16
	s_sub_i32 s3, s23, s3
	s_cmp_ge_i32 s2, s4
	s_cselect_b32 s3, s3, 16
	s_lshl_b32 s8, s2, 4
	v_cmp_gt_i32_e64 s[2:3], s3, v2
	s_ashr_i32 s9, s8, 31
	s_and_b64 s[2:3], vcc, s[2:3]
	s_and_saveexec_b64 s[4:5], s[2:3]
	s_cbranch_execz .LBB173_5
; %bb.4:
	s_lshl_b64 s[6:7], s[14:15], 3
	s_add_u32 s14, s26, s6
	s_addc_u32 s15, s27, s7
	s_mul_i32 s6, s12, s9
	s_mul_hi_u32 s7, s12, s8
	s_add_i32 s6, s7, s6
	s_mul_i32 s7, s13, s8
	s_add_i32 s7, s6, s7
	s_mul_i32 s6, s12, s8
	s_lshl_b64 s[6:7], s[6:7], 3
	s_add_u32 s6, s14, s6
	s_addc_u32 s7, s15, s7
	v_mad_u64_u32 v[6:7], s[14:15], s12, v2, 0
	v_mov_b32_e32 v8, v7
	v_mad_u64_u32 v[8:9], s[12:13], s13, v2, v[8:9]
	v_mov_b32_e32 v7, v8
	v_lshl_add_u64 v[6:7], v[6:7], 3, s[6:7]
	v_mov_b32_e32 v1, 0
	v_lshl_add_u64 v[6:7], v[6:7], 0, v[0:1]
	flat_load_dwordx2 v[6:7], v[6:7]
	v_add_u32_e32 v1, 0x800, v5
	s_waitcnt vmcnt(0) lgkmcnt(0)
	ds_write_b64 v1, v[6:7]
.LBB173_5:
	s_or_b64 exec, exec, s[4:5]
	s_cmpk_eq_i32 s21, 0x84
	s_cselect_b64 s[4:5], -1, 0
	v_cmp_eq_u32_e32 vcc, v2, v4
	s_and_b64 s[6:7], vcc, s[4:5]
	s_and_saveexec_b64 s[4:5], s[6:7]
; %bb.6:
	v_mov_b32_e32 v6, 1.0
	v_mov_b32_e32 v7, 0
	ds_write_b64 v5, v[6:7]
; %bb.7:
	s_or_b64 exec, exec, s[4:5]
	s_cmpk_lg_i32 s20, 0x7a
	s_waitcnt lgkmcnt(0)
	s_barrier
	s_cbranch_scc0 .LBB173_9
; %bb.8:
	v_cmp_lt_u32_e32 vcc, v4, v2
	s_and_b64 s[4:5], vcc, exec
	s_cbranch_execz .LBB173_10
	s_branch .LBB173_11
.LBB173_9:
	s_mov_b64 s[4:5], 0
.LBB173_10:
	v_cmp_gt_u32_e32 vcc, v4, v2
	s_andn2_b64 s[4:5], s[4:5], exec
	s_and_b64 s[6:7], vcc, exec
	s_or_b64 s[4:5], s[4:5], s[6:7]
.LBB173_11:
	s_and_saveexec_b64 s[6:7], s[4:5]
; %bb.12:
	v_mov_b32_e32 v6, 0
	v_mov_b32_e32 v7, v6
	ds_write_b64 v5, v[6:7]
; %bb.13:
	s_or_b64 exec, exec, s[6:7]
	s_waitcnt lgkmcnt(0)
	s_barrier
	s_and_saveexec_b64 s[4:5], s[2:3]
	s_cbranch_execz .LBB173_15
; %bb.14:
	v_lshlrev_b32_e32 v1, 3, v3
	ds_read_b128 v[4:7], v1 offset:2048
	ds_read2_b64 v[8:11], v0 offset1:16
	ds_read_b128 v[12:15], v1 offset:2064
	ds_read_b128 v[16:19], v1 offset:2080
	;; [unrolled: 1-line block ×3, first 2 shown]
	ds_read2_b64 v[24:27], v0 offset0:32 offset1:48
	s_load_dwordx2 s[0:1], s[0:1], 0x60
	s_mul_i32 s2, s18, s9
	s_waitcnt lgkmcnt(0)
	v_mul_f32_e32 v3, v4, v9
	v_fmac_f32_e32 v3, v5, v8
	v_mul_f32_e32 v28, v6, v11
	v_add_f32_e32 v3, 0, v3
	v_fmac_f32_e32 v28, v7, v10
	v_add_f32_e32 v3, v3, v28
	v_mul_f32_e32 v32, v12, v25
	ds_read2_b64 v[28:31], v0 offset0:64 offset1:80
	v_fmac_f32_e32 v32, v13, v24
	v_add_f32_e32 v3, v3, v32
	v_mul_f32_e32 v32, v14, v27
	v_fmac_f32_e32 v32, v15, v26
	v_add_f32_e32 v3, v3, v32
	ds_read2_b64 v[32:35], v0 offset0:96 offset1:112
	s_waitcnt lgkmcnt(1)
	v_mul_f32_e32 v36, v16, v29
	v_fmac_f32_e32 v36, v17, v28
	v_add_f32_e32 v3, v3, v36
	v_mul_f32_e32 v36, v18, v31
	v_fmac_f32_e32 v36, v19, v30
	v_add_f32_e32 v3, v3, v36
	s_waitcnt lgkmcnt(0)
	v_mul_f32_e32 v36, v20, v33
	v_fmac_f32_e32 v36, v21, v32
	v_add_f32_e32 v3, v3, v36
	ds_read_b128 v[36:39], v1 offset:2112
	ds_read2_b64 v[40:43], v0 offset0:128 offset1:144
	v_mul_f32_e32 v44, v22, v35
	v_fmac_f32_e32 v44, v23, v34
	v_add_f32_e32 v3, v3, v44
	ds_read_b128 v[44:47], v1 offset:2128
	ds_read2_b64 v[48:51], v0 offset0:160 offset1:176
	s_waitcnt lgkmcnt(2)
	v_mul_f32_e32 v52, v36, v41
	v_fmac_f32_e32 v52, v37, v40
	v_add_f32_e32 v3, v3, v52
	v_mul_f32_e32 v52, v38, v43
	v_fmac_f32_e32 v52, v39, v42
	v_add_f32_e32 v3, v3, v52
	s_waitcnt lgkmcnt(0)
	v_mul_f32_e32 v52, v44, v49
	v_fmac_f32_e32 v52, v45, v48
	v_add_f32_e32 v3, v3, v52
	v_mul_f32_e32 v52, v46, v51
	v_fmac_f32_e32 v52, v47, v50
	v_mul_f32_e32 v5, v5, v9
	v_add_f32_e32 v3, v3, v52
	ds_read2_b64 v[52:55], v0 offset0:192 offset1:208
	v_fma_f32 v56, v4, v8, -v5
	v_mul_f32_e32 v4, v7, v11
	v_fma_f32 v57, v6, v10, -v4
	ds_read_b128 v[4:7], v1 offset:2144
	ds_read_b128 v[8:11], v1 offset:2160
	v_mul_f32_e32 v1, v13, v25
	v_fma_f32 v1, v12, v24, -v1
	v_mul_f32_e32 v12, v15, v27
	v_fma_f32 v25, v14, v26, -v12
	ds_read2_b64 v[12:15], v0 offset0:224 offset1:240
	s_waitcnt lgkmcnt(2)
	v_mul_f32_e32 v24, v4, v53
	v_fmac_f32_e32 v24, v5, v52
	v_add_f32_e32 v3, v3, v24
	v_mul_f32_e32 v24, v6, v55
	v_fmac_f32_e32 v24, v7, v54
	v_add_f32_e32 v3, v3, v24
	s_waitcnt lgkmcnt(0)
	v_mul_f32_e32 v24, v8, v13
	v_fmac_f32_e32 v24, v9, v12
	v_add_f32_e32 v3, v3, v24
	v_mul_f32_e32 v24, v10, v15
	v_fmac_f32_e32 v24, v11, v14
	v_add_f32_e32 v24, v3, v24
	v_add_f32_e32 v3, 0, v56
	v_add_f32_e32 v3, v3, v57
	v_add_f32_e32 v1, v3, v1
	v_mul_f32_e32 v3, v17, v29
	v_add_f32_e32 v1, v1, v25
	v_fma_f32 v3, v16, v28, -v3
	v_add_f32_e32 v1, v1, v3
	v_mul_f32_e32 v3, v19, v31
	v_fma_f32 v3, v18, v30, -v3
	v_add_f32_e32 v1, v1, v3
	v_mul_f32_e32 v3, v21, v33
	;; [unrolled: 3-line block ×9, first 2 shown]
	s_lshl_b64 s[0:1], s[0:1], 3
	v_fma_f32 v3, v6, v54, -v3
	s_mul_hi_u32 s3, s18, s8
	s_add_u32 s5, s10, s0
	v_add_f32_e32 v1, v1, v3
	v_mul_f32_e32 v3, v9, v13
	s_mul_i32 s4, s19, s8
	s_addc_u32 s6, s11, s1
	s_add_i32 s0, s3, s2
	v_fma_f32 v3, v8, v12, -v3
	s_add_i32 s1, s0, s4
	s_mul_i32 s0, s18, s8
	v_add_f32_e32 v1, v1, v3
	v_mul_f32_e32 v3, v11, v15
	v_mad_u64_u32 v[6:7], s[2:3], s18, v2, 0
	s_lshl_b64 s[0:1], s[0:1], 3
	v_fma_f32 v3, v10, v14, -v3
	v_mov_b32_e32 v8, v7
	s_add_u32 s0, s5, s0
	v_add_f32_e32 v4, v1, v3
	v_mad_u64_u32 v[2:3], s[2:3], s19, v2, v[8:9]
	s_addc_u32 s1, s6, s1
	v_mov_b32_e32 v7, v2
	v_lshl_add_u64 v[2:3], v[6:7], 3, s[0:1]
	v_mov_b32_e32 v1, 0
	v_lshl_add_u64 v[0:1], v[2:3], 0, v[0:1]
	v_pk_mul_f32 v[2:3], s[24:25], v[24:25] op_sel:[1,0] op_sel_hi:[0,0]
	v_pk_fma_f32 v[6:7], s[24:25], v[4:5], v[2:3] neg_lo:[0,0,1] neg_hi:[0,0,1]
	v_pk_fma_f32 v[2:3], s[24:25], v[4:5], v[2:3] op_sel_hi:[1,0,1]
	s_nop 0
	v_mov_b32_e32 v7, v3
	flat_store_dwordx2 v[0:1], v[6:7]
.LBB173_15:
	s_endpgm
	.section	.rodata,"a",@progbits
	.p2align	6, 0x0
	.amdhsa_kernel _ZL23rocblas_trmm_lTx_kernelILi16ELb1E19rocblas_complex_numIfES1_KPKS1_KPS1_Ev13rocblas_fill_17rocblas_diagonal_iiT2_lPT3_llSB_llPT4_lli
		.amdhsa_group_segment_fixed_size 4096
		.amdhsa_private_segment_fixed_size 0
		.amdhsa_kernarg_size 108
		.amdhsa_user_sgpr_count 2
		.amdhsa_user_sgpr_dispatch_ptr 0
		.amdhsa_user_sgpr_queue_ptr 0
		.amdhsa_user_sgpr_kernarg_segment_ptr 1
		.amdhsa_user_sgpr_dispatch_id 0
		.amdhsa_user_sgpr_kernarg_preload_length 0
		.amdhsa_user_sgpr_kernarg_preload_offset 0
		.amdhsa_user_sgpr_private_segment_size 0
		.amdhsa_uses_dynamic_stack 0
		.amdhsa_enable_private_segment 0
		.amdhsa_system_sgpr_workgroup_id_x 1
		.amdhsa_system_sgpr_workgroup_id_y 0
		.amdhsa_system_sgpr_workgroup_id_z 1
		.amdhsa_system_sgpr_workgroup_info 0
		.amdhsa_system_vgpr_workitem_id 1
		.amdhsa_next_free_vgpr 58
		.amdhsa_next_free_sgpr 36
		.amdhsa_accum_offset 60
		.amdhsa_reserve_vcc 1
		.amdhsa_float_round_mode_32 0
		.amdhsa_float_round_mode_16_64 0
		.amdhsa_float_denorm_mode_32 3
		.amdhsa_float_denorm_mode_16_64 3
		.amdhsa_dx10_clamp 1
		.amdhsa_ieee_mode 1
		.amdhsa_fp16_overflow 0
		.amdhsa_tg_split 0
		.amdhsa_exception_fp_ieee_invalid_op 0
		.amdhsa_exception_fp_denorm_src 0
		.amdhsa_exception_fp_ieee_div_zero 0
		.amdhsa_exception_fp_ieee_overflow 0
		.amdhsa_exception_fp_ieee_underflow 0
		.amdhsa_exception_fp_ieee_inexact 0
		.amdhsa_exception_int_div_zero 0
	.end_amdhsa_kernel
	.section	.text._ZL23rocblas_trmm_lTx_kernelILi16ELb1E19rocblas_complex_numIfES1_KPKS1_KPS1_Ev13rocblas_fill_17rocblas_diagonal_iiT2_lPT3_llSB_llPT4_lli,"axG",@progbits,_ZL23rocblas_trmm_lTx_kernelILi16ELb1E19rocblas_complex_numIfES1_KPKS1_KPS1_Ev13rocblas_fill_17rocblas_diagonal_iiT2_lPT3_llSB_llPT4_lli,comdat
.Lfunc_end173:
	.size	_ZL23rocblas_trmm_lTx_kernelILi16ELb1E19rocblas_complex_numIfES1_KPKS1_KPS1_Ev13rocblas_fill_17rocblas_diagonal_iiT2_lPT3_llSB_llPT4_lli, .Lfunc_end173-_ZL23rocblas_trmm_lTx_kernelILi16ELb1E19rocblas_complex_numIfES1_KPKS1_KPS1_Ev13rocblas_fill_17rocblas_diagonal_iiT2_lPT3_llSB_llPT4_lli
                                        ; -- End function
	.set _ZL23rocblas_trmm_lTx_kernelILi16ELb1E19rocblas_complex_numIfES1_KPKS1_KPS1_Ev13rocblas_fill_17rocblas_diagonal_iiT2_lPT3_llSB_llPT4_lli.num_vgpr, 58
	.set _ZL23rocblas_trmm_lTx_kernelILi16ELb1E19rocblas_complex_numIfES1_KPKS1_KPS1_Ev13rocblas_fill_17rocblas_diagonal_iiT2_lPT3_llSB_llPT4_lli.num_agpr, 0
	.set _ZL23rocblas_trmm_lTx_kernelILi16ELb1E19rocblas_complex_numIfES1_KPKS1_KPS1_Ev13rocblas_fill_17rocblas_diagonal_iiT2_lPT3_llSB_llPT4_lli.numbered_sgpr, 36
	.set _ZL23rocblas_trmm_lTx_kernelILi16ELb1E19rocblas_complex_numIfES1_KPKS1_KPS1_Ev13rocblas_fill_17rocblas_diagonal_iiT2_lPT3_llSB_llPT4_lli.num_named_barrier, 0
	.set _ZL23rocblas_trmm_lTx_kernelILi16ELb1E19rocblas_complex_numIfES1_KPKS1_KPS1_Ev13rocblas_fill_17rocblas_diagonal_iiT2_lPT3_llSB_llPT4_lli.private_seg_size, 0
	.set _ZL23rocblas_trmm_lTx_kernelILi16ELb1E19rocblas_complex_numIfES1_KPKS1_KPS1_Ev13rocblas_fill_17rocblas_diagonal_iiT2_lPT3_llSB_llPT4_lli.uses_vcc, 1
	.set _ZL23rocblas_trmm_lTx_kernelILi16ELb1E19rocblas_complex_numIfES1_KPKS1_KPS1_Ev13rocblas_fill_17rocblas_diagonal_iiT2_lPT3_llSB_llPT4_lli.uses_flat_scratch, 0
	.set _ZL23rocblas_trmm_lTx_kernelILi16ELb1E19rocblas_complex_numIfES1_KPKS1_KPS1_Ev13rocblas_fill_17rocblas_diagonal_iiT2_lPT3_llSB_llPT4_lli.has_dyn_sized_stack, 0
	.set _ZL23rocblas_trmm_lTx_kernelILi16ELb1E19rocblas_complex_numIfES1_KPKS1_KPS1_Ev13rocblas_fill_17rocblas_diagonal_iiT2_lPT3_llSB_llPT4_lli.has_recursion, 0
	.set _ZL23rocblas_trmm_lTx_kernelILi16ELb1E19rocblas_complex_numIfES1_KPKS1_KPS1_Ev13rocblas_fill_17rocblas_diagonal_iiT2_lPT3_llSB_llPT4_lli.has_indirect_call, 0
	.section	.AMDGPU.csdata,"",@progbits
; Kernel info:
; codeLenInByte = 1372
; TotalNumSgprs: 42
; NumVgprs: 58
; NumAgprs: 0
; TotalNumVgprs: 58
; ScratchSize: 0
; MemoryBound: 0
; FloatMode: 240
; IeeeMode: 1
; LDSByteSize: 4096 bytes/workgroup (compile time only)
; SGPRBlocks: 5
; VGPRBlocks: 7
; NumSGPRsForWavesPerEU: 42
; NumVGPRsForWavesPerEU: 58
; AccumOffset: 60
; Occupancy: 8
; WaveLimiterHint : 1
; COMPUTE_PGM_RSRC2:SCRATCH_EN: 0
; COMPUTE_PGM_RSRC2:USER_SGPR: 2
; COMPUTE_PGM_RSRC2:TRAP_HANDLER: 0
; COMPUTE_PGM_RSRC2:TGID_X_EN: 1
; COMPUTE_PGM_RSRC2:TGID_Y_EN: 0
; COMPUTE_PGM_RSRC2:TGID_Z_EN: 1
; COMPUTE_PGM_RSRC2:TIDIG_COMP_CNT: 1
; COMPUTE_PGM_RSRC3_GFX90A:ACCUM_OFFSET: 14
; COMPUTE_PGM_RSRC3_GFX90A:TG_SPLIT: 0
	.section	.text._ZL23rocblas_trmm_rNx_kernelILi16E19rocblas_complex_numIfEPKS1_KS3_KPS1_Ev13rocblas_fill_17rocblas_diagonal_iiT1_lPT2_llSB_llPT3_lli,"axG",@progbits,_ZL23rocblas_trmm_rNx_kernelILi16E19rocblas_complex_numIfEPKS1_KS3_KPS1_Ev13rocblas_fill_17rocblas_diagonal_iiT1_lPT2_llSB_llPT3_lli,comdat
	.globl	_ZL23rocblas_trmm_rNx_kernelILi16E19rocblas_complex_numIfEPKS1_KS3_KPS1_Ev13rocblas_fill_17rocblas_diagonal_iiT1_lPT2_llSB_llPT3_lli ; -- Begin function _ZL23rocblas_trmm_rNx_kernelILi16E19rocblas_complex_numIfEPKS1_KS3_KPS1_Ev13rocblas_fill_17rocblas_diagonal_iiT1_lPT2_llSB_llPT3_lli
	.p2align	8
	.type	_ZL23rocblas_trmm_rNx_kernelILi16E19rocblas_complex_numIfEPKS1_KS3_KPS1_Ev13rocblas_fill_17rocblas_diagonal_iiT1_lPT2_llSB_llPT3_lli,@function
_ZL23rocblas_trmm_rNx_kernelILi16E19rocblas_complex_numIfEPKS1_KS3_KPS1_Ev13rocblas_fill_17rocblas_diagonal_iiT1_lPT2_llSB_llPT3_lli: ; @_ZL23rocblas_trmm_rNx_kernelILi16E19rocblas_complex_numIfEPKS1_KS3_KPS1_Ev13rocblas_fill_17rocblas_diagonal_iiT1_lPT2_llSB_llPT3_lli
; %bb.0:
	s_load_dwordx16 s[4:19], s[0:1], 0x10
	s_mov_b32 s28, s3
	s_mov_b32 s29, 0
	s_waitcnt lgkmcnt(0)
	s_mul_i32 s3, s7, s3
	s_mul_hi_u32 s7, s6, s28
	s_add_i32 s7, s7, s3
	s_mul_i32 s6, s6, s28
	s_lshl_b64 s[6:7], s[6:7], 3
	s_add_u32 s4, s4, s6
	s_addc_u32 s5, s5, s7
	s_load_dwordx2 s[24:25], s[4:5], 0x0
	s_waitcnt lgkmcnt(0)
	v_cmp_neq_f32_e64 s[4:5], s24, 0
	v_cmp_neq_f32_e64 s[6:7], s25, 0
	s_or_b64 s[4:5], s[4:5], s[6:7]
	s_andn2_b64 vcc, exec, s[4:5]
	s_cbranch_vccnz .LBB174_15
; %bb.1:
	s_load_dwordx4 s[20:23], s[0:1], 0x0
	s_load_dwordx4 s[4:7], s[0:1], 0x50
	s_lshl_b64 s[30:31], s[28:29], 3
	s_add_u32 s14, s14, s30
	s_addc_u32 s15, s15, s31
	s_load_dwordx2 s[26:27], s[14:15], 0x0
	s_waitcnt lgkmcnt(0)
	s_add_u32 s4, s4, s30
	s_addc_u32 s5, s5, s31
	s_load_dwordx2 s[14:15], s[4:5], 0x0
	v_bfe_u32 v2, v0, 10, 10
	v_and_b32_e32 v5, 0x3ff, v0
	v_lshlrev_b32_e32 v3, 4, v2
	s_mov_b32 s28, s29
	v_add_lshl_u32 v4, v3, v5, 3
	v_mov_b64_e32 v[0:1], s[28:29]
	v_cmp_gt_i32_e32 vcc, s23, v2
	v_cmp_gt_i32_e64 s[4:5], s23, v5
	ds_write2st64_b64 v4, v[0:1], v[0:1] offset1:4
	s_and_b64 s[28:29], vcc, s[4:5]
	v_lshlrev_b32_e32 v0, 3, v5
	s_and_saveexec_b64 s[4:5], s[28:29]
	s_cbranch_execz .LBB174_3
; %bb.2:
	s_add_u32 s8, s8, s30
	s_addc_u32 s9, s9, s31
	s_load_dwordx2 s[8:9], s[8:9], 0x0
	v_mad_u64_u32 v[6:7], s[28:29], s10, v2, 0
	s_lshl_b64 s[12:13], s[12:13], 3
	v_mov_b32_e32 v8, v7
	s_waitcnt lgkmcnt(0)
	s_add_u32 s8, s8, s12
	v_mad_u64_u32 v[8:9], s[10:11], s11, v2, v[8:9]
	s_addc_u32 s9, s9, s13
	v_mov_b32_e32 v7, v8
	v_lshl_add_u64 v[6:7], v[6:7], 3, s[8:9]
	v_mov_b32_e32 v1, 0
	v_lshl_add_u64 v[6:7], v[6:7], 0, v[0:1]
	flat_load_dwordx2 v[6:7], v[6:7]
	s_waitcnt vmcnt(0) lgkmcnt(0)
	ds_write_b64 v4, v[6:7]
.LBB174_3:
	s_or_b64 exec, exec, s[4:5]
	s_add_i32 s3, s22, -1
	s_ashr_i32 s4, s3, 31
	s_lshr_b32 s4, s4, 28
	s_add_i32 s3, s3, s4
	s_ashr_i32 s4, s3, 4
	s_and_b32 s3, s3, -16
	s_sub_i32 s3, s22, s3
	s_cmp_ge_i32 s2, s4
	s_cselect_b32 s3, s3, 16
	s_lshl_b32 s4, s2, 4
	v_cmp_gt_i32_e64 s[2:3], s3, v5
	s_ashr_i32 s5, s4, 31
	s_and_b64 s[2:3], vcc, s[2:3]
	s_and_saveexec_b64 s[8:9], s[2:3]
	s_cbranch_execz .LBB174_5
; %bb.4:
	s_lshl_b64 s[10:11], s[18:19], 3
	s_add_u32 s12, s26, s10
	s_addc_u32 s13, s27, s11
	s_lshl_b64 s[10:11], s[4:5], 3
	s_add_u32 s10, s12, s10
	s_addc_u32 s11, s13, s11
	v_mad_u64_u32 v[6:7], s[12:13], s16, v2, 0
	v_mov_b32_e32 v8, v7
	v_mad_u64_u32 v[8:9], s[12:13], s17, v2, v[8:9]
	v_mov_b32_e32 v7, v8
	v_lshl_add_u64 v[6:7], v[6:7], 3, s[10:11]
	v_mov_b32_e32 v1, 0
	v_lshl_add_u64 v[6:7], v[6:7], 0, v[0:1]
	flat_load_dwordx2 v[6:7], v[6:7]
	v_add_u32_e32 v1, 0x800, v4
	s_waitcnt vmcnt(0) lgkmcnt(0)
	ds_write_b64 v1, v[6:7]
.LBB174_5:
	s_or_b64 exec, exec, s[8:9]
	s_cmpk_eq_i32 s21, 0x84
	s_cselect_b64 s[8:9], -1, 0
	v_cmp_eq_u32_e32 vcc, v2, v5
	s_and_b64 s[10:11], vcc, s[8:9]
	s_and_saveexec_b64 s[8:9], s[10:11]
; %bb.6:
	v_mov_b32_e32 v6, 1.0
	v_mov_b32_e32 v7, 0
	ds_write_b64 v4, v[6:7]
; %bb.7:
	s_or_b64 exec, exec, s[8:9]
	s_cmpk_lg_i32 s20, 0x79
	s_cbranch_scc0 .LBB174_9
; %bb.8:
	v_cmp_lt_u32_e32 vcc, v5, v2
	s_and_b64 s[8:9], vcc, exec
	s_cbranch_execz .LBB174_10
	s_branch .LBB174_11
.LBB174_9:
	s_mov_b64 s[8:9], 0
.LBB174_10:
	v_cmp_gt_u32_e32 vcc, v5, v2
	s_andn2_b64 s[8:9], s[8:9], exec
	s_and_b64 s[10:11], vcc, exec
	s_or_b64 s[8:9], s[8:9], s[10:11]
.LBB174_11:
	s_and_saveexec_b64 s[10:11], s[8:9]
; %bb.12:
	v_mov_b32_e32 v6, 0
	v_mov_b32_e32 v7, v6
	ds_write_b64 v4, v[6:7]
; %bb.13:
	s_or_b64 exec, exec, s[10:11]
	s_waitcnt lgkmcnt(0)
	s_barrier
	s_and_saveexec_b64 s[8:9], s[2:3]
	s_cbranch_execz .LBB174_15
; %bb.14:
	v_lshlrev_b32_e32 v1, 3, v3
	v_add_u32_e32 v3, 0x800, v0
	ds_read_b128 v[4:7], v1
	ds_read2_b64 v[8:11], v3 offset1:16
	ds_read_b128 v[12:15], v1 offset:16
	ds_read_b128 v[16:19], v1 offset:32
	;; [unrolled: 1-line block ×3, first 2 shown]
	ds_read2_b64 v[24:27], v3 offset0:32 offset1:48
	s_load_dwordx2 s[0:1], s[0:1], 0x60
	s_waitcnt lgkmcnt(0)
	v_mul_f32_e32 v28, v4, v9
	v_fmac_f32_e32 v28, v5, v8
	v_mul_f32_e32 v29, v6, v11
	v_add_f32_e32 v28, 0, v28
	v_fmac_f32_e32 v29, v7, v10
	v_add_f32_e32 v32, v28, v29
	v_mul_f32_e32 v33, v12, v25
	ds_read2_b64 v[28:31], v3 offset0:64 offset1:80
	v_fmac_f32_e32 v33, v13, v24
	v_add_f32_e32 v32, v32, v33
	v_mul_f32_e32 v33, v14, v27
	v_fmac_f32_e32 v33, v15, v26
	v_add_f32_e32 v36, v32, v33
	ds_read2_b64 v[32:35], v3 offset0:96 offset1:112
	s_waitcnt lgkmcnt(1)
	v_mul_f32_e32 v37, v16, v29
	v_fmac_f32_e32 v37, v17, v28
	v_add_f32_e32 v36, v36, v37
	v_mul_f32_e32 v37, v18, v31
	v_fmac_f32_e32 v37, v19, v30
	v_add_f32_e32 v36, v36, v37
	s_waitcnt lgkmcnt(0)
	v_mul_f32_e32 v37, v20, v33
	v_fmac_f32_e32 v37, v21, v32
	v_add_f32_e32 v44, v36, v37
	ds_read_b128 v[36:39], v1 offset:64
	ds_read2_b64 v[40:43], v3 offset0:128 offset1:144
	v_mul_f32_e32 v45, v22, v35
	v_fmac_f32_e32 v45, v23, v34
	v_add_f32_e32 v52, v44, v45
	ds_read_b128 v[44:47], v1 offset:80
	ds_read2_b64 v[48:51], v3 offset0:160 offset1:176
	s_waitcnt lgkmcnt(2)
	v_mul_f32_e32 v53, v36, v41
	v_fmac_f32_e32 v53, v37, v40
	v_mul_f32_e32 v5, v5, v9
	v_add_f32_e32 v52, v52, v53
	v_mul_f32_e32 v53, v38, v43
	v_fma_f32 v57, v4, v8, -v5
	v_mul_f32_e32 v8, v13, v25
	v_fmac_f32_e32 v53, v39, v42
	v_mul_f32_e32 v4, v7, v11
	v_fma_f32 v25, v12, v24, -v8
	v_mul_f32_e32 v8, v15, v27
	v_add_f32_e32 v52, v52, v53
	v_fma_f32 v58, v6, v10, -v4
	v_fma_f32 v26, v14, v26, -v8
	ds_read_b128 v[8:11], v1 offset:112
	s_waitcnt lgkmcnt(1)
	v_mul_f32_e32 v53, v44, v49
	v_fmac_f32_e32 v53, v45, v48
	v_add_f32_e32 v52, v52, v53
	v_mul_f32_e32 v53, v46, v51
	v_fmac_f32_e32 v53, v47, v50
	v_add_f32_e32 v56, v52, v53
	ds_read_b128 v[52:55], v1 offset:96
	ds_read2_b64 v[4:7], v3 offset0:192 offset1:208
	ds_read2_b64 v[12:15], v3 offset0:224 offset1:240
	s_lshl_b64 s[0:1], s[0:1], 3
	s_add_u32 s2, s14, s0
	s_addc_u32 s3, s15, s1
	s_waitcnt lgkmcnt(1)
	v_mul_f32_e32 v1, v52, v5
	v_fmac_f32_e32 v1, v53, v4
	v_mul_f32_e32 v3, v54, v7
	v_add_f32_e32 v1, v56, v1
	v_fmac_f32_e32 v3, v55, v6
	v_add_f32_e32 v1, v1, v3
	s_waitcnt lgkmcnt(0)
	v_mul_f32_e32 v3, v8, v13
	v_fmac_f32_e32 v3, v9, v12
	v_add_f32_e32 v1, v1, v3
	v_mul_f32_e32 v3, v10, v15
	v_fmac_f32_e32 v3, v11, v14
	v_add_f32_e32 v24, v1, v3
	v_add_f32_e32 v1, 0, v57
	;; [unrolled: 1-line block ×4, first 2 shown]
	v_mul_f32_e32 v3, v17, v29
	v_add_f32_e32 v1, v1, v26
	v_fma_f32 v3, v16, v28, -v3
	v_add_f32_e32 v1, v1, v3
	v_mul_f32_e32 v3, v19, v31
	v_fma_f32 v3, v18, v30, -v3
	v_add_f32_e32 v1, v1, v3
	v_mul_f32_e32 v3, v21, v33
	;; [unrolled: 3-line block ×9, first 2 shown]
	v_fma_f32 v3, v54, v6, -v3
	s_lshl_b64 s[0:1], s[4:5], 3
	v_add_f32_e32 v1, v1, v3
	v_mul_f32_e32 v3, v9, v13
	s_add_u32 s0, s2, s0
	v_fma_f32 v3, v8, v12, -v3
	s_addc_u32 s1, s3, s1
	v_add_f32_e32 v1, v1, v3
	v_mul_f32_e32 v3, v11, v15
	v_mad_u64_u32 v[6:7], s[2:3], s6, v2, 0
	v_fma_f32 v3, v10, v14, -v3
	v_mov_b32_e32 v8, v7
	v_add_f32_e32 v4, v1, v3
	v_mad_u64_u32 v[2:3], s[2:3], s7, v2, v[8:9]
	v_mov_b32_e32 v7, v2
	v_lshl_add_u64 v[2:3], v[6:7], 3, s[0:1]
	v_mov_b32_e32 v1, 0
	v_lshl_add_u64 v[0:1], v[2:3], 0, v[0:1]
	v_pk_mul_f32 v[2:3], s[24:25], v[24:25] op_sel:[1,0] op_sel_hi:[0,0]
	v_pk_fma_f32 v[6:7], s[24:25], v[4:5], v[2:3] neg_lo:[0,0,1] neg_hi:[0,0,1]
	v_pk_fma_f32 v[2:3], s[24:25], v[4:5], v[2:3] op_sel_hi:[1,0,1]
	s_nop 0
	v_mov_b32_e32 v7, v3
	flat_store_dwordx2 v[0:1], v[6:7]
.LBB174_15:
	s_endpgm
	.section	.rodata,"a",@progbits
	.p2align	6, 0x0
	.amdhsa_kernel _ZL23rocblas_trmm_rNx_kernelILi16E19rocblas_complex_numIfEPKS1_KS3_KPS1_Ev13rocblas_fill_17rocblas_diagonal_iiT1_lPT2_llSB_llPT3_lli
		.amdhsa_group_segment_fixed_size 4096
		.amdhsa_private_segment_fixed_size 0
		.amdhsa_kernarg_size 108
		.amdhsa_user_sgpr_count 2
		.amdhsa_user_sgpr_dispatch_ptr 0
		.amdhsa_user_sgpr_queue_ptr 0
		.amdhsa_user_sgpr_kernarg_segment_ptr 1
		.amdhsa_user_sgpr_dispatch_id 0
		.amdhsa_user_sgpr_kernarg_preload_length 0
		.amdhsa_user_sgpr_kernarg_preload_offset 0
		.amdhsa_user_sgpr_private_segment_size 0
		.amdhsa_uses_dynamic_stack 0
		.amdhsa_enable_private_segment 0
		.amdhsa_system_sgpr_workgroup_id_x 1
		.amdhsa_system_sgpr_workgroup_id_y 0
		.amdhsa_system_sgpr_workgroup_id_z 1
		.amdhsa_system_sgpr_workgroup_info 0
		.amdhsa_system_vgpr_workitem_id 1
		.amdhsa_next_free_vgpr 59
		.amdhsa_next_free_sgpr 32
		.amdhsa_accum_offset 60
		.amdhsa_reserve_vcc 1
		.amdhsa_float_round_mode_32 0
		.amdhsa_float_round_mode_16_64 0
		.amdhsa_float_denorm_mode_32 3
		.amdhsa_float_denorm_mode_16_64 3
		.amdhsa_dx10_clamp 1
		.amdhsa_ieee_mode 1
		.amdhsa_fp16_overflow 0
		.amdhsa_tg_split 0
		.amdhsa_exception_fp_ieee_invalid_op 0
		.amdhsa_exception_fp_denorm_src 0
		.amdhsa_exception_fp_ieee_div_zero 0
		.amdhsa_exception_fp_ieee_overflow 0
		.amdhsa_exception_fp_ieee_underflow 0
		.amdhsa_exception_fp_ieee_inexact 0
		.amdhsa_exception_int_div_zero 0
	.end_amdhsa_kernel
	.section	.text._ZL23rocblas_trmm_rNx_kernelILi16E19rocblas_complex_numIfEPKS1_KS3_KPS1_Ev13rocblas_fill_17rocblas_diagonal_iiT1_lPT2_llSB_llPT3_lli,"axG",@progbits,_ZL23rocblas_trmm_rNx_kernelILi16E19rocblas_complex_numIfEPKS1_KS3_KPS1_Ev13rocblas_fill_17rocblas_diagonal_iiT1_lPT2_llSB_llPT3_lli,comdat
.Lfunc_end174:
	.size	_ZL23rocblas_trmm_rNx_kernelILi16E19rocblas_complex_numIfEPKS1_KS3_KPS1_Ev13rocblas_fill_17rocblas_diagonal_iiT1_lPT2_llSB_llPT3_lli, .Lfunc_end174-_ZL23rocblas_trmm_rNx_kernelILi16E19rocblas_complex_numIfEPKS1_KS3_KPS1_Ev13rocblas_fill_17rocblas_diagonal_iiT1_lPT2_llSB_llPT3_lli
                                        ; -- End function
	.set _ZL23rocblas_trmm_rNx_kernelILi16E19rocblas_complex_numIfEPKS1_KS3_KPS1_Ev13rocblas_fill_17rocblas_diagonal_iiT1_lPT2_llSB_llPT3_lli.num_vgpr, 59
	.set _ZL23rocblas_trmm_rNx_kernelILi16E19rocblas_complex_numIfEPKS1_KS3_KPS1_Ev13rocblas_fill_17rocblas_diagonal_iiT1_lPT2_llSB_llPT3_lli.num_agpr, 0
	.set _ZL23rocblas_trmm_rNx_kernelILi16E19rocblas_complex_numIfEPKS1_KS3_KPS1_Ev13rocblas_fill_17rocblas_diagonal_iiT1_lPT2_llSB_llPT3_lli.numbered_sgpr, 32
	.set _ZL23rocblas_trmm_rNx_kernelILi16E19rocblas_complex_numIfEPKS1_KS3_KPS1_Ev13rocblas_fill_17rocblas_diagonal_iiT1_lPT2_llSB_llPT3_lli.num_named_barrier, 0
	.set _ZL23rocblas_trmm_rNx_kernelILi16E19rocblas_complex_numIfEPKS1_KS3_KPS1_Ev13rocblas_fill_17rocblas_diagonal_iiT1_lPT2_llSB_llPT3_lli.private_seg_size, 0
	.set _ZL23rocblas_trmm_rNx_kernelILi16E19rocblas_complex_numIfEPKS1_KS3_KPS1_Ev13rocblas_fill_17rocblas_diagonal_iiT1_lPT2_llSB_llPT3_lli.uses_vcc, 1
	.set _ZL23rocblas_trmm_rNx_kernelILi16E19rocblas_complex_numIfEPKS1_KS3_KPS1_Ev13rocblas_fill_17rocblas_diagonal_iiT1_lPT2_llSB_llPT3_lli.uses_flat_scratch, 0
	.set _ZL23rocblas_trmm_rNx_kernelILi16E19rocblas_complex_numIfEPKS1_KS3_KPS1_Ev13rocblas_fill_17rocblas_diagonal_iiT1_lPT2_llSB_llPT3_lli.has_dyn_sized_stack, 0
	.set _ZL23rocblas_trmm_rNx_kernelILi16E19rocblas_complex_numIfEPKS1_KS3_KPS1_Ev13rocblas_fill_17rocblas_diagonal_iiT1_lPT2_llSB_llPT3_lli.has_recursion, 0
	.set _ZL23rocblas_trmm_rNx_kernelILi16E19rocblas_complex_numIfEPKS1_KS3_KPS1_Ev13rocblas_fill_17rocblas_diagonal_iiT1_lPT2_llSB_llPT3_lli.has_indirect_call, 0
	.section	.AMDGPU.csdata,"",@progbits
; Kernel info:
; codeLenInByte = 1340
; TotalNumSgprs: 38
; NumVgprs: 59
; NumAgprs: 0
; TotalNumVgprs: 59
; ScratchSize: 0
; MemoryBound: 0
; FloatMode: 240
; IeeeMode: 1
; LDSByteSize: 4096 bytes/workgroup (compile time only)
; SGPRBlocks: 4
; VGPRBlocks: 7
; NumSGPRsForWavesPerEU: 38
; NumVGPRsForWavesPerEU: 59
; AccumOffset: 60
; Occupancy: 8
; WaveLimiterHint : 1
; COMPUTE_PGM_RSRC2:SCRATCH_EN: 0
; COMPUTE_PGM_RSRC2:USER_SGPR: 2
; COMPUTE_PGM_RSRC2:TRAP_HANDLER: 0
; COMPUTE_PGM_RSRC2:TGID_X_EN: 1
; COMPUTE_PGM_RSRC2:TGID_Y_EN: 0
; COMPUTE_PGM_RSRC2:TGID_Z_EN: 1
; COMPUTE_PGM_RSRC2:TIDIG_COMP_CNT: 1
; COMPUTE_PGM_RSRC3_GFX90A:ACCUM_OFFSET: 14
; COMPUTE_PGM_RSRC3_GFX90A:TG_SPLIT: 0
	.section	.text._ZL23rocblas_trmm_rNx_kernelILi16E19rocblas_complex_numIfES1_KPKS1_KPS1_Ev13rocblas_fill_17rocblas_diagonal_iiT1_lPT2_llSB_llPT3_lli,"axG",@progbits,_ZL23rocblas_trmm_rNx_kernelILi16E19rocblas_complex_numIfES1_KPKS1_KPS1_Ev13rocblas_fill_17rocblas_diagonal_iiT1_lPT2_llSB_llPT3_lli,comdat
	.globl	_ZL23rocblas_trmm_rNx_kernelILi16E19rocblas_complex_numIfES1_KPKS1_KPS1_Ev13rocblas_fill_17rocblas_diagonal_iiT1_lPT2_llSB_llPT3_lli ; -- Begin function _ZL23rocblas_trmm_rNx_kernelILi16E19rocblas_complex_numIfES1_KPKS1_KPS1_Ev13rocblas_fill_17rocblas_diagonal_iiT1_lPT2_llSB_llPT3_lli
	.p2align	8
	.type	_ZL23rocblas_trmm_rNx_kernelILi16E19rocblas_complex_numIfES1_KPKS1_KPS1_Ev13rocblas_fill_17rocblas_diagonal_iiT1_lPT2_llSB_llPT3_lli,@function
_ZL23rocblas_trmm_rNx_kernelILi16E19rocblas_complex_numIfES1_KPKS1_KPS1_Ev13rocblas_fill_17rocblas_diagonal_iiT1_lPT2_llSB_llPT3_lli: ; @_ZL23rocblas_trmm_rNx_kernelILi16E19rocblas_complex_numIfES1_KPKS1_KPS1_Ev13rocblas_fill_17rocblas_diagonal_iiT1_lPT2_llSB_llPT3_lli
; %bb.0:
	s_load_dwordx2 s[6:7], s[0:1], 0x10
	s_mov_b32 s5, 0
	s_waitcnt lgkmcnt(0)
	v_cmp_neq_f32_e64 s[8:9], s6, 0
	v_cmp_neq_f32_e64 s[10:11], s7, 0
	s_or_b64 s[8:9], s[8:9], s[10:11]
	s_andn2_b64 vcc, exec, s[8:9]
	s_cbranch_vccnz .LBB175_15
; %bb.1:
	s_load_dwordx16 s[8:23], s[0:1], 0x20
	s_load_dwordx4 s[24:27], s[0:1], 0x0
	s_mov_b32 s4, s3
	s_lshl_b64 s[30:31], s[4:5], 3
	v_bfe_u32 v2, v0, 10, 10
	s_waitcnt lgkmcnt(0)
	s_add_u32 s14, s14, s30
	s_addc_u32 s15, s15, s31
	s_load_dwordx2 s[28:29], s[14:15], 0x0
	s_add_u32 s14, s20, s30
	s_addc_u32 s15, s21, s31
	s_load_dwordx2 s[14:15], s[14:15], 0x0
	v_and_b32_e32 v5, 0x3ff, v0
	v_lshlrev_b32_e32 v3, 4, v2
	s_mov_b32 s4, s5
	v_add_lshl_u32 v4, v3, v5, 3
	v_mov_b64_e32 v[0:1], s[4:5]
	v_cmp_gt_i32_e32 vcc, s27, v2
	v_cmp_gt_i32_e64 s[4:5], s27, v5
	ds_write2st64_b64 v4, v[0:1], v[0:1] offset1:4
	s_and_b64 s[20:21], vcc, s[4:5]
	v_lshlrev_b32_e32 v0, 3, v5
	s_and_saveexec_b64 s[4:5], s[20:21]
	s_cbranch_execz .LBB175_3
; %bb.2:
	s_add_u32 s8, s8, s30
	s_addc_u32 s9, s9, s31
	s_load_dwordx2 s[8:9], s[8:9], 0x0
	v_mad_u64_u32 v[6:7], s[20:21], s10, v2, 0
	s_lshl_b64 s[12:13], s[12:13], 3
	v_mov_b32_e32 v8, v7
	s_waitcnt lgkmcnt(0)
	s_add_u32 s8, s8, s12
	v_mad_u64_u32 v[8:9], s[10:11], s11, v2, v[8:9]
	s_addc_u32 s9, s9, s13
	v_mov_b32_e32 v7, v8
	v_lshl_add_u64 v[6:7], v[6:7], 3, s[8:9]
	v_mov_b32_e32 v1, 0
	v_lshl_add_u64 v[6:7], v[6:7], 0, v[0:1]
	flat_load_dwordx2 v[6:7], v[6:7]
	s_waitcnt vmcnt(0) lgkmcnt(0)
	ds_write_b64 v4, v[6:7]
.LBB175_3:
	s_or_b64 exec, exec, s[4:5]
	s_add_i32 s3, s26, -1
	s_ashr_i32 s4, s3, 31
	s_lshr_b32 s4, s4, 28
	s_add_i32 s3, s3, s4
	s_ashr_i32 s4, s3, 4
	s_and_b32 s3, s3, -16
	s_sub_i32 s3, s26, s3
	s_cmp_ge_i32 s2, s4
	s_cselect_b32 s3, s3, 16
	s_lshl_b32 s4, s2, 4
	v_cmp_gt_i32_e64 s[2:3], s3, v5
	s_ashr_i32 s5, s4, 31
	s_and_b64 s[2:3], vcc, s[2:3]
	s_and_saveexec_b64 s[8:9], s[2:3]
	s_cbranch_execz .LBB175_5
; %bb.4:
	s_lshl_b64 s[10:11], s[18:19], 3
	s_waitcnt lgkmcnt(0)
	s_add_u32 s12, s28, s10
	s_addc_u32 s13, s29, s11
	s_lshl_b64 s[10:11], s[4:5], 3
	s_add_u32 s10, s12, s10
	s_addc_u32 s11, s13, s11
	v_mad_u64_u32 v[6:7], s[12:13], s16, v2, 0
	v_mov_b32_e32 v8, v7
	v_mad_u64_u32 v[8:9], s[12:13], s17, v2, v[8:9]
	v_mov_b32_e32 v7, v8
	v_lshl_add_u64 v[6:7], v[6:7], 3, s[10:11]
	v_mov_b32_e32 v1, 0
	v_lshl_add_u64 v[6:7], v[6:7], 0, v[0:1]
	flat_load_dwordx2 v[6:7], v[6:7]
	v_add_u32_e32 v1, 0x800, v4
	s_waitcnt vmcnt(0) lgkmcnt(0)
	ds_write_b64 v1, v[6:7]
.LBB175_5:
	s_or_b64 exec, exec, s[8:9]
	s_cmpk_eq_i32 s25, 0x84
	s_cselect_b64 s[8:9], -1, 0
	v_cmp_eq_u32_e32 vcc, v2, v5
	s_and_b64 s[10:11], vcc, s[8:9]
	s_and_saveexec_b64 s[8:9], s[10:11]
; %bb.6:
	v_mov_b32_e32 v6, 1.0
	v_mov_b32_e32 v7, 0
	ds_write_b64 v4, v[6:7]
; %bb.7:
	s_or_b64 exec, exec, s[8:9]
	s_cmpk_lg_i32 s24, 0x79
	s_cbranch_scc0 .LBB175_9
; %bb.8:
	v_cmp_lt_u32_e32 vcc, v5, v2
	s_and_b64 s[8:9], vcc, exec
	s_cbranch_execz .LBB175_10
	s_branch .LBB175_11
.LBB175_9:
	s_mov_b64 s[8:9], 0
.LBB175_10:
	v_cmp_gt_u32_e32 vcc, v5, v2
	s_andn2_b64 s[8:9], s[8:9], exec
	s_and_b64 s[10:11], vcc, exec
	s_or_b64 s[8:9], s[8:9], s[10:11]
.LBB175_11:
	s_and_saveexec_b64 s[10:11], s[8:9]
; %bb.12:
	v_mov_b32_e32 v6, 0
	v_mov_b32_e32 v7, v6
	ds_write_b64 v4, v[6:7]
; %bb.13:
	s_or_b64 exec, exec, s[10:11]
	s_waitcnt lgkmcnt(0)
	s_barrier
	s_and_saveexec_b64 s[8:9], s[2:3]
	s_cbranch_execz .LBB175_15
; %bb.14:
	v_lshlrev_b32_e32 v1, 3, v3
	v_add_u32_e32 v3, 0x800, v0
	ds_read_b128 v[4:7], v1
	ds_read2_b64 v[8:11], v3 offset1:16
	ds_read_b128 v[12:15], v1 offset:16
	ds_read_b128 v[16:19], v1 offset:32
	;; [unrolled: 1-line block ×3, first 2 shown]
	ds_read2_b64 v[24:27], v3 offset0:32 offset1:48
	s_load_dwordx2 s[0:1], s[0:1], 0x60
	s_waitcnt lgkmcnt(0)
	v_mul_f32_e32 v28, v4, v9
	v_fmac_f32_e32 v28, v5, v8
	v_mul_f32_e32 v29, v6, v11
	v_add_f32_e32 v28, 0, v28
	v_fmac_f32_e32 v29, v7, v10
	v_add_f32_e32 v32, v28, v29
	v_mul_f32_e32 v33, v12, v25
	ds_read2_b64 v[28:31], v3 offset0:64 offset1:80
	v_fmac_f32_e32 v33, v13, v24
	v_add_f32_e32 v32, v32, v33
	v_mul_f32_e32 v33, v14, v27
	v_fmac_f32_e32 v33, v15, v26
	v_add_f32_e32 v36, v32, v33
	ds_read2_b64 v[32:35], v3 offset0:96 offset1:112
	s_waitcnt lgkmcnt(1)
	v_mul_f32_e32 v37, v16, v29
	v_fmac_f32_e32 v37, v17, v28
	v_add_f32_e32 v36, v36, v37
	v_mul_f32_e32 v37, v18, v31
	v_fmac_f32_e32 v37, v19, v30
	v_add_f32_e32 v36, v36, v37
	s_waitcnt lgkmcnt(0)
	v_mul_f32_e32 v37, v20, v33
	v_fmac_f32_e32 v37, v21, v32
	v_add_f32_e32 v44, v36, v37
	ds_read_b128 v[36:39], v1 offset:64
	ds_read2_b64 v[40:43], v3 offset0:128 offset1:144
	v_mul_f32_e32 v45, v22, v35
	v_fmac_f32_e32 v45, v23, v34
	v_add_f32_e32 v52, v44, v45
	ds_read_b128 v[44:47], v1 offset:80
	ds_read2_b64 v[48:51], v3 offset0:160 offset1:176
	s_waitcnt lgkmcnt(2)
	v_mul_f32_e32 v53, v36, v41
	v_fmac_f32_e32 v53, v37, v40
	v_mul_f32_e32 v5, v5, v9
	v_add_f32_e32 v52, v52, v53
	v_mul_f32_e32 v53, v38, v43
	v_fma_f32 v57, v4, v8, -v5
	v_mul_f32_e32 v8, v13, v25
	v_fmac_f32_e32 v53, v39, v42
	v_mul_f32_e32 v4, v7, v11
	v_fma_f32 v25, v12, v24, -v8
	v_mul_f32_e32 v8, v15, v27
	v_add_f32_e32 v52, v52, v53
	v_fma_f32 v58, v6, v10, -v4
	v_fma_f32 v26, v14, v26, -v8
	ds_read_b128 v[8:11], v1 offset:112
	s_waitcnt lgkmcnt(1)
	v_mul_f32_e32 v53, v44, v49
	v_fmac_f32_e32 v53, v45, v48
	v_add_f32_e32 v52, v52, v53
	v_mul_f32_e32 v53, v46, v51
	v_fmac_f32_e32 v53, v47, v50
	v_add_f32_e32 v56, v52, v53
	ds_read_b128 v[52:55], v1 offset:96
	ds_read2_b64 v[4:7], v3 offset0:192 offset1:208
	ds_read2_b64 v[12:15], v3 offset0:224 offset1:240
	s_lshl_b64 s[0:1], s[0:1], 3
	s_add_u32 s2, s14, s0
	s_addc_u32 s3, s15, s1
	s_waitcnt lgkmcnt(1)
	v_mul_f32_e32 v1, v52, v5
	v_fmac_f32_e32 v1, v53, v4
	v_mul_f32_e32 v3, v54, v7
	v_add_f32_e32 v1, v56, v1
	v_fmac_f32_e32 v3, v55, v6
	v_add_f32_e32 v1, v1, v3
	s_waitcnt lgkmcnt(0)
	v_mul_f32_e32 v3, v8, v13
	v_fmac_f32_e32 v3, v9, v12
	v_add_f32_e32 v1, v1, v3
	v_mul_f32_e32 v3, v10, v15
	v_fmac_f32_e32 v3, v11, v14
	v_add_f32_e32 v24, v1, v3
	v_add_f32_e32 v1, 0, v57
	v_add_f32_e32 v1, v1, v58
	v_add_f32_e32 v1, v1, v25
	v_mul_f32_e32 v3, v17, v29
	v_add_f32_e32 v1, v1, v26
	v_fma_f32 v3, v16, v28, -v3
	v_add_f32_e32 v1, v1, v3
	v_mul_f32_e32 v3, v19, v31
	v_fma_f32 v3, v18, v30, -v3
	v_add_f32_e32 v1, v1, v3
	v_mul_f32_e32 v3, v21, v33
	;; [unrolled: 3-line block ×9, first 2 shown]
	v_fma_f32 v3, v54, v6, -v3
	s_lshl_b64 s[0:1], s[4:5], 3
	v_add_f32_e32 v1, v1, v3
	v_mul_f32_e32 v3, v9, v13
	s_add_u32 s0, s2, s0
	v_fma_f32 v3, v8, v12, -v3
	s_addc_u32 s1, s3, s1
	v_add_f32_e32 v1, v1, v3
	v_mul_f32_e32 v3, v11, v15
	v_mad_u64_u32 v[6:7], s[2:3], s22, v2, 0
	v_fma_f32 v3, v10, v14, -v3
	v_mov_b32_e32 v8, v7
	v_add_f32_e32 v4, v1, v3
	v_mad_u64_u32 v[2:3], s[2:3], s23, v2, v[8:9]
	v_mov_b32_e32 v7, v2
	v_lshl_add_u64 v[2:3], v[6:7], 3, s[0:1]
	v_mov_b32_e32 v1, 0
	v_lshl_add_u64 v[0:1], v[2:3], 0, v[0:1]
	v_pk_mul_f32 v[2:3], s[6:7], v[24:25] op_sel:[1,0] op_sel_hi:[0,0]
	v_pk_fma_f32 v[6:7], s[6:7], v[4:5], v[2:3] neg_lo:[0,0,1] neg_hi:[0,0,1]
	v_pk_fma_f32 v[2:3], s[6:7], v[4:5], v[2:3] op_sel_hi:[1,0,1]
	s_nop 0
	v_mov_b32_e32 v7, v3
	flat_store_dwordx2 v[0:1], v[6:7]
.LBB175_15:
	s_endpgm
	.section	.rodata,"a",@progbits
	.p2align	6, 0x0
	.amdhsa_kernel _ZL23rocblas_trmm_rNx_kernelILi16E19rocblas_complex_numIfES1_KPKS1_KPS1_Ev13rocblas_fill_17rocblas_diagonal_iiT1_lPT2_llSB_llPT3_lli
		.amdhsa_group_segment_fixed_size 4096
		.amdhsa_private_segment_fixed_size 0
		.amdhsa_kernarg_size 108
		.amdhsa_user_sgpr_count 2
		.amdhsa_user_sgpr_dispatch_ptr 0
		.amdhsa_user_sgpr_queue_ptr 0
		.amdhsa_user_sgpr_kernarg_segment_ptr 1
		.amdhsa_user_sgpr_dispatch_id 0
		.amdhsa_user_sgpr_kernarg_preload_length 0
		.amdhsa_user_sgpr_kernarg_preload_offset 0
		.amdhsa_user_sgpr_private_segment_size 0
		.amdhsa_uses_dynamic_stack 0
		.amdhsa_enable_private_segment 0
		.amdhsa_system_sgpr_workgroup_id_x 1
		.amdhsa_system_sgpr_workgroup_id_y 0
		.amdhsa_system_sgpr_workgroup_id_z 1
		.amdhsa_system_sgpr_workgroup_info 0
		.amdhsa_system_vgpr_workitem_id 1
		.amdhsa_next_free_vgpr 59
		.amdhsa_next_free_sgpr 32
		.amdhsa_accum_offset 60
		.amdhsa_reserve_vcc 1
		.amdhsa_float_round_mode_32 0
		.amdhsa_float_round_mode_16_64 0
		.amdhsa_float_denorm_mode_32 3
		.amdhsa_float_denorm_mode_16_64 3
		.amdhsa_dx10_clamp 1
		.amdhsa_ieee_mode 1
		.amdhsa_fp16_overflow 0
		.amdhsa_tg_split 0
		.amdhsa_exception_fp_ieee_invalid_op 0
		.amdhsa_exception_fp_denorm_src 0
		.amdhsa_exception_fp_ieee_div_zero 0
		.amdhsa_exception_fp_ieee_overflow 0
		.amdhsa_exception_fp_ieee_underflow 0
		.amdhsa_exception_fp_ieee_inexact 0
		.amdhsa_exception_int_div_zero 0
	.end_amdhsa_kernel
	.section	.text._ZL23rocblas_trmm_rNx_kernelILi16E19rocblas_complex_numIfES1_KPKS1_KPS1_Ev13rocblas_fill_17rocblas_diagonal_iiT1_lPT2_llSB_llPT3_lli,"axG",@progbits,_ZL23rocblas_trmm_rNx_kernelILi16E19rocblas_complex_numIfES1_KPKS1_KPS1_Ev13rocblas_fill_17rocblas_diagonal_iiT1_lPT2_llSB_llPT3_lli,comdat
.Lfunc_end175:
	.size	_ZL23rocblas_trmm_rNx_kernelILi16E19rocblas_complex_numIfES1_KPKS1_KPS1_Ev13rocblas_fill_17rocblas_diagonal_iiT1_lPT2_llSB_llPT3_lli, .Lfunc_end175-_ZL23rocblas_trmm_rNx_kernelILi16E19rocblas_complex_numIfES1_KPKS1_KPS1_Ev13rocblas_fill_17rocblas_diagonal_iiT1_lPT2_llSB_llPT3_lli
                                        ; -- End function
	.set _ZL23rocblas_trmm_rNx_kernelILi16E19rocblas_complex_numIfES1_KPKS1_KPS1_Ev13rocblas_fill_17rocblas_diagonal_iiT1_lPT2_llSB_llPT3_lli.num_vgpr, 59
	.set _ZL23rocblas_trmm_rNx_kernelILi16E19rocblas_complex_numIfES1_KPKS1_KPS1_Ev13rocblas_fill_17rocblas_diagonal_iiT1_lPT2_llSB_llPT3_lli.num_agpr, 0
	.set _ZL23rocblas_trmm_rNx_kernelILi16E19rocblas_complex_numIfES1_KPKS1_KPS1_Ev13rocblas_fill_17rocblas_diagonal_iiT1_lPT2_llSB_llPT3_lli.numbered_sgpr, 32
	.set _ZL23rocblas_trmm_rNx_kernelILi16E19rocblas_complex_numIfES1_KPKS1_KPS1_Ev13rocblas_fill_17rocblas_diagonal_iiT1_lPT2_llSB_llPT3_lli.num_named_barrier, 0
	.set _ZL23rocblas_trmm_rNx_kernelILi16E19rocblas_complex_numIfES1_KPKS1_KPS1_Ev13rocblas_fill_17rocblas_diagonal_iiT1_lPT2_llSB_llPT3_lli.private_seg_size, 0
	.set _ZL23rocblas_trmm_rNx_kernelILi16E19rocblas_complex_numIfES1_KPKS1_KPS1_Ev13rocblas_fill_17rocblas_diagonal_iiT1_lPT2_llSB_llPT3_lli.uses_vcc, 1
	.set _ZL23rocblas_trmm_rNx_kernelILi16E19rocblas_complex_numIfES1_KPKS1_KPS1_Ev13rocblas_fill_17rocblas_diagonal_iiT1_lPT2_llSB_llPT3_lli.uses_flat_scratch, 0
	.set _ZL23rocblas_trmm_rNx_kernelILi16E19rocblas_complex_numIfES1_KPKS1_KPS1_Ev13rocblas_fill_17rocblas_diagonal_iiT1_lPT2_llSB_llPT3_lli.has_dyn_sized_stack, 0
	.set _ZL23rocblas_trmm_rNx_kernelILi16E19rocblas_complex_numIfES1_KPKS1_KPS1_Ev13rocblas_fill_17rocblas_diagonal_iiT1_lPT2_llSB_llPT3_lli.has_recursion, 0
	.set _ZL23rocblas_trmm_rNx_kernelILi16E19rocblas_complex_numIfES1_KPKS1_KPS1_Ev13rocblas_fill_17rocblas_diagonal_iiT1_lPT2_llSB_llPT3_lli.has_indirect_call, 0
	.section	.AMDGPU.csdata,"",@progbits
; Kernel info:
; codeLenInByte = 1304
; TotalNumSgprs: 38
; NumVgprs: 59
; NumAgprs: 0
; TotalNumVgprs: 59
; ScratchSize: 0
; MemoryBound: 0
; FloatMode: 240
; IeeeMode: 1
; LDSByteSize: 4096 bytes/workgroup (compile time only)
; SGPRBlocks: 4
; VGPRBlocks: 7
; NumSGPRsForWavesPerEU: 38
; NumVGPRsForWavesPerEU: 59
; AccumOffset: 60
; Occupancy: 8
; WaveLimiterHint : 1
; COMPUTE_PGM_RSRC2:SCRATCH_EN: 0
; COMPUTE_PGM_RSRC2:USER_SGPR: 2
; COMPUTE_PGM_RSRC2:TRAP_HANDLER: 0
; COMPUTE_PGM_RSRC2:TGID_X_EN: 1
; COMPUTE_PGM_RSRC2:TGID_Y_EN: 0
; COMPUTE_PGM_RSRC2:TGID_Z_EN: 1
; COMPUTE_PGM_RSRC2:TIDIG_COMP_CNT: 1
; COMPUTE_PGM_RSRC3_GFX90A:ACCUM_OFFSET: 14
; COMPUTE_PGM_RSRC3_GFX90A:TG_SPLIT: 0
	.section	.text._ZL23rocblas_trmm_rTx_kernelILi16ELb0E19rocblas_complex_numIfEPKS1_KS3_KPS1_Ev13rocblas_fill_17rocblas_diagonal_iiT2_lPT3_llSB_llPT4_lli,"axG",@progbits,_ZL23rocblas_trmm_rTx_kernelILi16ELb0E19rocblas_complex_numIfEPKS1_KS3_KPS1_Ev13rocblas_fill_17rocblas_diagonal_iiT2_lPT3_llSB_llPT4_lli,comdat
	.globl	_ZL23rocblas_trmm_rTx_kernelILi16ELb0E19rocblas_complex_numIfEPKS1_KS3_KPS1_Ev13rocblas_fill_17rocblas_diagonal_iiT2_lPT3_llSB_llPT4_lli ; -- Begin function _ZL23rocblas_trmm_rTx_kernelILi16ELb0E19rocblas_complex_numIfEPKS1_KS3_KPS1_Ev13rocblas_fill_17rocblas_diagonal_iiT2_lPT3_llSB_llPT4_lli
	.p2align	8
	.type	_ZL23rocblas_trmm_rTx_kernelILi16ELb0E19rocblas_complex_numIfEPKS1_KS3_KPS1_Ev13rocblas_fill_17rocblas_diagonal_iiT2_lPT3_llSB_llPT4_lli,@function
_ZL23rocblas_trmm_rTx_kernelILi16ELb0E19rocblas_complex_numIfEPKS1_KS3_KPS1_Ev13rocblas_fill_17rocblas_diagonal_iiT2_lPT3_llSB_llPT4_lli: ; @_ZL23rocblas_trmm_rTx_kernelILi16ELb0E19rocblas_complex_numIfEPKS1_KS3_KPS1_Ev13rocblas_fill_17rocblas_diagonal_iiT2_lPT3_llSB_llPT4_lli
; %bb.0:
	s_load_dwordx16 s[4:19], s[0:1], 0x10
	s_mov_b32 s28, s3
	s_mov_b32 s29, 0
	s_waitcnt lgkmcnt(0)
	s_mul_i32 s3, s7, s3
	s_mul_hi_u32 s7, s6, s28
	s_add_i32 s7, s7, s3
	s_mul_i32 s6, s6, s28
	s_lshl_b64 s[6:7], s[6:7], 3
	s_add_u32 s4, s4, s6
	s_addc_u32 s5, s5, s7
	s_load_dwordx2 s[24:25], s[4:5], 0x0
	s_waitcnt lgkmcnt(0)
	v_cmp_neq_f32_e64 s[4:5], s24, 0
	v_cmp_neq_f32_e64 s[6:7], s25, 0
	s_or_b64 s[4:5], s[4:5], s[6:7]
	s_andn2_b64 vcc, exec, s[4:5]
	s_cbranch_vccnz .LBB176_15
; %bb.1:
	s_load_dwordx4 s[20:23], s[0:1], 0x0
	s_load_dwordx4 s[4:7], s[0:1], 0x50
	s_lshl_b64 s[30:31], s[28:29], 3
	s_add_u32 s14, s14, s30
	s_addc_u32 s15, s15, s31
	s_load_dwordx2 s[26:27], s[14:15], 0x0
	s_waitcnt lgkmcnt(0)
	s_add_u32 s4, s4, s30
	s_addc_u32 s5, s5, s31
	s_load_dwordx2 s[14:15], s[4:5], 0x0
	v_bfe_u32 v2, v0, 10, 10
	v_and_b32_e32 v4, 0x3ff, v0
	v_lshlrev_b32_e32 v0, 4, v2
	s_mov_b32 s28, s29
	v_add_lshl_u32 v3, v0, v4, 3
	v_mov_b64_e32 v[0:1], s[28:29]
	v_cmp_gt_i32_e32 vcc, s23, v2
	v_cmp_gt_i32_e64 s[4:5], s23, v4
	ds_write2st64_b64 v3, v[0:1], v[0:1] offset1:4
	s_and_b64 s[28:29], vcc, s[4:5]
	v_lshlrev_b32_e32 v0, 3, v4
	s_and_saveexec_b64 s[4:5], s[28:29]
	s_cbranch_execz .LBB176_3
; %bb.2:
	s_add_u32 s8, s8, s30
	s_addc_u32 s9, s9, s31
	s_load_dwordx2 s[8:9], s[8:9], 0x0
	v_mad_u64_u32 v[6:7], s[28:29], s10, v2, 0
	s_lshl_b64 s[12:13], s[12:13], 3
	v_mov_b32_e32 v8, v7
	s_waitcnt lgkmcnt(0)
	s_add_u32 s8, s8, s12
	v_mad_u64_u32 v[8:9], s[10:11], s11, v2, v[8:9]
	s_addc_u32 s9, s9, s13
	v_mov_b32_e32 v7, v8
	v_lshl_add_u64 v[6:7], v[6:7], 3, s[8:9]
	v_mov_b32_e32 v1, 0
	v_lshl_add_u64 v[6:7], v[6:7], 0, v[0:1]
	flat_load_dwordx2 v[6:7], v[6:7]
	s_waitcnt vmcnt(0) lgkmcnt(0)
	ds_write_b64 v3, v[6:7]
.LBB176_3:
	s_or_b64 exec, exec, s[4:5]
	s_add_i32 s3, s22, -1
	s_ashr_i32 s4, s3, 31
	s_lshr_b32 s4, s4, 28
	s_add_i32 s3, s3, s4
	s_ashr_i32 s4, s3, 4
	s_and_b32 s3, s3, -16
	s_sub_i32 s3, s22, s3
	s_cmp_ge_i32 s2, s4
	s_cselect_b32 s3, s3, 16
	s_lshl_b32 s4, s2, 4
	v_cmp_gt_i32_e64 s[2:3], s3, v4
	s_ashr_i32 s5, s4, 31
	s_and_b64 s[2:3], vcc, s[2:3]
	s_and_saveexec_b64 s[8:9], s[2:3]
	s_cbranch_execz .LBB176_5
; %bb.4:
	s_lshl_b64 s[10:11], s[18:19], 3
	s_add_u32 s12, s26, s10
	s_addc_u32 s13, s27, s11
	s_lshl_b64 s[10:11], s[4:5], 3
	s_add_u32 s10, s12, s10
	s_addc_u32 s11, s13, s11
	v_mad_u64_u32 v[6:7], s[12:13], s16, v2, 0
	v_mov_b32_e32 v8, v7
	v_mad_u64_u32 v[8:9], s[12:13], s17, v2, v[8:9]
	v_mov_b32_e32 v7, v8
	v_lshl_add_u64 v[6:7], v[6:7], 3, s[10:11]
	v_mov_b32_e32 v1, 0
	v_lshl_add_u64 v[6:7], v[6:7], 0, v[0:1]
	flat_load_dwordx2 v[6:7], v[6:7]
	v_add_u32_e32 v1, 0x800, v3
	s_waitcnt vmcnt(0) lgkmcnt(0)
	ds_write_b64 v1, v[6:7]
.LBB176_5:
	s_or_b64 exec, exec, s[8:9]
	s_cmpk_eq_i32 s21, 0x84
	s_cselect_b64 s[8:9], -1, 0
	v_cmp_eq_u32_e32 vcc, v2, v4
	s_and_b64 s[10:11], vcc, s[8:9]
	s_and_saveexec_b64 s[8:9], s[10:11]
; %bb.6:
	v_mov_b32_e32 v6, 1.0
	v_mov_b32_e32 v7, 0
	ds_write_b64 v3, v[6:7]
; %bb.7:
	s_or_b64 exec, exec, s[8:9]
	s_cmpk_lg_i32 s20, 0x79
	s_cbranch_scc0 .LBB176_9
; %bb.8:
	v_cmp_lt_u32_e32 vcc, v4, v2
	s_and_b64 s[8:9], vcc, exec
	s_cbranch_execz .LBB176_10
	s_branch .LBB176_11
.LBB176_9:
	s_mov_b64 s[8:9], 0
.LBB176_10:
	v_cmp_gt_u32_e32 vcc, v4, v2
	s_andn2_b64 s[8:9], s[8:9], exec
	s_and_b64 s[10:11], vcc, exec
	s_or_b64 s[8:9], s[8:9], s[10:11]
.LBB176_11:
	s_and_saveexec_b64 s[10:11], s[8:9]
; %bb.12:
	v_mov_b32_e32 v4, 0
	v_mov_b32_e32 v5, v4
	ds_write_b64 v3, v[4:5]
; %bb.13:
	s_or_b64 exec, exec, s[10:11]
	s_waitcnt lgkmcnt(0)
	s_barrier
	s_and_saveexec_b64 s[8:9], s[2:3]
	s_cbranch_execz .LBB176_15
; %bb.14:
	v_lshlrev_b32_e32 v1, 3, v2
	v_add_u32_e32 v3, 0x800, v0
	ds_read2_b64 v[4:7], v1 offset1:16
	ds_read2_b64 v[8:11], v3 offset1:16
	ds_read2_b64 v[12:15], v1 offset0:32 offset1:48
	ds_read2_b64 v[16:19], v3 offset0:32 offset1:48
	s_load_dwordx2 s[0:1], s[0:1], 0x60
	s_waitcnt lgkmcnt(0)
	v_mul_f32_e32 v20, v4, v9
	v_fmac_f32_e32 v20, v5, v8
	v_mul_f32_e32 v21, v6, v11
	v_add_f32_e32 v20, 0, v20
	v_fmac_f32_e32 v21, v7, v10
	v_add_f32_e32 v28, v20, v21
	v_mul_f32_e32 v29, v12, v17
	ds_read2_b64 v[20:23], v1 offset0:64 offset1:80
	ds_read2_b64 v[24:27], v3 offset0:64 offset1:80
	v_fmac_f32_e32 v29, v13, v16
	v_add_f32_e32 v28, v28, v29
	v_mul_f32_e32 v29, v14, v19
	v_fmac_f32_e32 v29, v15, v18
	v_add_f32_e32 v36, v28, v29
	ds_read2_b64 v[28:31], v1 offset0:96 offset1:112
	ds_read2_b64 v[32:35], v3 offset0:96 offset1:112
	s_waitcnt lgkmcnt(2)
	v_mul_f32_e32 v37, v20, v25
	v_fmac_f32_e32 v37, v21, v24
	v_add_f32_e32 v36, v36, v37
	v_mul_f32_e32 v37, v22, v27
	v_fmac_f32_e32 v37, v23, v26
	v_add_f32_e32 v44, v36, v37
	s_waitcnt lgkmcnt(0)
	v_mul_f32_e32 v45, v28, v33
	ds_read2_b64 v[36:39], v1 offset0:128 offset1:144
	ds_read2_b64 v[40:43], v3 offset0:128 offset1:144
	v_fmac_f32_e32 v45, v29, v32
	v_add_f32_e32 v44, v44, v45
	v_mul_f32_e32 v45, v30, v35
	v_fmac_f32_e32 v45, v31, v34
	v_add_f32_e32 v52, v44, v45
	ds_read2_b64 v[44:47], v1 offset0:160 offset1:176
	ds_read2_b64 v[48:51], v3 offset0:160 offset1:176
	s_waitcnt lgkmcnt(2)
	v_mul_f32_e32 v53, v36, v41
	v_fmac_f32_e32 v53, v37, v40
	v_mul_f32_e32 v5, v5, v9
	v_add_f32_e32 v52, v52, v53
	v_mul_f32_e32 v53, v38, v43
	v_fma_f32 v54, v4, v8, -v5
	v_mul_f32_e32 v4, v7, v11
	v_fmac_f32_e32 v53, v39, v42
	v_fma_f32 v55, v6, v10, -v4
	ds_read2_b64 v[4:7], v1 offset0:192 offset1:208
	ds_read2_b64 v[8:11], v3 offset0:192 offset1:208
	v_add_f32_e32 v52, v52, v53
	s_waitcnt lgkmcnt(2)
	v_mul_f32_e32 v53, v44, v49
	v_mul_f32_e32 v13, v13, v17
	v_fmac_f32_e32 v53, v45, v48
	v_fma_f32 v56, v12, v16, -v13
	v_mul_f32_e32 v12, v15, v19
	v_add_f32_e32 v52, v52, v53
	v_mul_f32_e32 v53, v46, v51
	v_fma_f32 v57, v14, v18, -v12
	ds_read2_b64 v[12:15], v1 offset0:224 offset1:240
	ds_read2_b64 v[16:19], v3 offset0:224 offset1:240
	v_fmac_f32_e32 v53, v47, v50
	v_add_f32_e32 v52, v52, v53
	s_waitcnt lgkmcnt(2)
	v_mul_f32_e32 v53, v4, v9
	v_fmac_f32_e32 v53, v5, v8
	v_mul_f32_e32 v3, v6, v11
	v_add_f32_e32 v1, v52, v53
	v_fmac_f32_e32 v3, v7, v10
	v_add_f32_e32 v1, v1, v3
	s_waitcnt lgkmcnt(0)
	v_mul_f32_e32 v3, v12, v17
	v_fmac_f32_e32 v3, v13, v16
	v_add_f32_e32 v1, v1, v3
	v_mul_f32_e32 v3, v14, v19
	v_fmac_f32_e32 v3, v15, v18
	v_add_f32_e32 v52, v1, v3
	v_add_f32_e32 v1, 0, v54
	;; [unrolled: 1-line block ×4, first 2 shown]
	v_mul_f32_e32 v3, v21, v25
	v_add_f32_e32 v1, v1, v57
	v_fma_f32 v3, v20, v24, -v3
	v_add_f32_e32 v1, v1, v3
	v_mul_f32_e32 v3, v23, v27
	v_fma_f32 v3, v22, v26, -v3
	v_add_f32_e32 v1, v1, v3
	v_mul_f32_e32 v3, v29, v33
	;; [unrolled: 3-line block ×8, first 2 shown]
	v_fma_f32 v3, v4, v8, -v3
	s_lshl_b64 s[0:1], s[0:1], 3
	v_add_f32_e32 v1, v1, v3
	v_mul_f32_e32 v3, v7, v11
	s_add_u32 s2, s14, s0
	v_fma_f32 v3, v6, v10, -v3
	s_addc_u32 s3, s15, s1
	s_lshl_b64 s[0:1], s[4:5], 3
	v_add_f32_e32 v1, v1, v3
	v_mul_f32_e32 v3, v13, v17
	s_add_u32 s0, s2, s0
	v_fma_f32 v3, v12, v16, -v3
	s_addc_u32 s1, s3, s1
	v_add_f32_e32 v1, v1, v3
	v_mul_f32_e32 v3, v15, v19
	v_mad_u64_u32 v[6:7], s[2:3], s6, v2, 0
	v_fma_f32 v3, v14, v18, -v3
	v_mov_b32_e32 v8, v7
	v_add_f32_e32 v4, v1, v3
	v_mad_u64_u32 v[2:3], s[2:3], s7, v2, v[8:9]
	v_mov_b32_e32 v7, v2
	v_lshl_add_u64 v[2:3], v[6:7], 3, s[0:1]
	v_mov_b32_e32 v1, 0
	v_lshl_add_u64 v[0:1], v[2:3], 0, v[0:1]
	v_pk_mul_f32 v[2:3], s[24:25], v[52:53] op_sel:[1,0] op_sel_hi:[0,0]
	v_pk_fma_f32 v[6:7], s[24:25], v[4:5], v[2:3] neg_lo:[0,0,1] neg_hi:[0,0,1]
	v_pk_fma_f32 v[2:3], s[24:25], v[4:5], v[2:3] op_sel_hi:[1,0,1]
	s_nop 0
	v_mov_b32_e32 v7, v3
	flat_store_dwordx2 v[0:1], v[6:7]
.LBB176_15:
	s_endpgm
	.section	.rodata,"a",@progbits
	.p2align	6, 0x0
	.amdhsa_kernel _ZL23rocblas_trmm_rTx_kernelILi16ELb0E19rocblas_complex_numIfEPKS1_KS3_KPS1_Ev13rocblas_fill_17rocblas_diagonal_iiT2_lPT3_llSB_llPT4_lli
		.amdhsa_group_segment_fixed_size 4096
		.amdhsa_private_segment_fixed_size 0
		.amdhsa_kernarg_size 108
		.amdhsa_user_sgpr_count 2
		.amdhsa_user_sgpr_dispatch_ptr 0
		.amdhsa_user_sgpr_queue_ptr 0
		.amdhsa_user_sgpr_kernarg_segment_ptr 1
		.amdhsa_user_sgpr_dispatch_id 0
		.amdhsa_user_sgpr_kernarg_preload_length 0
		.amdhsa_user_sgpr_kernarg_preload_offset 0
		.amdhsa_user_sgpr_private_segment_size 0
		.amdhsa_uses_dynamic_stack 0
		.amdhsa_enable_private_segment 0
		.amdhsa_system_sgpr_workgroup_id_x 1
		.amdhsa_system_sgpr_workgroup_id_y 0
		.amdhsa_system_sgpr_workgroup_id_z 1
		.amdhsa_system_sgpr_workgroup_info 0
		.amdhsa_system_vgpr_workitem_id 1
		.amdhsa_next_free_vgpr 58
		.amdhsa_next_free_sgpr 32
		.amdhsa_accum_offset 60
		.amdhsa_reserve_vcc 1
		.amdhsa_float_round_mode_32 0
		.amdhsa_float_round_mode_16_64 0
		.amdhsa_float_denorm_mode_32 3
		.amdhsa_float_denorm_mode_16_64 3
		.amdhsa_dx10_clamp 1
		.amdhsa_ieee_mode 1
		.amdhsa_fp16_overflow 0
		.amdhsa_tg_split 0
		.amdhsa_exception_fp_ieee_invalid_op 0
		.amdhsa_exception_fp_denorm_src 0
		.amdhsa_exception_fp_ieee_div_zero 0
		.amdhsa_exception_fp_ieee_overflow 0
		.amdhsa_exception_fp_ieee_underflow 0
		.amdhsa_exception_fp_ieee_inexact 0
		.amdhsa_exception_int_div_zero 0
	.end_amdhsa_kernel
	.section	.text._ZL23rocblas_trmm_rTx_kernelILi16ELb0E19rocblas_complex_numIfEPKS1_KS3_KPS1_Ev13rocblas_fill_17rocblas_diagonal_iiT2_lPT3_llSB_llPT4_lli,"axG",@progbits,_ZL23rocblas_trmm_rTx_kernelILi16ELb0E19rocblas_complex_numIfEPKS1_KS3_KPS1_Ev13rocblas_fill_17rocblas_diagonal_iiT2_lPT3_llSB_llPT4_lli,comdat
.Lfunc_end176:
	.size	_ZL23rocblas_trmm_rTx_kernelILi16ELb0E19rocblas_complex_numIfEPKS1_KS3_KPS1_Ev13rocblas_fill_17rocblas_diagonal_iiT2_lPT3_llSB_llPT4_lli, .Lfunc_end176-_ZL23rocblas_trmm_rTx_kernelILi16ELb0E19rocblas_complex_numIfEPKS1_KS3_KPS1_Ev13rocblas_fill_17rocblas_diagonal_iiT2_lPT3_llSB_llPT4_lli
                                        ; -- End function
	.set _ZL23rocblas_trmm_rTx_kernelILi16ELb0E19rocblas_complex_numIfEPKS1_KS3_KPS1_Ev13rocblas_fill_17rocblas_diagonal_iiT2_lPT3_llSB_llPT4_lli.num_vgpr, 58
	.set _ZL23rocblas_trmm_rTx_kernelILi16ELb0E19rocblas_complex_numIfEPKS1_KS3_KPS1_Ev13rocblas_fill_17rocblas_diagonal_iiT2_lPT3_llSB_llPT4_lli.num_agpr, 0
	.set _ZL23rocblas_trmm_rTx_kernelILi16ELb0E19rocblas_complex_numIfEPKS1_KS3_KPS1_Ev13rocblas_fill_17rocblas_diagonal_iiT2_lPT3_llSB_llPT4_lli.numbered_sgpr, 32
	.set _ZL23rocblas_trmm_rTx_kernelILi16ELb0E19rocblas_complex_numIfEPKS1_KS3_KPS1_Ev13rocblas_fill_17rocblas_diagonal_iiT2_lPT3_llSB_llPT4_lli.num_named_barrier, 0
	.set _ZL23rocblas_trmm_rTx_kernelILi16ELb0E19rocblas_complex_numIfEPKS1_KS3_KPS1_Ev13rocblas_fill_17rocblas_diagonal_iiT2_lPT3_llSB_llPT4_lli.private_seg_size, 0
	.set _ZL23rocblas_trmm_rTx_kernelILi16ELb0E19rocblas_complex_numIfEPKS1_KS3_KPS1_Ev13rocblas_fill_17rocblas_diagonal_iiT2_lPT3_llSB_llPT4_lli.uses_vcc, 1
	.set _ZL23rocblas_trmm_rTx_kernelILi16ELb0E19rocblas_complex_numIfEPKS1_KS3_KPS1_Ev13rocblas_fill_17rocblas_diagonal_iiT2_lPT3_llSB_llPT4_lli.uses_flat_scratch, 0
	.set _ZL23rocblas_trmm_rTx_kernelILi16ELb0E19rocblas_complex_numIfEPKS1_KS3_KPS1_Ev13rocblas_fill_17rocblas_diagonal_iiT2_lPT3_llSB_llPT4_lli.has_dyn_sized_stack, 0
	.set _ZL23rocblas_trmm_rTx_kernelILi16ELb0E19rocblas_complex_numIfEPKS1_KS3_KPS1_Ev13rocblas_fill_17rocblas_diagonal_iiT2_lPT3_llSB_llPT4_lli.has_recursion, 0
	.set _ZL23rocblas_trmm_rTx_kernelILi16ELb0E19rocblas_complex_numIfEPKS1_KS3_KPS1_Ev13rocblas_fill_17rocblas_diagonal_iiT2_lPT3_llSB_llPT4_lli.has_indirect_call, 0
	.section	.AMDGPU.csdata,"",@progbits
; Kernel info:
; codeLenInByte = 1340
; TotalNumSgprs: 38
; NumVgprs: 58
; NumAgprs: 0
; TotalNumVgprs: 58
; ScratchSize: 0
; MemoryBound: 0
; FloatMode: 240
; IeeeMode: 1
; LDSByteSize: 4096 bytes/workgroup (compile time only)
; SGPRBlocks: 4
; VGPRBlocks: 7
; NumSGPRsForWavesPerEU: 38
; NumVGPRsForWavesPerEU: 58
; AccumOffset: 60
; Occupancy: 8
; WaveLimiterHint : 1
; COMPUTE_PGM_RSRC2:SCRATCH_EN: 0
; COMPUTE_PGM_RSRC2:USER_SGPR: 2
; COMPUTE_PGM_RSRC2:TRAP_HANDLER: 0
; COMPUTE_PGM_RSRC2:TGID_X_EN: 1
; COMPUTE_PGM_RSRC2:TGID_Y_EN: 0
; COMPUTE_PGM_RSRC2:TGID_Z_EN: 1
; COMPUTE_PGM_RSRC2:TIDIG_COMP_CNT: 1
; COMPUTE_PGM_RSRC3_GFX90A:ACCUM_OFFSET: 14
; COMPUTE_PGM_RSRC3_GFX90A:TG_SPLIT: 0
	.section	.text._ZL23rocblas_trmm_rTx_kernelILi16ELb0E19rocblas_complex_numIfES1_KPKS1_KPS1_Ev13rocblas_fill_17rocblas_diagonal_iiT2_lPT3_llSB_llPT4_lli,"axG",@progbits,_ZL23rocblas_trmm_rTx_kernelILi16ELb0E19rocblas_complex_numIfES1_KPKS1_KPS1_Ev13rocblas_fill_17rocblas_diagonal_iiT2_lPT3_llSB_llPT4_lli,comdat
	.globl	_ZL23rocblas_trmm_rTx_kernelILi16ELb0E19rocblas_complex_numIfES1_KPKS1_KPS1_Ev13rocblas_fill_17rocblas_diagonal_iiT2_lPT3_llSB_llPT4_lli ; -- Begin function _ZL23rocblas_trmm_rTx_kernelILi16ELb0E19rocblas_complex_numIfES1_KPKS1_KPS1_Ev13rocblas_fill_17rocblas_diagonal_iiT2_lPT3_llSB_llPT4_lli
	.p2align	8
	.type	_ZL23rocblas_trmm_rTx_kernelILi16ELb0E19rocblas_complex_numIfES1_KPKS1_KPS1_Ev13rocblas_fill_17rocblas_diagonal_iiT2_lPT3_llSB_llPT4_lli,@function
_ZL23rocblas_trmm_rTx_kernelILi16ELb0E19rocblas_complex_numIfES1_KPKS1_KPS1_Ev13rocblas_fill_17rocblas_diagonal_iiT2_lPT3_llSB_llPT4_lli: ; @_ZL23rocblas_trmm_rTx_kernelILi16ELb0E19rocblas_complex_numIfES1_KPKS1_KPS1_Ev13rocblas_fill_17rocblas_diagonal_iiT2_lPT3_llSB_llPT4_lli
; %bb.0:
	s_load_dwordx2 s[6:7], s[0:1], 0x10
	s_mov_b32 s5, 0
	s_waitcnt lgkmcnt(0)
	v_cmp_neq_f32_e64 s[8:9], s6, 0
	v_cmp_neq_f32_e64 s[10:11], s7, 0
	s_or_b64 s[8:9], s[8:9], s[10:11]
	s_andn2_b64 vcc, exec, s[8:9]
	s_cbranch_vccnz .LBB177_15
; %bb.1:
	s_load_dwordx16 s[8:23], s[0:1], 0x20
	s_load_dwordx4 s[24:27], s[0:1], 0x0
	s_mov_b32 s4, s3
	s_lshl_b64 s[30:31], s[4:5], 3
	v_bfe_u32 v2, v0, 10, 10
	s_waitcnt lgkmcnt(0)
	s_add_u32 s14, s14, s30
	s_addc_u32 s15, s15, s31
	s_load_dwordx2 s[28:29], s[14:15], 0x0
	s_add_u32 s14, s20, s30
	s_addc_u32 s15, s21, s31
	s_load_dwordx2 s[14:15], s[14:15], 0x0
	v_and_b32_e32 v4, 0x3ff, v0
	v_lshlrev_b32_e32 v0, 4, v2
	s_mov_b32 s4, s5
	v_add_lshl_u32 v3, v0, v4, 3
	v_mov_b64_e32 v[0:1], s[4:5]
	v_cmp_gt_i32_e32 vcc, s27, v2
	v_cmp_gt_i32_e64 s[4:5], s27, v4
	ds_write2st64_b64 v3, v[0:1], v[0:1] offset1:4
	s_and_b64 s[20:21], vcc, s[4:5]
	v_lshlrev_b32_e32 v0, 3, v4
	s_and_saveexec_b64 s[4:5], s[20:21]
	s_cbranch_execz .LBB177_3
; %bb.2:
	s_add_u32 s8, s8, s30
	s_addc_u32 s9, s9, s31
	s_load_dwordx2 s[8:9], s[8:9], 0x0
	v_mad_u64_u32 v[6:7], s[20:21], s10, v2, 0
	s_lshl_b64 s[12:13], s[12:13], 3
	v_mov_b32_e32 v8, v7
	s_waitcnt lgkmcnt(0)
	s_add_u32 s8, s8, s12
	v_mad_u64_u32 v[8:9], s[10:11], s11, v2, v[8:9]
	s_addc_u32 s9, s9, s13
	v_mov_b32_e32 v7, v8
	v_lshl_add_u64 v[6:7], v[6:7], 3, s[8:9]
	v_mov_b32_e32 v1, 0
	v_lshl_add_u64 v[6:7], v[6:7], 0, v[0:1]
	flat_load_dwordx2 v[6:7], v[6:7]
	s_waitcnt vmcnt(0) lgkmcnt(0)
	ds_write_b64 v3, v[6:7]
.LBB177_3:
	s_or_b64 exec, exec, s[4:5]
	s_add_i32 s3, s26, -1
	s_ashr_i32 s4, s3, 31
	s_lshr_b32 s4, s4, 28
	s_add_i32 s3, s3, s4
	s_ashr_i32 s4, s3, 4
	s_and_b32 s3, s3, -16
	s_sub_i32 s3, s26, s3
	s_cmp_ge_i32 s2, s4
	s_cselect_b32 s3, s3, 16
	s_lshl_b32 s4, s2, 4
	v_cmp_gt_i32_e64 s[2:3], s3, v4
	s_ashr_i32 s5, s4, 31
	s_and_b64 s[2:3], vcc, s[2:3]
	s_and_saveexec_b64 s[8:9], s[2:3]
	s_cbranch_execz .LBB177_5
; %bb.4:
	s_lshl_b64 s[10:11], s[18:19], 3
	s_waitcnt lgkmcnt(0)
	s_add_u32 s12, s28, s10
	s_addc_u32 s13, s29, s11
	s_lshl_b64 s[10:11], s[4:5], 3
	s_add_u32 s10, s12, s10
	s_addc_u32 s11, s13, s11
	v_mad_u64_u32 v[6:7], s[12:13], s16, v2, 0
	v_mov_b32_e32 v8, v7
	v_mad_u64_u32 v[8:9], s[12:13], s17, v2, v[8:9]
	v_mov_b32_e32 v7, v8
	v_lshl_add_u64 v[6:7], v[6:7], 3, s[10:11]
	v_mov_b32_e32 v1, 0
	v_lshl_add_u64 v[6:7], v[6:7], 0, v[0:1]
	flat_load_dwordx2 v[6:7], v[6:7]
	v_add_u32_e32 v1, 0x800, v3
	s_waitcnt vmcnt(0) lgkmcnt(0)
	ds_write_b64 v1, v[6:7]
.LBB177_5:
	s_or_b64 exec, exec, s[8:9]
	s_cmpk_eq_i32 s25, 0x84
	s_cselect_b64 s[8:9], -1, 0
	v_cmp_eq_u32_e32 vcc, v2, v4
	s_and_b64 s[10:11], vcc, s[8:9]
	s_and_saveexec_b64 s[8:9], s[10:11]
; %bb.6:
	v_mov_b32_e32 v6, 1.0
	v_mov_b32_e32 v7, 0
	ds_write_b64 v3, v[6:7]
; %bb.7:
	s_or_b64 exec, exec, s[8:9]
	s_cmpk_lg_i32 s24, 0x79
	s_cbranch_scc0 .LBB177_9
; %bb.8:
	v_cmp_lt_u32_e32 vcc, v4, v2
	s_and_b64 s[8:9], vcc, exec
	s_cbranch_execz .LBB177_10
	s_branch .LBB177_11
.LBB177_9:
	s_mov_b64 s[8:9], 0
.LBB177_10:
	v_cmp_gt_u32_e32 vcc, v4, v2
	s_andn2_b64 s[8:9], s[8:9], exec
	s_and_b64 s[10:11], vcc, exec
	s_or_b64 s[8:9], s[8:9], s[10:11]
.LBB177_11:
	s_and_saveexec_b64 s[10:11], s[8:9]
; %bb.12:
	v_mov_b32_e32 v4, 0
	v_mov_b32_e32 v5, v4
	ds_write_b64 v3, v[4:5]
; %bb.13:
	s_or_b64 exec, exec, s[10:11]
	s_waitcnt lgkmcnt(0)
	s_barrier
	s_and_saveexec_b64 s[8:9], s[2:3]
	s_cbranch_execz .LBB177_15
; %bb.14:
	v_lshlrev_b32_e32 v1, 3, v2
	v_add_u32_e32 v3, 0x800, v0
	ds_read2_b64 v[4:7], v1 offset1:16
	ds_read2_b64 v[8:11], v3 offset1:16
	ds_read2_b64 v[12:15], v1 offset0:32 offset1:48
	ds_read2_b64 v[16:19], v3 offset0:32 offset1:48
	s_load_dwordx2 s[0:1], s[0:1], 0x60
	s_waitcnt lgkmcnt(0)
	v_mul_f32_e32 v20, v4, v9
	v_fmac_f32_e32 v20, v5, v8
	v_mul_f32_e32 v21, v6, v11
	v_add_f32_e32 v20, 0, v20
	v_fmac_f32_e32 v21, v7, v10
	v_add_f32_e32 v28, v20, v21
	v_mul_f32_e32 v29, v12, v17
	ds_read2_b64 v[20:23], v1 offset0:64 offset1:80
	ds_read2_b64 v[24:27], v3 offset0:64 offset1:80
	v_fmac_f32_e32 v29, v13, v16
	v_add_f32_e32 v28, v28, v29
	v_mul_f32_e32 v29, v14, v19
	v_fmac_f32_e32 v29, v15, v18
	v_add_f32_e32 v36, v28, v29
	ds_read2_b64 v[28:31], v1 offset0:96 offset1:112
	ds_read2_b64 v[32:35], v3 offset0:96 offset1:112
	s_waitcnt lgkmcnt(2)
	v_mul_f32_e32 v37, v20, v25
	v_fmac_f32_e32 v37, v21, v24
	v_add_f32_e32 v36, v36, v37
	v_mul_f32_e32 v37, v22, v27
	v_fmac_f32_e32 v37, v23, v26
	v_add_f32_e32 v44, v36, v37
	s_waitcnt lgkmcnt(0)
	v_mul_f32_e32 v45, v28, v33
	ds_read2_b64 v[36:39], v1 offset0:128 offset1:144
	ds_read2_b64 v[40:43], v3 offset0:128 offset1:144
	v_fmac_f32_e32 v45, v29, v32
	v_add_f32_e32 v44, v44, v45
	v_mul_f32_e32 v45, v30, v35
	v_fmac_f32_e32 v45, v31, v34
	v_add_f32_e32 v52, v44, v45
	ds_read2_b64 v[44:47], v1 offset0:160 offset1:176
	ds_read2_b64 v[48:51], v3 offset0:160 offset1:176
	s_waitcnt lgkmcnt(2)
	v_mul_f32_e32 v53, v36, v41
	v_fmac_f32_e32 v53, v37, v40
	v_mul_f32_e32 v5, v5, v9
	v_add_f32_e32 v52, v52, v53
	v_mul_f32_e32 v53, v38, v43
	v_fma_f32 v54, v4, v8, -v5
	v_mul_f32_e32 v4, v7, v11
	v_fmac_f32_e32 v53, v39, v42
	v_fma_f32 v55, v6, v10, -v4
	ds_read2_b64 v[4:7], v1 offset0:192 offset1:208
	ds_read2_b64 v[8:11], v3 offset0:192 offset1:208
	v_add_f32_e32 v52, v52, v53
	s_waitcnt lgkmcnt(2)
	v_mul_f32_e32 v53, v44, v49
	v_mul_f32_e32 v13, v13, v17
	v_fmac_f32_e32 v53, v45, v48
	v_fma_f32 v56, v12, v16, -v13
	v_mul_f32_e32 v12, v15, v19
	v_add_f32_e32 v52, v52, v53
	v_mul_f32_e32 v53, v46, v51
	v_fma_f32 v57, v14, v18, -v12
	ds_read2_b64 v[12:15], v1 offset0:224 offset1:240
	ds_read2_b64 v[16:19], v3 offset0:224 offset1:240
	v_fmac_f32_e32 v53, v47, v50
	v_add_f32_e32 v52, v52, v53
	s_waitcnt lgkmcnt(2)
	v_mul_f32_e32 v53, v4, v9
	v_fmac_f32_e32 v53, v5, v8
	v_mul_f32_e32 v3, v6, v11
	v_add_f32_e32 v1, v52, v53
	v_fmac_f32_e32 v3, v7, v10
	v_add_f32_e32 v1, v1, v3
	s_waitcnt lgkmcnt(0)
	v_mul_f32_e32 v3, v12, v17
	v_fmac_f32_e32 v3, v13, v16
	v_add_f32_e32 v1, v1, v3
	v_mul_f32_e32 v3, v14, v19
	v_fmac_f32_e32 v3, v15, v18
	v_add_f32_e32 v52, v1, v3
	v_add_f32_e32 v1, 0, v54
	;; [unrolled: 1-line block ×4, first 2 shown]
	v_mul_f32_e32 v3, v21, v25
	v_add_f32_e32 v1, v1, v57
	v_fma_f32 v3, v20, v24, -v3
	v_add_f32_e32 v1, v1, v3
	v_mul_f32_e32 v3, v23, v27
	v_fma_f32 v3, v22, v26, -v3
	v_add_f32_e32 v1, v1, v3
	v_mul_f32_e32 v3, v29, v33
	;; [unrolled: 3-line block ×8, first 2 shown]
	v_fma_f32 v3, v4, v8, -v3
	s_lshl_b64 s[0:1], s[0:1], 3
	v_add_f32_e32 v1, v1, v3
	v_mul_f32_e32 v3, v7, v11
	s_add_u32 s2, s14, s0
	v_fma_f32 v3, v6, v10, -v3
	s_addc_u32 s3, s15, s1
	s_lshl_b64 s[0:1], s[4:5], 3
	v_add_f32_e32 v1, v1, v3
	v_mul_f32_e32 v3, v13, v17
	s_add_u32 s0, s2, s0
	v_fma_f32 v3, v12, v16, -v3
	s_addc_u32 s1, s3, s1
	v_add_f32_e32 v1, v1, v3
	v_mul_f32_e32 v3, v15, v19
	v_mad_u64_u32 v[6:7], s[2:3], s22, v2, 0
	v_fma_f32 v3, v14, v18, -v3
	v_mov_b32_e32 v8, v7
	v_add_f32_e32 v4, v1, v3
	v_mad_u64_u32 v[2:3], s[2:3], s23, v2, v[8:9]
	v_mov_b32_e32 v7, v2
	v_lshl_add_u64 v[2:3], v[6:7], 3, s[0:1]
	v_mov_b32_e32 v1, 0
	v_lshl_add_u64 v[0:1], v[2:3], 0, v[0:1]
	v_pk_mul_f32 v[2:3], s[6:7], v[52:53] op_sel:[1,0] op_sel_hi:[0,0]
	v_pk_fma_f32 v[6:7], s[6:7], v[4:5], v[2:3] neg_lo:[0,0,1] neg_hi:[0,0,1]
	v_pk_fma_f32 v[2:3], s[6:7], v[4:5], v[2:3] op_sel_hi:[1,0,1]
	s_nop 0
	v_mov_b32_e32 v7, v3
	flat_store_dwordx2 v[0:1], v[6:7]
.LBB177_15:
	s_endpgm
	.section	.rodata,"a",@progbits
	.p2align	6, 0x0
	.amdhsa_kernel _ZL23rocblas_trmm_rTx_kernelILi16ELb0E19rocblas_complex_numIfES1_KPKS1_KPS1_Ev13rocblas_fill_17rocblas_diagonal_iiT2_lPT3_llSB_llPT4_lli
		.amdhsa_group_segment_fixed_size 4096
		.amdhsa_private_segment_fixed_size 0
		.amdhsa_kernarg_size 108
		.amdhsa_user_sgpr_count 2
		.amdhsa_user_sgpr_dispatch_ptr 0
		.amdhsa_user_sgpr_queue_ptr 0
		.amdhsa_user_sgpr_kernarg_segment_ptr 1
		.amdhsa_user_sgpr_dispatch_id 0
		.amdhsa_user_sgpr_kernarg_preload_length 0
		.amdhsa_user_sgpr_kernarg_preload_offset 0
		.amdhsa_user_sgpr_private_segment_size 0
		.amdhsa_uses_dynamic_stack 0
		.amdhsa_enable_private_segment 0
		.amdhsa_system_sgpr_workgroup_id_x 1
		.amdhsa_system_sgpr_workgroup_id_y 0
		.amdhsa_system_sgpr_workgroup_id_z 1
		.amdhsa_system_sgpr_workgroup_info 0
		.amdhsa_system_vgpr_workitem_id 1
		.amdhsa_next_free_vgpr 58
		.amdhsa_next_free_sgpr 32
		.amdhsa_accum_offset 60
		.amdhsa_reserve_vcc 1
		.amdhsa_float_round_mode_32 0
		.amdhsa_float_round_mode_16_64 0
		.amdhsa_float_denorm_mode_32 3
		.amdhsa_float_denorm_mode_16_64 3
		.amdhsa_dx10_clamp 1
		.amdhsa_ieee_mode 1
		.amdhsa_fp16_overflow 0
		.amdhsa_tg_split 0
		.amdhsa_exception_fp_ieee_invalid_op 0
		.amdhsa_exception_fp_denorm_src 0
		.amdhsa_exception_fp_ieee_div_zero 0
		.amdhsa_exception_fp_ieee_overflow 0
		.amdhsa_exception_fp_ieee_underflow 0
		.amdhsa_exception_fp_ieee_inexact 0
		.amdhsa_exception_int_div_zero 0
	.end_amdhsa_kernel
	.section	.text._ZL23rocblas_trmm_rTx_kernelILi16ELb0E19rocblas_complex_numIfES1_KPKS1_KPS1_Ev13rocblas_fill_17rocblas_diagonal_iiT2_lPT3_llSB_llPT4_lli,"axG",@progbits,_ZL23rocblas_trmm_rTx_kernelILi16ELb0E19rocblas_complex_numIfES1_KPKS1_KPS1_Ev13rocblas_fill_17rocblas_diagonal_iiT2_lPT3_llSB_llPT4_lli,comdat
.Lfunc_end177:
	.size	_ZL23rocblas_trmm_rTx_kernelILi16ELb0E19rocblas_complex_numIfES1_KPKS1_KPS1_Ev13rocblas_fill_17rocblas_diagonal_iiT2_lPT3_llSB_llPT4_lli, .Lfunc_end177-_ZL23rocblas_trmm_rTx_kernelILi16ELb0E19rocblas_complex_numIfES1_KPKS1_KPS1_Ev13rocblas_fill_17rocblas_diagonal_iiT2_lPT3_llSB_llPT4_lli
                                        ; -- End function
	.set _ZL23rocblas_trmm_rTx_kernelILi16ELb0E19rocblas_complex_numIfES1_KPKS1_KPS1_Ev13rocblas_fill_17rocblas_diagonal_iiT2_lPT3_llSB_llPT4_lli.num_vgpr, 58
	.set _ZL23rocblas_trmm_rTx_kernelILi16ELb0E19rocblas_complex_numIfES1_KPKS1_KPS1_Ev13rocblas_fill_17rocblas_diagonal_iiT2_lPT3_llSB_llPT4_lli.num_agpr, 0
	.set _ZL23rocblas_trmm_rTx_kernelILi16ELb0E19rocblas_complex_numIfES1_KPKS1_KPS1_Ev13rocblas_fill_17rocblas_diagonal_iiT2_lPT3_llSB_llPT4_lli.numbered_sgpr, 32
	.set _ZL23rocblas_trmm_rTx_kernelILi16ELb0E19rocblas_complex_numIfES1_KPKS1_KPS1_Ev13rocblas_fill_17rocblas_diagonal_iiT2_lPT3_llSB_llPT4_lli.num_named_barrier, 0
	.set _ZL23rocblas_trmm_rTx_kernelILi16ELb0E19rocblas_complex_numIfES1_KPKS1_KPS1_Ev13rocblas_fill_17rocblas_diagonal_iiT2_lPT3_llSB_llPT4_lli.private_seg_size, 0
	.set _ZL23rocblas_trmm_rTx_kernelILi16ELb0E19rocblas_complex_numIfES1_KPKS1_KPS1_Ev13rocblas_fill_17rocblas_diagonal_iiT2_lPT3_llSB_llPT4_lli.uses_vcc, 1
	.set _ZL23rocblas_trmm_rTx_kernelILi16ELb0E19rocblas_complex_numIfES1_KPKS1_KPS1_Ev13rocblas_fill_17rocblas_diagonal_iiT2_lPT3_llSB_llPT4_lli.uses_flat_scratch, 0
	.set _ZL23rocblas_trmm_rTx_kernelILi16ELb0E19rocblas_complex_numIfES1_KPKS1_KPS1_Ev13rocblas_fill_17rocblas_diagonal_iiT2_lPT3_llSB_llPT4_lli.has_dyn_sized_stack, 0
	.set _ZL23rocblas_trmm_rTx_kernelILi16ELb0E19rocblas_complex_numIfES1_KPKS1_KPS1_Ev13rocblas_fill_17rocblas_diagonal_iiT2_lPT3_llSB_llPT4_lli.has_recursion, 0
	.set _ZL23rocblas_trmm_rTx_kernelILi16ELb0E19rocblas_complex_numIfES1_KPKS1_KPS1_Ev13rocblas_fill_17rocblas_diagonal_iiT2_lPT3_llSB_llPT4_lli.has_indirect_call, 0
	.section	.AMDGPU.csdata,"",@progbits
; Kernel info:
; codeLenInByte = 1304
; TotalNumSgprs: 38
; NumVgprs: 58
; NumAgprs: 0
; TotalNumVgprs: 58
; ScratchSize: 0
; MemoryBound: 0
; FloatMode: 240
; IeeeMode: 1
; LDSByteSize: 4096 bytes/workgroup (compile time only)
; SGPRBlocks: 4
; VGPRBlocks: 7
; NumSGPRsForWavesPerEU: 38
; NumVGPRsForWavesPerEU: 58
; AccumOffset: 60
; Occupancy: 8
; WaveLimiterHint : 1
; COMPUTE_PGM_RSRC2:SCRATCH_EN: 0
; COMPUTE_PGM_RSRC2:USER_SGPR: 2
; COMPUTE_PGM_RSRC2:TRAP_HANDLER: 0
; COMPUTE_PGM_RSRC2:TGID_X_EN: 1
; COMPUTE_PGM_RSRC2:TGID_Y_EN: 0
; COMPUTE_PGM_RSRC2:TGID_Z_EN: 1
; COMPUTE_PGM_RSRC2:TIDIG_COMP_CNT: 1
; COMPUTE_PGM_RSRC3_GFX90A:ACCUM_OFFSET: 14
; COMPUTE_PGM_RSRC3_GFX90A:TG_SPLIT: 0
	.section	.text._ZL23rocblas_trmm_rTx_kernelILi16ELb1E19rocblas_complex_numIfEPKS1_KS3_KPS1_Ev13rocblas_fill_17rocblas_diagonal_iiT2_lPT3_llSB_llPT4_lli,"axG",@progbits,_ZL23rocblas_trmm_rTx_kernelILi16ELb1E19rocblas_complex_numIfEPKS1_KS3_KPS1_Ev13rocblas_fill_17rocblas_diagonal_iiT2_lPT3_llSB_llPT4_lli,comdat
	.globl	_ZL23rocblas_trmm_rTx_kernelILi16ELb1E19rocblas_complex_numIfEPKS1_KS3_KPS1_Ev13rocblas_fill_17rocblas_diagonal_iiT2_lPT3_llSB_llPT4_lli ; -- Begin function _ZL23rocblas_trmm_rTx_kernelILi16ELb1E19rocblas_complex_numIfEPKS1_KS3_KPS1_Ev13rocblas_fill_17rocblas_diagonal_iiT2_lPT3_llSB_llPT4_lli
	.p2align	8
	.type	_ZL23rocblas_trmm_rTx_kernelILi16ELb1E19rocblas_complex_numIfEPKS1_KS3_KPS1_Ev13rocblas_fill_17rocblas_diagonal_iiT2_lPT3_llSB_llPT4_lli,@function
_ZL23rocblas_trmm_rTx_kernelILi16ELb1E19rocblas_complex_numIfEPKS1_KS3_KPS1_Ev13rocblas_fill_17rocblas_diagonal_iiT2_lPT3_llSB_llPT4_lli: ; @_ZL23rocblas_trmm_rTx_kernelILi16ELb1E19rocblas_complex_numIfEPKS1_KS3_KPS1_Ev13rocblas_fill_17rocblas_diagonal_iiT2_lPT3_llSB_llPT4_lli
; %bb.0:
	s_load_dwordx16 s[4:19], s[0:1], 0x10
	s_mov_b32 s28, s3
	s_mov_b32 s29, 0
	s_waitcnt lgkmcnt(0)
	s_mul_i32 s3, s7, s3
	s_mul_hi_u32 s7, s6, s28
	s_add_i32 s7, s7, s3
	s_mul_i32 s6, s6, s28
	s_lshl_b64 s[6:7], s[6:7], 3
	s_add_u32 s4, s4, s6
	s_addc_u32 s5, s5, s7
	s_load_dwordx2 s[24:25], s[4:5], 0x0
	s_waitcnt lgkmcnt(0)
	v_cmp_neq_f32_e64 s[4:5], s24, 0
	v_cmp_neq_f32_e64 s[6:7], s25, 0
	s_or_b64 s[4:5], s[4:5], s[6:7]
	s_andn2_b64 vcc, exec, s[4:5]
	s_cbranch_vccnz .LBB178_15
; %bb.1:
	s_load_dwordx4 s[20:23], s[0:1], 0x0
	s_load_dwordx4 s[4:7], s[0:1], 0x50
	s_lshl_b64 s[30:31], s[28:29], 3
	s_add_u32 s14, s14, s30
	s_addc_u32 s15, s15, s31
	s_load_dwordx2 s[26:27], s[14:15], 0x0
	s_waitcnt lgkmcnt(0)
	s_add_u32 s4, s4, s30
	s_addc_u32 s5, s5, s31
	s_load_dwordx2 s[14:15], s[4:5], 0x0
	v_bfe_u32 v2, v0, 10, 10
	v_and_b32_e32 v4, 0x3ff, v0
	v_lshlrev_b32_e32 v0, 4, v2
	s_mov_b32 s28, s29
	v_add_lshl_u32 v3, v0, v4, 3
	v_mov_b64_e32 v[0:1], s[28:29]
	v_cmp_gt_i32_e32 vcc, s23, v2
	v_cmp_gt_i32_e64 s[4:5], s23, v4
	ds_write2st64_b64 v3, v[0:1], v[0:1] offset1:4
	s_and_b64 s[28:29], vcc, s[4:5]
	v_lshlrev_b32_e32 v0, 3, v4
	s_and_saveexec_b64 s[4:5], s[28:29]
	s_cbranch_execz .LBB178_3
; %bb.2:
	s_add_u32 s8, s8, s30
	s_addc_u32 s9, s9, s31
	s_load_dwordx2 s[8:9], s[8:9], 0x0
	v_mad_u64_u32 v[6:7], s[28:29], s10, v2, 0
	s_lshl_b64 s[12:13], s[12:13], 3
	v_mov_b32_e32 v8, v7
	s_waitcnt lgkmcnt(0)
	s_add_u32 s8, s8, s12
	v_mad_u64_u32 v[8:9], s[10:11], s11, v2, v[8:9]
	s_addc_u32 s9, s9, s13
	v_mov_b32_e32 v7, v8
	v_lshl_add_u64 v[6:7], v[6:7], 3, s[8:9]
	v_mov_b32_e32 v1, 0
	v_lshl_add_u64 v[6:7], v[6:7], 0, v[0:1]
	flat_load_dwordx2 v[6:7], v[6:7]
	s_waitcnt vmcnt(0) lgkmcnt(0)
	v_xor_b32_e32 v7, 0x80000000, v7
	ds_write_b64 v3, v[6:7]
.LBB178_3:
	s_or_b64 exec, exec, s[4:5]
	s_add_i32 s3, s22, -1
	s_ashr_i32 s4, s3, 31
	s_lshr_b32 s4, s4, 28
	s_add_i32 s3, s3, s4
	s_ashr_i32 s4, s3, 4
	s_and_b32 s3, s3, -16
	s_sub_i32 s3, s22, s3
	s_cmp_ge_i32 s2, s4
	s_cselect_b32 s3, s3, 16
	s_lshl_b32 s4, s2, 4
	v_cmp_gt_i32_e64 s[2:3], s3, v4
	s_ashr_i32 s5, s4, 31
	s_and_b64 s[2:3], vcc, s[2:3]
	s_and_saveexec_b64 s[8:9], s[2:3]
	s_cbranch_execz .LBB178_5
; %bb.4:
	s_lshl_b64 s[10:11], s[18:19], 3
	s_add_u32 s12, s26, s10
	s_addc_u32 s13, s27, s11
	s_lshl_b64 s[10:11], s[4:5], 3
	s_add_u32 s10, s12, s10
	s_addc_u32 s11, s13, s11
	v_mad_u64_u32 v[6:7], s[12:13], s16, v2, 0
	v_mov_b32_e32 v8, v7
	v_mad_u64_u32 v[8:9], s[12:13], s17, v2, v[8:9]
	v_mov_b32_e32 v7, v8
	v_lshl_add_u64 v[6:7], v[6:7], 3, s[10:11]
	v_mov_b32_e32 v1, 0
	v_lshl_add_u64 v[6:7], v[6:7], 0, v[0:1]
	flat_load_dwordx2 v[6:7], v[6:7]
	v_add_u32_e32 v1, 0x800, v3
	s_waitcnt vmcnt(0) lgkmcnt(0)
	ds_write_b64 v1, v[6:7]
.LBB178_5:
	s_or_b64 exec, exec, s[8:9]
	s_cmpk_eq_i32 s21, 0x84
	s_cselect_b64 s[8:9], -1, 0
	v_cmp_eq_u32_e32 vcc, v2, v4
	s_and_b64 s[10:11], vcc, s[8:9]
	s_and_saveexec_b64 s[8:9], s[10:11]
; %bb.6:
	v_mov_b32_e32 v6, 1.0
	v_mov_b32_e32 v7, 0
	ds_write_b64 v3, v[6:7]
; %bb.7:
	s_or_b64 exec, exec, s[8:9]
	s_cmpk_lg_i32 s20, 0x79
	s_cbranch_scc0 .LBB178_9
; %bb.8:
	v_cmp_lt_u32_e32 vcc, v4, v2
	s_and_b64 s[8:9], vcc, exec
	s_cbranch_execz .LBB178_10
	s_branch .LBB178_11
.LBB178_9:
	s_mov_b64 s[8:9], 0
.LBB178_10:
	v_cmp_gt_u32_e32 vcc, v4, v2
	s_andn2_b64 s[8:9], s[8:9], exec
	s_and_b64 s[10:11], vcc, exec
	s_or_b64 s[8:9], s[8:9], s[10:11]
.LBB178_11:
	s_and_saveexec_b64 s[10:11], s[8:9]
; %bb.12:
	v_mov_b32_e32 v4, 0
	v_mov_b32_e32 v5, v4
	ds_write_b64 v3, v[4:5]
; %bb.13:
	s_or_b64 exec, exec, s[10:11]
	s_waitcnt lgkmcnt(0)
	s_barrier
	s_and_saveexec_b64 s[8:9], s[2:3]
	s_cbranch_execz .LBB178_15
; %bb.14:
	v_lshlrev_b32_e32 v1, 3, v2
	v_add_u32_e32 v3, 0x800, v0
	ds_read2_b64 v[4:7], v1 offset1:16
	ds_read2_b64 v[8:11], v3 offset1:16
	ds_read2_b64 v[12:15], v1 offset0:32 offset1:48
	ds_read2_b64 v[16:19], v3 offset0:32 offset1:48
	s_load_dwordx2 s[0:1], s[0:1], 0x60
	s_waitcnt lgkmcnt(0)
	v_mul_f32_e32 v20, v4, v9
	v_fmac_f32_e32 v20, v5, v8
	v_mul_f32_e32 v21, v6, v11
	v_add_f32_e32 v20, 0, v20
	v_fmac_f32_e32 v21, v7, v10
	v_add_f32_e32 v28, v20, v21
	v_mul_f32_e32 v29, v12, v17
	ds_read2_b64 v[20:23], v1 offset0:64 offset1:80
	ds_read2_b64 v[24:27], v3 offset0:64 offset1:80
	v_fmac_f32_e32 v29, v13, v16
	v_add_f32_e32 v28, v28, v29
	v_mul_f32_e32 v29, v14, v19
	v_fmac_f32_e32 v29, v15, v18
	v_add_f32_e32 v36, v28, v29
	ds_read2_b64 v[28:31], v1 offset0:96 offset1:112
	ds_read2_b64 v[32:35], v3 offset0:96 offset1:112
	s_waitcnt lgkmcnt(2)
	v_mul_f32_e32 v37, v20, v25
	v_fmac_f32_e32 v37, v21, v24
	v_add_f32_e32 v36, v36, v37
	v_mul_f32_e32 v37, v22, v27
	v_fmac_f32_e32 v37, v23, v26
	v_add_f32_e32 v44, v36, v37
	s_waitcnt lgkmcnt(0)
	v_mul_f32_e32 v45, v28, v33
	ds_read2_b64 v[36:39], v1 offset0:128 offset1:144
	ds_read2_b64 v[40:43], v3 offset0:128 offset1:144
	v_fmac_f32_e32 v45, v29, v32
	v_add_f32_e32 v44, v44, v45
	v_mul_f32_e32 v45, v30, v35
	v_fmac_f32_e32 v45, v31, v34
	v_add_f32_e32 v52, v44, v45
	ds_read2_b64 v[44:47], v1 offset0:160 offset1:176
	ds_read2_b64 v[48:51], v3 offset0:160 offset1:176
	s_waitcnt lgkmcnt(2)
	v_mul_f32_e32 v53, v36, v41
	v_fmac_f32_e32 v53, v37, v40
	v_mul_f32_e32 v5, v5, v9
	v_add_f32_e32 v52, v52, v53
	v_mul_f32_e32 v53, v38, v43
	v_fma_f32 v54, v4, v8, -v5
	v_mul_f32_e32 v4, v7, v11
	v_fmac_f32_e32 v53, v39, v42
	v_fma_f32 v55, v6, v10, -v4
	ds_read2_b64 v[4:7], v1 offset0:192 offset1:208
	ds_read2_b64 v[8:11], v3 offset0:192 offset1:208
	v_add_f32_e32 v52, v52, v53
	s_waitcnt lgkmcnt(2)
	v_mul_f32_e32 v53, v44, v49
	v_mul_f32_e32 v13, v13, v17
	v_fmac_f32_e32 v53, v45, v48
	v_fma_f32 v56, v12, v16, -v13
	v_mul_f32_e32 v12, v15, v19
	v_add_f32_e32 v52, v52, v53
	v_mul_f32_e32 v53, v46, v51
	v_fma_f32 v57, v14, v18, -v12
	ds_read2_b64 v[12:15], v1 offset0:224 offset1:240
	ds_read2_b64 v[16:19], v3 offset0:224 offset1:240
	v_fmac_f32_e32 v53, v47, v50
	v_add_f32_e32 v52, v52, v53
	s_waitcnt lgkmcnt(2)
	v_mul_f32_e32 v53, v4, v9
	v_fmac_f32_e32 v53, v5, v8
	v_mul_f32_e32 v3, v6, v11
	v_add_f32_e32 v1, v52, v53
	v_fmac_f32_e32 v3, v7, v10
	v_add_f32_e32 v1, v1, v3
	s_waitcnt lgkmcnt(0)
	v_mul_f32_e32 v3, v12, v17
	v_fmac_f32_e32 v3, v13, v16
	v_add_f32_e32 v1, v1, v3
	v_mul_f32_e32 v3, v14, v19
	v_fmac_f32_e32 v3, v15, v18
	v_add_f32_e32 v52, v1, v3
	v_add_f32_e32 v1, 0, v54
	;; [unrolled: 1-line block ×4, first 2 shown]
	v_mul_f32_e32 v3, v21, v25
	v_add_f32_e32 v1, v1, v57
	v_fma_f32 v3, v20, v24, -v3
	v_add_f32_e32 v1, v1, v3
	v_mul_f32_e32 v3, v23, v27
	v_fma_f32 v3, v22, v26, -v3
	v_add_f32_e32 v1, v1, v3
	v_mul_f32_e32 v3, v29, v33
	;; [unrolled: 3-line block ×8, first 2 shown]
	v_fma_f32 v3, v4, v8, -v3
	s_lshl_b64 s[0:1], s[0:1], 3
	v_add_f32_e32 v1, v1, v3
	v_mul_f32_e32 v3, v7, v11
	s_add_u32 s2, s14, s0
	v_fma_f32 v3, v6, v10, -v3
	s_addc_u32 s3, s15, s1
	s_lshl_b64 s[0:1], s[4:5], 3
	v_add_f32_e32 v1, v1, v3
	v_mul_f32_e32 v3, v13, v17
	s_add_u32 s0, s2, s0
	v_fma_f32 v3, v12, v16, -v3
	s_addc_u32 s1, s3, s1
	v_add_f32_e32 v1, v1, v3
	v_mul_f32_e32 v3, v15, v19
	v_mad_u64_u32 v[6:7], s[2:3], s6, v2, 0
	v_fma_f32 v3, v14, v18, -v3
	v_mov_b32_e32 v8, v7
	v_add_f32_e32 v4, v1, v3
	v_mad_u64_u32 v[2:3], s[2:3], s7, v2, v[8:9]
	v_mov_b32_e32 v7, v2
	v_lshl_add_u64 v[2:3], v[6:7], 3, s[0:1]
	v_mov_b32_e32 v1, 0
	v_lshl_add_u64 v[0:1], v[2:3], 0, v[0:1]
	v_pk_mul_f32 v[2:3], s[24:25], v[52:53] op_sel:[1,0] op_sel_hi:[0,0]
	v_pk_fma_f32 v[6:7], s[24:25], v[4:5], v[2:3] neg_lo:[0,0,1] neg_hi:[0,0,1]
	v_pk_fma_f32 v[2:3], s[24:25], v[4:5], v[2:3] op_sel_hi:[1,0,1]
	s_nop 0
	v_mov_b32_e32 v7, v3
	flat_store_dwordx2 v[0:1], v[6:7]
.LBB178_15:
	s_endpgm
	.section	.rodata,"a",@progbits
	.p2align	6, 0x0
	.amdhsa_kernel _ZL23rocblas_trmm_rTx_kernelILi16ELb1E19rocblas_complex_numIfEPKS1_KS3_KPS1_Ev13rocblas_fill_17rocblas_diagonal_iiT2_lPT3_llSB_llPT4_lli
		.amdhsa_group_segment_fixed_size 4096
		.amdhsa_private_segment_fixed_size 0
		.amdhsa_kernarg_size 108
		.amdhsa_user_sgpr_count 2
		.amdhsa_user_sgpr_dispatch_ptr 0
		.amdhsa_user_sgpr_queue_ptr 0
		.amdhsa_user_sgpr_kernarg_segment_ptr 1
		.amdhsa_user_sgpr_dispatch_id 0
		.amdhsa_user_sgpr_kernarg_preload_length 0
		.amdhsa_user_sgpr_kernarg_preload_offset 0
		.amdhsa_user_sgpr_private_segment_size 0
		.amdhsa_uses_dynamic_stack 0
		.amdhsa_enable_private_segment 0
		.amdhsa_system_sgpr_workgroup_id_x 1
		.amdhsa_system_sgpr_workgroup_id_y 0
		.amdhsa_system_sgpr_workgroup_id_z 1
		.amdhsa_system_sgpr_workgroup_info 0
		.amdhsa_system_vgpr_workitem_id 1
		.amdhsa_next_free_vgpr 58
		.amdhsa_next_free_sgpr 32
		.amdhsa_accum_offset 60
		.amdhsa_reserve_vcc 1
		.amdhsa_float_round_mode_32 0
		.amdhsa_float_round_mode_16_64 0
		.amdhsa_float_denorm_mode_32 3
		.amdhsa_float_denorm_mode_16_64 3
		.amdhsa_dx10_clamp 1
		.amdhsa_ieee_mode 1
		.amdhsa_fp16_overflow 0
		.amdhsa_tg_split 0
		.amdhsa_exception_fp_ieee_invalid_op 0
		.amdhsa_exception_fp_denorm_src 0
		.amdhsa_exception_fp_ieee_div_zero 0
		.amdhsa_exception_fp_ieee_overflow 0
		.amdhsa_exception_fp_ieee_underflow 0
		.amdhsa_exception_fp_ieee_inexact 0
		.amdhsa_exception_int_div_zero 0
	.end_amdhsa_kernel
	.section	.text._ZL23rocblas_trmm_rTx_kernelILi16ELb1E19rocblas_complex_numIfEPKS1_KS3_KPS1_Ev13rocblas_fill_17rocblas_diagonal_iiT2_lPT3_llSB_llPT4_lli,"axG",@progbits,_ZL23rocblas_trmm_rTx_kernelILi16ELb1E19rocblas_complex_numIfEPKS1_KS3_KPS1_Ev13rocblas_fill_17rocblas_diagonal_iiT2_lPT3_llSB_llPT4_lli,comdat
.Lfunc_end178:
	.size	_ZL23rocblas_trmm_rTx_kernelILi16ELb1E19rocblas_complex_numIfEPKS1_KS3_KPS1_Ev13rocblas_fill_17rocblas_diagonal_iiT2_lPT3_llSB_llPT4_lli, .Lfunc_end178-_ZL23rocblas_trmm_rTx_kernelILi16ELb1E19rocblas_complex_numIfEPKS1_KS3_KPS1_Ev13rocblas_fill_17rocblas_diagonal_iiT2_lPT3_llSB_llPT4_lli
                                        ; -- End function
	.set _ZL23rocblas_trmm_rTx_kernelILi16ELb1E19rocblas_complex_numIfEPKS1_KS3_KPS1_Ev13rocblas_fill_17rocblas_diagonal_iiT2_lPT3_llSB_llPT4_lli.num_vgpr, 58
	.set _ZL23rocblas_trmm_rTx_kernelILi16ELb1E19rocblas_complex_numIfEPKS1_KS3_KPS1_Ev13rocblas_fill_17rocblas_diagonal_iiT2_lPT3_llSB_llPT4_lli.num_agpr, 0
	.set _ZL23rocblas_trmm_rTx_kernelILi16ELb1E19rocblas_complex_numIfEPKS1_KS3_KPS1_Ev13rocblas_fill_17rocblas_diagonal_iiT2_lPT3_llSB_llPT4_lli.numbered_sgpr, 32
	.set _ZL23rocblas_trmm_rTx_kernelILi16ELb1E19rocblas_complex_numIfEPKS1_KS3_KPS1_Ev13rocblas_fill_17rocblas_diagonal_iiT2_lPT3_llSB_llPT4_lli.num_named_barrier, 0
	.set _ZL23rocblas_trmm_rTx_kernelILi16ELb1E19rocblas_complex_numIfEPKS1_KS3_KPS1_Ev13rocblas_fill_17rocblas_diagonal_iiT2_lPT3_llSB_llPT4_lli.private_seg_size, 0
	.set _ZL23rocblas_trmm_rTx_kernelILi16ELb1E19rocblas_complex_numIfEPKS1_KS3_KPS1_Ev13rocblas_fill_17rocblas_diagonal_iiT2_lPT3_llSB_llPT4_lli.uses_vcc, 1
	.set _ZL23rocblas_trmm_rTx_kernelILi16ELb1E19rocblas_complex_numIfEPKS1_KS3_KPS1_Ev13rocblas_fill_17rocblas_diagonal_iiT2_lPT3_llSB_llPT4_lli.uses_flat_scratch, 0
	.set _ZL23rocblas_trmm_rTx_kernelILi16ELb1E19rocblas_complex_numIfEPKS1_KS3_KPS1_Ev13rocblas_fill_17rocblas_diagonal_iiT2_lPT3_llSB_llPT4_lli.has_dyn_sized_stack, 0
	.set _ZL23rocblas_trmm_rTx_kernelILi16ELb1E19rocblas_complex_numIfEPKS1_KS3_KPS1_Ev13rocblas_fill_17rocblas_diagonal_iiT2_lPT3_llSB_llPT4_lli.has_recursion, 0
	.set _ZL23rocblas_trmm_rTx_kernelILi16ELb1E19rocblas_complex_numIfEPKS1_KS3_KPS1_Ev13rocblas_fill_17rocblas_diagonal_iiT2_lPT3_llSB_llPT4_lli.has_indirect_call, 0
	.section	.AMDGPU.csdata,"",@progbits
; Kernel info:
; codeLenInByte = 1348
; TotalNumSgprs: 38
; NumVgprs: 58
; NumAgprs: 0
; TotalNumVgprs: 58
; ScratchSize: 0
; MemoryBound: 0
; FloatMode: 240
; IeeeMode: 1
; LDSByteSize: 4096 bytes/workgroup (compile time only)
; SGPRBlocks: 4
; VGPRBlocks: 7
; NumSGPRsForWavesPerEU: 38
; NumVGPRsForWavesPerEU: 58
; AccumOffset: 60
; Occupancy: 8
; WaveLimiterHint : 1
; COMPUTE_PGM_RSRC2:SCRATCH_EN: 0
; COMPUTE_PGM_RSRC2:USER_SGPR: 2
; COMPUTE_PGM_RSRC2:TRAP_HANDLER: 0
; COMPUTE_PGM_RSRC2:TGID_X_EN: 1
; COMPUTE_PGM_RSRC2:TGID_Y_EN: 0
; COMPUTE_PGM_RSRC2:TGID_Z_EN: 1
; COMPUTE_PGM_RSRC2:TIDIG_COMP_CNT: 1
; COMPUTE_PGM_RSRC3_GFX90A:ACCUM_OFFSET: 14
; COMPUTE_PGM_RSRC3_GFX90A:TG_SPLIT: 0
	.section	.text._ZL23rocblas_trmm_rTx_kernelILi16ELb1E19rocblas_complex_numIfES1_KPKS1_KPS1_Ev13rocblas_fill_17rocblas_diagonal_iiT2_lPT3_llSB_llPT4_lli,"axG",@progbits,_ZL23rocblas_trmm_rTx_kernelILi16ELb1E19rocblas_complex_numIfES1_KPKS1_KPS1_Ev13rocblas_fill_17rocblas_diagonal_iiT2_lPT3_llSB_llPT4_lli,comdat
	.globl	_ZL23rocblas_trmm_rTx_kernelILi16ELb1E19rocblas_complex_numIfES1_KPKS1_KPS1_Ev13rocblas_fill_17rocblas_diagonal_iiT2_lPT3_llSB_llPT4_lli ; -- Begin function _ZL23rocblas_trmm_rTx_kernelILi16ELb1E19rocblas_complex_numIfES1_KPKS1_KPS1_Ev13rocblas_fill_17rocblas_diagonal_iiT2_lPT3_llSB_llPT4_lli
	.p2align	8
	.type	_ZL23rocblas_trmm_rTx_kernelILi16ELb1E19rocblas_complex_numIfES1_KPKS1_KPS1_Ev13rocblas_fill_17rocblas_diagonal_iiT2_lPT3_llSB_llPT4_lli,@function
_ZL23rocblas_trmm_rTx_kernelILi16ELb1E19rocblas_complex_numIfES1_KPKS1_KPS1_Ev13rocblas_fill_17rocblas_diagonal_iiT2_lPT3_llSB_llPT4_lli: ; @_ZL23rocblas_trmm_rTx_kernelILi16ELb1E19rocblas_complex_numIfES1_KPKS1_KPS1_Ev13rocblas_fill_17rocblas_diagonal_iiT2_lPT3_llSB_llPT4_lli
; %bb.0:
	s_load_dwordx2 s[6:7], s[0:1], 0x10
	s_mov_b32 s5, 0
	s_waitcnt lgkmcnt(0)
	v_cmp_neq_f32_e64 s[8:9], s6, 0
	v_cmp_neq_f32_e64 s[10:11], s7, 0
	s_or_b64 s[8:9], s[8:9], s[10:11]
	s_andn2_b64 vcc, exec, s[8:9]
	s_cbranch_vccnz .LBB179_15
; %bb.1:
	s_load_dwordx16 s[8:23], s[0:1], 0x20
	s_load_dwordx4 s[24:27], s[0:1], 0x0
	s_mov_b32 s4, s3
	s_lshl_b64 s[30:31], s[4:5], 3
	v_bfe_u32 v2, v0, 10, 10
	s_waitcnt lgkmcnt(0)
	s_add_u32 s14, s14, s30
	s_addc_u32 s15, s15, s31
	s_load_dwordx2 s[28:29], s[14:15], 0x0
	s_add_u32 s14, s20, s30
	s_addc_u32 s15, s21, s31
	s_load_dwordx2 s[14:15], s[14:15], 0x0
	v_and_b32_e32 v4, 0x3ff, v0
	v_lshlrev_b32_e32 v0, 4, v2
	s_mov_b32 s4, s5
	v_add_lshl_u32 v3, v0, v4, 3
	v_mov_b64_e32 v[0:1], s[4:5]
	v_cmp_gt_i32_e32 vcc, s27, v2
	v_cmp_gt_i32_e64 s[4:5], s27, v4
	ds_write2st64_b64 v3, v[0:1], v[0:1] offset1:4
	s_and_b64 s[20:21], vcc, s[4:5]
	v_lshlrev_b32_e32 v0, 3, v4
	s_and_saveexec_b64 s[4:5], s[20:21]
	s_cbranch_execz .LBB179_3
; %bb.2:
	s_add_u32 s8, s8, s30
	s_addc_u32 s9, s9, s31
	s_load_dwordx2 s[8:9], s[8:9], 0x0
	v_mad_u64_u32 v[6:7], s[20:21], s10, v2, 0
	s_lshl_b64 s[12:13], s[12:13], 3
	v_mov_b32_e32 v8, v7
	s_waitcnt lgkmcnt(0)
	s_add_u32 s8, s8, s12
	v_mad_u64_u32 v[8:9], s[10:11], s11, v2, v[8:9]
	s_addc_u32 s9, s9, s13
	v_mov_b32_e32 v7, v8
	v_lshl_add_u64 v[6:7], v[6:7], 3, s[8:9]
	v_mov_b32_e32 v1, 0
	v_lshl_add_u64 v[6:7], v[6:7], 0, v[0:1]
	flat_load_dwordx2 v[6:7], v[6:7]
	s_waitcnt vmcnt(0) lgkmcnt(0)
	v_xor_b32_e32 v7, 0x80000000, v7
	ds_write_b64 v3, v[6:7]
.LBB179_3:
	s_or_b64 exec, exec, s[4:5]
	s_add_i32 s3, s26, -1
	s_ashr_i32 s4, s3, 31
	s_lshr_b32 s4, s4, 28
	s_add_i32 s3, s3, s4
	s_ashr_i32 s4, s3, 4
	s_and_b32 s3, s3, -16
	s_sub_i32 s3, s26, s3
	s_cmp_ge_i32 s2, s4
	s_cselect_b32 s3, s3, 16
	s_lshl_b32 s4, s2, 4
	v_cmp_gt_i32_e64 s[2:3], s3, v4
	s_ashr_i32 s5, s4, 31
	s_and_b64 s[2:3], vcc, s[2:3]
	s_and_saveexec_b64 s[8:9], s[2:3]
	s_cbranch_execz .LBB179_5
; %bb.4:
	s_lshl_b64 s[10:11], s[18:19], 3
	s_waitcnt lgkmcnt(0)
	s_add_u32 s12, s28, s10
	s_addc_u32 s13, s29, s11
	s_lshl_b64 s[10:11], s[4:5], 3
	s_add_u32 s10, s12, s10
	s_addc_u32 s11, s13, s11
	v_mad_u64_u32 v[6:7], s[12:13], s16, v2, 0
	v_mov_b32_e32 v8, v7
	v_mad_u64_u32 v[8:9], s[12:13], s17, v2, v[8:9]
	v_mov_b32_e32 v7, v8
	v_lshl_add_u64 v[6:7], v[6:7], 3, s[10:11]
	v_mov_b32_e32 v1, 0
	v_lshl_add_u64 v[6:7], v[6:7], 0, v[0:1]
	flat_load_dwordx2 v[6:7], v[6:7]
	v_add_u32_e32 v1, 0x800, v3
	s_waitcnt vmcnt(0) lgkmcnt(0)
	ds_write_b64 v1, v[6:7]
.LBB179_5:
	s_or_b64 exec, exec, s[8:9]
	s_cmpk_eq_i32 s25, 0x84
	s_cselect_b64 s[8:9], -1, 0
	v_cmp_eq_u32_e32 vcc, v2, v4
	s_and_b64 s[10:11], vcc, s[8:9]
	s_and_saveexec_b64 s[8:9], s[10:11]
; %bb.6:
	v_mov_b32_e32 v6, 1.0
	v_mov_b32_e32 v7, 0
	ds_write_b64 v3, v[6:7]
; %bb.7:
	s_or_b64 exec, exec, s[8:9]
	s_cmpk_lg_i32 s24, 0x79
	s_cbranch_scc0 .LBB179_9
; %bb.8:
	v_cmp_lt_u32_e32 vcc, v4, v2
	s_and_b64 s[8:9], vcc, exec
	s_cbranch_execz .LBB179_10
	s_branch .LBB179_11
.LBB179_9:
	s_mov_b64 s[8:9], 0
.LBB179_10:
	v_cmp_gt_u32_e32 vcc, v4, v2
	s_andn2_b64 s[8:9], s[8:9], exec
	s_and_b64 s[10:11], vcc, exec
	s_or_b64 s[8:9], s[8:9], s[10:11]
.LBB179_11:
	s_and_saveexec_b64 s[10:11], s[8:9]
; %bb.12:
	v_mov_b32_e32 v4, 0
	v_mov_b32_e32 v5, v4
	ds_write_b64 v3, v[4:5]
; %bb.13:
	s_or_b64 exec, exec, s[10:11]
	s_waitcnt lgkmcnt(0)
	s_barrier
	s_and_saveexec_b64 s[8:9], s[2:3]
	s_cbranch_execz .LBB179_15
; %bb.14:
	v_lshlrev_b32_e32 v1, 3, v2
	v_add_u32_e32 v3, 0x800, v0
	ds_read2_b64 v[4:7], v1 offset1:16
	ds_read2_b64 v[8:11], v3 offset1:16
	ds_read2_b64 v[12:15], v1 offset0:32 offset1:48
	ds_read2_b64 v[16:19], v3 offset0:32 offset1:48
	s_load_dwordx2 s[0:1], s[0:1], 0x60
	s_waitcnt lgkmcnt(0)
	v_mul_f32_e32 v20, v4, v9
	v_fmac_f32_e32 v20, v5, v8
	v_mul_f32_e32 v21, v6, v11
	v_add_f32_e32 v20, 0, v20
	v_fmac_f32_e32 v21, v7, v10
	v_add_f32_e32 v28, v20, v21
	v_mul_f32_e32 v29, v12, v17
	ds_read2_b64 v[20:23], v1 offset0:64 offset1:80
	ds_read2_b64 v[24:27], v3 offset0:64 offset1:80
	v_fmac_f32_e32 v29, v13, v16
	v_add_f32_e32 v28, v28, v29
	v_mul_f32_e32 v29, v14, v19
	v_fmac_f32_e32 v29, v15, v18
	v_add_f32_e32 v36, v28, v29
	ds_read2_b64 v[28:31], v1 offset0:96 offset1:112
	ds_read2_b64 v[32:35], v3 offset0:96 offset1:112
	s_waitcnt lgkmcnt(2)
	v_mul_f32_e32 v37, v20, v25
	v_fmac_f32_e32 v37, v21, v24
	v_add_f32_e32 v36, v36, v37
	v_mul_f32_e32 v37, v22, v27
	v_fmac_f32_e32 v37, v23, v26
	v_add_f32_e32 v44, v36, v37
	s_waitcnt lgkmcnt(0)
	v_mul_f32_e32 v45, v28, v33
	ds_read2_b64 v[36:39], v1 offset0:128 offset1:144
	ds_read2_b64 v[40:43], v3 offset0:128 offset1:144
	v_fmac_f32_e32 v45, v29, v32
	v_add_f32_e32 v44, v44, v45
	v_mul_f32_e32 v45, v30, v35
	v_fmac_f32_e32 v45, v31, v34
	v_add_f32_e32 v52, v44, v45
	ds_read2_b64 v[44:47], v1 offset0:160 offset1:176
	ds_read2_b64 v[48:51], v3 offset0:160 offset1:176
	s_waitcnt lgkmcnt(2)
	v_mul_f32_e32 v53, v36, v41
	v_fmac_f32_e32 v53, v37, v40
	v_mul_f32_e32 v5, v5, v9
	v_add_f32_e32 v52, v52, v53
	v_mul_f32_e32 v53, v38, v43
	v_fma_f32 v54, v4, v8, -v5
	v_mul_f32_e32 v4, v7, v11
	v_fmac_f32_e32 v53, v39, v42
	v_fma_f32 v55, v6, v10, -v4
	ds_read2_b64 v[4:7], v1 offset0:192 offset1:208
	ds_read2_b64 v[8:11], v3 offset0:192 offset1:208
	v_add_f32_e32 v52, v52, v53
	s_waitcnt lgkmcnt(2)
	v_mul_f32_e32 v53, v44, v49
	v_mul_f32_e32 v13, v13, v17
	v_fmac_f32_e32 v53, v45, v48
	v_fma_f32 v56, v12, v16, -v13
	v_mul_f32_e32 v12, v15, v19
	v_add_f32_e32 v52, v52, v53
	v_mul_f32_e32 v53, v46, v51
	v_fma_f32 v57, v14, v18, -v12
	ds_read2_b64 v[12:15], v1 offset0:224 offset1:240
	ds_read2_b64 v[16:19], v3 offset0:224 offset1:240
	v_fmac_f32_e32 v53, v47, v50
	v_add_f32_e32 v52, v52, v53
	s_waitcnt lgkmcnt(2)
	v_mul_f32_e32 v53, v4, v9
	v_fmac_f32_e32 v53, v5, v8
	v_mul_f32_e32 v3, v6, v11
	v_add_f32_e32 v1, v52, v53
	v_fmac_f32_e32 v3, v7, v10
	v_add_f32_e32 v1, v1, v3
	s_waitcnt lgkmcnt(0)
	v_mul_f32_e32 v3, v12, v17
	v_fmac_f32_e32 v3, v13, v16
	v_add_f32_e32 v1, v1, v3
	v_mul_f32_e32 v3, v14, v19
	v_fmac_f32_e32 v3, v15, v18
	v_add_f32_e32 v52, v1, v3
	v_add_f32_e32 v1, 0, v54
	v_add_f32_e32 v1, v1, v55
	v_add_f32_e32 v1, v1, v56
	v_mul_f32_e32 v3, v21, v25
	v_add_f32_e32 v1, v1, v57
	v_fma_f32 v3, v20, v24, -v3
	v_add_f32_e32 v1, v1, v3
	v_mul_f32_e32 v3, v23, v27
	v_fma_f32 v3, v22, v26, -v3
	v_add_f32_e32 v1, v1, v3
	v_mul_f32_e32 v3, v29, v33
	;; [unrolled: 3-line block ×8, first 2 shown]
	v_fma_f32 v3, v4, v8, -v3
	s_lshl_b64 s[0:1], s[0:1], 3
	v_add_f32_e32 v1, v1, v3
	v_mul_f32_e32 v3, v7, v11
	s_add_u32 s2, s14, s0
	v_fma_f32 v3, v6, v10, -v3
	s_addc_u32 s3, s15, s1
	s_lshl_b64 s[0:1], s[4:5], 3
	v_add_f32_e32 v1, v1, v3
	v_mul_f32_e32 v3, v13, v17
	s_add_u32 s0, s2, s0
	v_fma_f32 v3, v12, v16, -v3
	s_addc_u32 s1, s3, s1
	v_add_f32_e32 v1, v1, v3
	v_mul_f32_e32 v3, v15, v19
	v_mad_u64_u32 v[6:7], s[2:3], s22, v2, 0
	v_fma_f32 v3, v14, v18, -v3
	v_mov_b32_e32 v8, v7
	v_add_f32_e32 v4, v1, v3
	v_mad_u64_u32 v[2:3], s[2:3], s23, v2, v[8:9]
	v_mov_b32_e32 v7, v2
	v_lshl_add_u64 v[2:3], v[6:7], 3, s[0:1]
	v_mov_b32_e32 v1, 0
	v_lshl_add_u64 v[0:1], v[2:3], 0, v[0:1]
	v_pk_mul_f32 v[2:3], s[6:7], v[52:53] op_sel:[1,0] op_sel_hi:[0,0]
	v_pk_fma_f32 v[6:7], s[6:7], v[4:5], v[2:3] neg_lo:[0,0,1] neg_hi:[0,0,1]
	v_pk_fma_f32 v[2:3], s[6:7], v[4:5], v[2:3] op_sel_hi:[1,0,1]
	s_nop 0
	v_mov_b32_e32 v7, v3
	flat_store_dwordx2 v[0:1], v[6:7]
.LBB179_15:
	s_endpgm
	.section	.rodata,"a",@progbits
	.p2align	6, 0x0
	.amdhsa_kernel _ZL23rocblas_trmm_rTx_kernelILi16ELb1E19rocblas_complex_numIfES1_KPKS1_KPS1_Ev13rocblas_fill_17rocblas_diagonal_iiT2_lPT3_llSB_llPT4_lli
		.amdhsa_group_segment_fixed_size 4096
		.amdhsa_private_segment_fixed_size 0
		.amdhsa_kernarg_size 108
		.amdhsa_user_sgpr_count 2
		.amdhsa_user_sgpr_dispatch_ptr 0
		.amdhsa_user_sgpr_queue_ptr 0
		.amdhsa_user_sgpr_kernarg_segment_ptr 1
		.amdhsa_user_sgpr_dispatch_id 0
		.amdhsa_user_sgpr_kernarg_preload_length 0
		.amdhsa_user_sgpr_kernarg_preload_offset 0
		.amdhsa_user_sgpr_private_segment_size 0
		.amdhsa_uses_dynamic_stack 0
		.amdhsa_enable_private_segment 0
		.amdhsa_system_sgpr_workgroup_id_x 1
		.amdhsa_system_sgpr_workgroup_id_y 0
		.amdhsa_system_sgpr_workgroup_id_z 1
		.amdhsa_system_sgpr_workgroup_info 0
		.amdhsa_system_vgpr_workitem_id 1
		.amdhsa_next_free_vgpr 58
		.amdhsa_next_free_sgpr 32
		.amdhsa_accum_offset 60
		.amdhsa_reserve_vcc 1
		.amdhsa_float_round_mode_32 0
		.amdhsa_float_round_mode_16_64 0
		.amdhsa_float_denorm_mode_32 3
		.amdhsa_float_denorm_mode_16_64 3
		.amdhsa_dx10_clamp 1
		.amdhsa_ieee_mode 1
		.amdhsa_fp16_overflow 0
		.amdhsa_tg_split 0
		.amdhsa_exception_fp_ieee_invalid_op 0
		.amdhsa_exception_fp_denorm_src 0
		.amdhsa_exception_fp_ieee_div_zero 0
		.amdhsa_exception_fp_ieee_overflow 0
		.amdhsa_exception_fp_ieee_underflow 0
		.amdhsa_exception_fp_ieee_inexact 0
		.amdhsa_exception_int_div_zero 0
	.end_amdhsa_kernel
	.section	.text._ZL23rocblas_trmm_rTx_kernelILi16ELb1E19rocblas_complex_numIfES1_KPKS1_KPS1_Ev13rocblas_fill_17rocblas_diagonal_iiT2_lPT3_llSB_llPT4_lli,"axG",@progbits,_ZL23rocblas_trmm_rTx_kernelILi16ELb1E19rocblas_complex_numIfES1_KPKS1_KPS1_Ev13rocblas_fill_17rocblas_diagonal_iiT2_lPT3_llSB_llPT4_lli,comdat
.Lfunc_end179:
	.size	_ZL23rocblas_trmm_rTx_kernelILi16ELb1E19rocblas_complex_numIfES1_KPKS1_KPS1_Ev13rocblas_fill_17rocblas_diagonal_iiT2_lPT3_llSB_llPT4_lli, .Lfunc_end179-_ZL23rocblas_trmm_rTx_kernelILi16ELb1E19rocblas_complex_numIfES1_KPKS1_KPS1_Ev13rocblas_fill_17rocblas_diagonal_iiT2_lPT3_llSB_llPT4_lli
                                        ; -- End function
	.set _ZL23rocblas_trmm_rTx_kernelILi16ELb1E19rocblas_complex_numIfES1_KPKS1_KPS1_Ev13rocblas_fill_17rocblas_diagonal_iiT2_lPT3_llSB_llPT4_lli.num_vgpr, 58
	.set _ZL23rocblas_trmm_rTx_kernelILi16ELb1E19rocblas_complex_numIfES1_KPKS1_KPS1_Ev13rocblas_fill_17rocblas_diagonal_iiT2_lPT3_llSB_llPT4_lli.num_agpr, 0
	.set _ZL23rocblas_trmm_rTx_kernelILi16ELb1E19rocblas_complex_numIfES1_KPKS1_KPS1_Ev13rocblas_fill_17rocblas_diagonal_iiT2_lPT3_llSB_llPT4_lli.numbered_sgpr, 32
	.set _ZL23rocblas_trmm_rTx_kernelILi16ELb1E19rocblas_complex_numIfES1_KPKS1_KPS1_Ev13rocblas_fill_17rocblas_diagonal_iiT2_lPT3_llSB_llPT4_lli.num_named_barrier, 0
	.set _ZL23rocblas_trmm_rTx_kernelILi16ELb1E19rocblas_complex_numIfES1_KPKS1_KPS1_Ev13rocblas_fill_17rocblas_diagonal_iiT2_lPT3_llSB_llPT4_lli.private_seg_size, 0
	.set _ZL23rocblas_trmm_rTx_kernelILi16ELb1E19rocblas_complex_numIfES1_KPKS1_KPS1_Ev13rocblas_fill_17rocblas_diagonal_iiT2_lPT3_llSB_llPT4_lli.uses_vcc, 1
	.set _ZL23rocblas_trmm_rTx_kernelILi16ELb1E19rocblas_complex_numIfES1_KPKS1_KPS1_Ev13rocblas_fill_17rocblas_diagonal_iiT2_lPT3_llSB_llPT4_lli.uses_flat_scratch, 0
	.set _ZL23rocblas_trmm_rTx_kernelILi16ELb1E19rocblas_complex_numIfES1_KPKS1_KPS1_Ev13rocblas_fill_17rocblas_diagonal_iiT2_lPT3_llSB_llPT4_lli.has_dyn_sized_stack, 0
	.set _ZL23rocblas_trmm_rTx_kernelILi16ELb1E19rocblas_complex_numIfES1_KPKS1_KPS1_Ev13rocblas_fill_17rocblas_diagonal_iiT2_lPT3_llSB_llPT4_lli.has_recursion, 0
	.set _ZL23rocblas_trmm_rTx_kernelILi16ELb1E19rocblas_complex_numIfES1_KPKS1_KPS1_Ev13rocblas_fill_17rocblas_diagonal_iiT2_lPT3_llSB_llPT4_lli.has_indirect_call, 0
	.section	.AMDGPU.csdata,"",@progbits
; Kernel info:
; codeLenInByte = 1312
; TotalNumSgprs: 38
; NumVgprs: 58
; NumAgprs: 0
; TotalNumVgprs: 58
; ScratchSize: 0
; MemoryBound: 0
; FloatMode: 240
; IeeeMode: 1
; LDSByteSize: 4096 bytes/workgroup (compile time only)
; SGPRBlocks: 4
; VGPRBlocks: 7
; NumSGPRsForWavesPerEU: 38
; NumVGPRsForWavesPerEU: 58
; AccumOffset: 60
; Occupancy: 8
; WaveLimiterHint : 1
; COMPUTE_PGM_RSRC2:SCRATCH_EN: 0
; COMPUTE_PGM_RSRC2:USER_SGPR: 2
; COMPUTE_PGM_RSRC2:TRAP_HANDLER: 0
; COMPUTE_PGM_RSRC2:TGID_X_EN: 1
; COMPUTE_PGM_RSRC2:TGID_Y_EN: 0
; COMPUTE_PGM_RSRC2:TGID_Z_EN: 1
; COMPUTE_PGM_RSRC2:TIDIG_COMP_CNT: 1
; COMPUTE_PGM_RSRC3_GFX90A:ACCUM_OFFSET: 14
; COMPUTE_PGM_RSRC3_GFX90A:TG_SPLIT: 0
	.section	.text._ZL23rocblas_trmm_lNx_kernelILi16E19rocblas_complex_numIdEPKS1_KS3_KPS1_Ev13rocblas_fill_17rocblas_diagonal_iiT1_lPT2_llSB_llPT3_lli,"axG",@progbits,_ZL23rocblas_trmm_lNx_kernelILi16E19rocblas_complex_numIdEPKS1_KS3_KPS1_Ev13rocblas_fill_17rocblas_diagonal_iiT1_lPT2_llSB_llPT3_lli,comdat
	.globl	_ZL23rocblas_trmm_lNx_kernelILi16E19rocblas_complex_numIdEPKS1_KS3_KPS1_Ev13rocblas_fill_17rocblas_diagonal_iiT1_lPT2_llSB_llPT3_lli ; -- Begin function _ZL23rocblas_trmm_lNx_kernelILi16E19rocblas_complex_numIdEPKS1_KS3_KPS1_Ev13rocblas_fill_17rocblas_diagonal_iiT1_lPT2_llSB_llPT3_lli
	.p2align	8
	.type	_ZL23rocblas_trmm_lNx_kernelILi16E19rocblas_complex_numIdEPKS1_KS3_KPS1_Ev13rocblas_fill_17rocblas_diagonal_iiT1_lPT2_llSB_llPT3_lli,@function
_ZL23rocblas_trmm_lNx_kernelILi16E19rocblas_complex_numIdEPKS1_KS3_KPS1_Ev13rocblas_fill_17rocblas_diagonal_iiT1_lPT2_llSB_llPT3_lli: ; @_ZL23rocblas_trmm_lNx_kernelILi16E19rocblas_complex_numIdEPKS1_KS3_KPS1_Ev13rocblas_fill_17rocblas_diagonal_iiT1_lPT2_llSB_llPT3_lli
; %bb.0:
	s_load_dwordx16 s[4:19], s[0:1], 0x10
	s_mov_b32 s28, s3
	s_waitcnt lgkmcnt(0)
	s_mul_i32 s3, s7, s3
	s_mul_hi_u32 s7, s6, s28
	s_add_i32 s7, s7, s3
	s_mul_i32 s6, s6, s28
	s_lshl_b64 s[6:7], s[6:7], 4
	s_add_u32 s4, s4, s6
	s_addc_u32 s5, s5, s7
	s_load_dwordx4 s[20:23], s[4:5], 0x0
	s_waitcnt lgkmcnt(0)
	v_cmp_neq_f64_e64 s[4:5], s[20:21], 0
	v_cmp_neq_f64_e64 s[6:7], s[22:23], 0
	s_or_b64 s[4:5], s[4:5], s[6:7]
	s_andn2_b64 vcc, exec, s[4:5]
	s_cbranch_vccnz .LBB180_15
; %bb.1:
	s_load_dwordx4 s[24:27], s[0:1], 0x0
	s_load_dwordx4 s[4:7], s[0:1], 0x50
	s_mov_b32 s29, 0
	s_lshl_b64 s[36:37], s[28:29], 3
	s_add_u32 s14, s14, s36
	s_addc_u32 s15, s15, s37
	s_waitcnt lgkmcnt(0)
	s_add_u32 s4, s4, s36
	s_addc_u32 s5, s5, s37
	s_load_dwordx2 s[34:35], s[14:15], 0x0
	v_and_b32_e32 v5, 0x3ff, v0
	s_load_dwordx2 s[14:15], s[4:5], 0x0
	v_bfe_u32 v2, v0, 10, 10
	s_mov_b32 s28, s29
	v_lshlrev_b32_e32 v3, 4, v2
	s_mov_b32 s30, s29
	s_mov_b32 s31, s29
	v_mov_b64_e32 v[6:7], s[28:29]
	v_cmp_gt_i32_e64 s[4:5], s26, v2
	v_cmp_gt_i32_e32 vcc, s26, v5
	v_add_lshl_u32 v4, v3, v5, 4
	v_mov_b64_e32 v[8:9], s[30:31]
	s_and_b64 s[28:29], s[4:5], vcc
	v_lshlrev_b32_e32 v0, 4, v5
	ds_write_b128 v4, v[6:9]
	ds_write_b128 v4, v[6:9] offset:4096
	s_and_saveexec_b64 s[4:5], s[28:29]
	s_cbranch_execz .LBB180_3
; %bb.2:
	s_add_u32 s8, s8, s36
	s_addc_u32 s9, s9, s37
	s_load_dwordx2 s[8:9], s[8:9], 0x0
	v_mad_u64_u32 v[6:7], s[28:29], s10, v2, 0
	s_lshl_b64 s[12:13], s[12:13], 4
	v_mov_b32_e32 v8, v7
	s_waitcnt lgkmcnt(0)
	s_add_u32 s8, s8, s12
	v_mad_u64_u32 v[8:9], s[10:11], s11, v2, v[8:9]
	s_addc_u32 s9, s9, s13
	v_mov_b32_e32 v7, v8
	v_lshl_add_u64 v[6:7], v[6:7], 4, s[8:9]
	v_mov_b32_e32 v1, 0
	v_lshl_add_u64 v[6:7], v[6:7], 0, v[0:1]
	flat_load_dwordx4 v[6:9], v[6:7]
	s_waitcnt vmcnt(0) lgkmcnt(0)
	ds_write2_b64 v4, v[6:7], v[8:9] offset1:1
.LBB180_3:
	s_or_b64 exec, exec, s[4:5]
	s_add_i32 s3, s27, -1
	s_ashr_i32 s4, s3, 31
	s_lshr_b32 s4, s4, 28
	s_add_i32 s3, s3, s4
	s_ashr_i32 s4, s3, 4
	s_and_b32 s3, s3, -16
	s_sub_i32 s3, s27, s3
	s_cmp_ge_i32 s2, s4
	s_cselect_b32 s3, s3, 16
	s_lshl_b32 s10, s2, 4
	v_cmp_gt_i32_e64 s[2:3], s3, v2
	s_ashr_i32 s11, s10, 31
	s_and_b64 s[2:3], vcc, s[2:3]
	s_and_saveexec_b64 s[4:5], s[2:3]
	s_cbranch_execz .LBB180_5
; %bb.4:
	s_lshl_b64 s[8:9], s[18:19], 4
	s_waitcnt lgkmcnt(0)
	s_add_u32 s12, s34, s8
	s_addc_u32 s13, s35, s9
	s_mul_i32 s8, s16, s11
	s_mul_hi_u32 s9, s16, s10
	s_add_i32 s8, s9, s8
	s_mul_i32 s9, s17, s10
	s_add_i32 s9, s8, s9
	s_mul_i32 s8, s16, s10
	s_lshl_b64 s[8:9], s[8:9], 4
	s_add_u32 s8, s12, s8
	s_addc_u32 s9, s13, s9
	v_mad_u64_u32 v[6:7], s[12:13], s16, v2, 0
	v_mov_b32_e32 v8, v7
	v_mad_u64_u32 v[8:9], s[12:13], s17, v2, v[8:9]
	v_mov_b32_e32 v7, v8
	v_lshl_add_u64 v[6:7], v[6:7], 4, s[8:9]
	v_mov_b32_e32 v1, 0
	v_lshl_add_u64 v[6:7], v[6:7], 0, v[0:1]
	flat_load_dwordx4 v[6:9], v[6:7]
	v_add_u32_e32 v1, 0x1000, v4
	s_waitcnt vmcnt(0) lgkmcnt(0)
	ds_write2_b64 v1, v[6:7], v[8:9] offset1:1
.LBB180_5:
	s_or_b64 exec, exec, s[4:5]
	s_cmpk_eq_i32 s25, 0x84
	s_cselect_b64 s[4:5], -1, 0
	v_cmp_eq_u32_e32 vcc, v2, v5
	s_and_b64 s[8:9], vcc, s[4:5]
	s_and_saveexec_b64 s[4:5], s[8:9]
; %bb.6:
	v_mov_b32_e32 v6, 0
	v_mov_b32_e32 v7, 0x3ff00000
	;; [unrolled: 1-line block ×4, first 2 shown]
	ds_write_b128 v4, v[6:9]
; %bb.7:
	s_or_b64 exec, exec, s[4:5]
	s_cmpk_lg_i32 s24, 0x79
	s_cbranch_scc0 .LBB180_9
; %bb.8:
	v_cmp_lt_u32_e32 vcc, v5, v2
	s_and_b64 s[4:5], vcc, exec
	s_cbranch_execz .LBB180_10
	s_branch .LBB180_11
.LBB180_9:
	s_mov_b64 s[4:5], 0
.LBB180_10:
	v_cmp_gt_u32_e32 vcc, v5, v2
	s_andn2_b64 s[4:5], s[4:5], exec
	s_and_b64 s[8:9], vcc, exec
	s_or_b64 s[4:5], s[4:5], s[8:9]
.LBB180_11:
	s_and_saveexec_b64 s[8:9], s[4:5]
; %bb.12:
	v_mov_b32_e32 v6, 0
	v_mov_b32_e32 v7, v6
	;; [unrolled: 1-line block ×4, first 2 shown]
	ds_write_b128 v4, v[6:9]
; %bb.13:
	s_or_b64 exec, exec, s[8:9]
	s_waitcnt lgkmcnt(0)
	s_barrier
	s_and_saveexec_b64 s[4:5], s[2:3]
	s_cbranch_execz .LBB180_15
; %bb.14:
	v_lshlrev_b32_e32 v1, 4, v3
	ds_read_b128 v[4:7], v0
	ds_read_b128 v[8:11], v1 offset:4096
	ds_read_b128 v[12:15], v1 offset:4112
	;; [unrolled: 1-line block ×5, first 2 shown]
	s_waitcnt lgkmcnt(4)
	v_mul_f64 v[28:29], v[8:9], v[6:7]
	v_fmac_f64_e32 v[28:29], v[10:11], v[4:5]
	v_add_f64 v[36:37], v[28:29], 0
	ds_read_b128 v[28:31], v0 offset:512
	ds_read_b128 v[32:35], v0 offset:768
	s_waitcnt lgkmcnt(2)
	v_mul_f64 v[38:39], v[12:13], v[26:27]
	v_fmac_f64_e32 v[38:39], v[14:15], v[24:25]
	v_add_f64 v[36:37], v[36:37], v[38:39]
	s_waitcnt lgkmcnt(1)
	v_mul_f64 v[38:39], v[16:17], v[30:31]
	v_fmac_f64_e32 v[38:39], v[18:19], v[28:29]
	v_add_f64 v[52:53], v[36:37], v[38:39]
	ds_read_b128 v[36:39], v1 offset:4160
	ds_read_b128 v[40:43], v0 offset:1024
	;; [unrolled: 1-line block ×4, first 2 shown]
	s_waitcnt lgkmcnt(4)
	v_mul_f64 v[54:55], v[20:21], v[34:35]
	v_fmac_f64_e32 v[54:55], v[22:23], v[32:33]
	v_add_f64 v[52:53], v[52:53], v[54:55]
	s_waitcnt lgkmcnt(2)
	v_mul_f64 v[54:55], v[36:37], v[42:43]
	v_fmac_f64_e32 v[54:55], v[38:39], v[40:41]
	v_add_f64 v[52:53], v[52:53], v[54:55]
	s_waitcnt lgkmcnt(0)
	v_mul_f64 v[54:55], v[44:45], v[50:51]
	v_fmac_f64_e32 v[54:55], v[46:47], v[48:49]
	v_mul_f64 v[6:7], v[10:11], v[6:7]
	v_add_f64 v[56:57], v[52:53], v[54:55]
	ds_read_b128 v[52:55], v1 offset:4192
	v_fma_f64 v[58:59], v[8:9], v[4:5], -v[6:7]
	ds_read_b128 v[4:7], v0 offset:1536
	v_mul_f64 v[8:9], v[14:15], v[26:27]
	v_fma_f64 v[60:61], v[12:13], v[24:25], -v[8:9]
	ds_read_b128 v[8:11], v1 offset:4208
	ds_read_b128 v[12:15], v0 offset:1792
	v_mul_f64 v[18:19], v[18:19], v[30:31]
	v_mul_f64 v[22:23], v[22:23], v[34:35]
	v_fma_f64 v[62:63], v[16:17], v[28:29], -v[18:19]
	ds_read_b128 v[16:19], v1 offset:4224
	v_fma_f64 v[66:67], v[20:21], v[32:33], -v[22:23]
	ds_read_b128 v[20:23], v0 offset:2048
	s_waitcnt lgkmcnt(4)
	v_mul_f64 v[24:25], v[52:53], v[6:7]
	v_fmac_f64_e32 v[24:25], v[54:55], v[4:5]
	s_waitcnt lgkmcnt(2)
	v_mul_f64 v[64:65], v[8:9], v[14:15]
	v_add_f64 v[56:57], v[56:57], v[24:25]
	v_fmac_f64_e32 v[64:65], v[10:11], v[12:13]
	s_waitcnt lgkmcnt(0)
	v_mul_f64 v[34:35], v[16:17], v[22:23]
	v_mul_f64 v[24:25], v[38:39], v[42:43]
	v_add_f64 v[32:33], v[56:57], v[64:65]
	v_fmac_f64_e32 v[34:35], v[18:19], v[20:21]
	v_fma_f64 v[68:69], v[36:37], v[40:41], -v[24:25]
	ds_read_b128 v[24:27], v1 offset:4240
	ds_read_b128 v[28:31], v0 offset:2304
	v_add_f64 v[40:41], v[32:33], v[34:35]
	v_mul_f64 v[32:33], v[46:47], v[50:51]
	v_fma_f64 v[56:57], v[44:45], v[48:49], -v[32:33]
	ds_read_b128 v[32:35], v0 offset:2560
	v_mul_f64 v[6:7], v[54:55], v[6:7]
	v_fma_f64 v[52:53], v[52:53], v[4:5], -v[6:7]
	ds_read_b128 v[4:7], v1 offset:4256
	ds_read_b128 v[36:39], v1 offset:4272
	s_waitcnt lgkmcnt(3)
	v_mul_f64 v[42:43], v[24:25], v[30:31]
	v_fmac_f64_e32 v[42:43], v[26:27], v[28:29]
	v_mul_f64 v[10:11], v[10:11], v[14:15]
	s_waitcnt lgkmcnt(1)
	v_mul_f64 v[14:15], v[4:5], v[34:35]
	v_fma_f64 v[54:55], v[8:9], v[12:13], -v[10:11]
	v_add_f64 v[12:13], v[40:41], v[42:43]
	v_fmac_f64_e32 v[14:15], v[6:7], v[32:33]
	v_add_f64 v[58:59], v[58:59], 0
	ds_read_b128 v[8:11], v0 offset:2816
	v_add_f64 v[40:41], v[12:13], v[14:15]
	v_mul_f64 v[12:13], v[18:19], v[22:23]
	v_add_f64 v[58:59], v[58:59], v[60:61]
	v_fma_f64 v[64:65], v[16:17], v[20:21], -v[12:13]
	ds_read_b128 v[12:15], v1 offset:4288
	ds_read_b128 v[16:19], v0 offset:3072
	v_add_f64 v[58:59], v[58:59], v[62:63]
	v_add_f64 v[58:59], v[58:59], v[66:67]
	;; [unrolled: 1-line block ×4, first 2 shown]
	s_waitcnt lgkmcnt(2)
	v_mul_f64 v[42:43], v[36:37], v[10:11]
	v_mul_f64 v[20:21], v[26:27], v[30:31]
	v_add_f64 v[52:53], v[56:57], v[52:53]
	v_fmac_f64_e32 v[42:43], v[38:39], v[8:9]
	v_fma_f64 v[70:71], v[24:25], v[28:29], -v[20:21]
	ds_read_b128 v[20:23], v1 offset:4304
	ds_read_b128 v[24:27], v0 offset:3328
	s_waitcnt lgkmcnt(2)
	v_mul_f64 v[30:31], v[12:13], v[18:19]
	v_add_f64 v[52:53], v[52:53], v[54:55]
	v_add_f64 v[28:29], v[40:41], v[42:43]
	v_fmac_f64_e32 v[30:31], v[14:15], v[16:17]
	s_load_dwordx2 s[0:1], s[0:1], 0x60
	v_add_f64 v[52:53], v[52:53], v[64:65]
	v_mul_f64 v[6:7], v[6:7], v[34:35]
	v_add_f64 v[72:73], v[28:29], v[30:31]
	ds_read_b128 v[28:31], v1 offset:4320
	ds_read_b128 v[40:43], v0 offset:3584
	v_add_f64 v[52:53], v[52:53], v[70:71]
	v_fma_f64 v[4:5], v[4:5], v[32:33], -v[6:7]
	v_mul_f64 v[6:7], v[38:39], v[10:11]
	v_add_f64 v[4:5], v[52:53], v[4:5]
	v_fma_f64 v[6:7], v[36:37], v[8:9], -v[6:7]
	ds_read_b128 v[44:47], v1 offset:4336
	ds_read_b128 v[48:51], v0 offset:3840
	v_add_f64 v[4:5], v[4:5], v[6:7]
	v_mul_f64 v[6:7], v[14:15], v[18:19]
	s_waitcnt lgkmcnt(0)
	v_mul_f64 v[74:75], v[20:21], v[26:27]
	v_fma_f64 v[6:7], v[12:13], v[16:17], -v[6:7]
	v_fmac_f64_e32 v[74:75], v[22:23], v[24:25]
	s_lshl_b64 s[0:1], s[0:1], 4
	v_add_f64 v[4:5], v[4:5], v[6:7]
	v_mul_f64 v[6:7], v[22:23], v[26:27]
	v_add_f64 v[72:73], v[72:73], v[74:75]
	v_mul_f64 v[74:75], v[28:29], v[42:43]
	s_add_u32 s2, s14, s0
	v_fma_f64 v[6:7], v[20:21], v[24:25], -v[6:7]
	v_fmac_f64_e32 v[74:75], v[30:31], v[40:41]
	s_addc_u32 s3, s15, s1
	s_mul_i32 s0, s6, s11
	s_mul_hi_u32 s1, s6, s10
	v_add_f64 v[4:5], v[4:5], v[6:7]
	v_mul_f64 v[6:7], v[30:31], v[42:43]
	v_add_f64 v[72:73], v[72:73], v[74:75]
	v_mul_f64 v[74:75], v[44:45], v[50:51]
	s_add_i32 s0, s1, s0
	s_mul_i32 s1, s7, s10
	v_fma_f64 v[6:7], v[28:29], v[40:41], -v[6:7]
	v_fmac_f64_e32 v[74:75], v[46:47], v[48:49]
	s_add_i32 s1, s0, s1
	s_mul_i32 s0, s6, s10
	v_add_f64 v[4:5], v[4:5], v[6:7]
	v_mul_f64 v[6:7], v[46:47], v[50:51]
	v_add_f64 v[72:73], v[72:73], v[74:75]
	s_lshl_b64 s[0:1], s[0:1], 4
	v_fma_f64 v[6:7], v[44:45], v[48:49], -v[6:7]
	s_add_u32 s0, s2, s0
	v_add_f64 v[4:5], v[4:5], v[6:7]
	v_mul_f64 v[6:7], s[20:21], v[72:73]
	v_mul_f64 v[8:9], s[22:23], v[72:73]
	s_addc_u32 s1, s3, s1
	v_fmac_f64_e32 v[6:7], s[22:23], v[4:5]
	v_fma_f64 v[4:5], s[20:21], v[4:5], -v[8:9]
	v_mad_u64_u32 v[8:9], s[2:3], s6, v2, 0
	v_mov_b32_e32 v10, v9
	v_mad_u64_u32 v[2:3], s[2:3], s7, v2, v[10:11]
	v_mov_b32_e32 v9, v2
	v_lshl_add_u64 v[2:3], v[8:9], 4, s[0:1]
	v_mov_b32_e32 v1, 0
	v_lshl_add_u64 v[0:1], v[2:3], 0, v[0:1]
	flat_store_dwordx4 v[0:1], v[4:7]
.LBB180_15:
	s_endpgm
	.section	.rodata,"a",@progbits
	.p2align	6, 0x0
	.amdhsa_kernel _ZL23rocblas_trmm_lNx_kernelILi16E19rocblas_complex_numIdEPKS1_KS3_KPS1_Ev13rocblas_fill_17rocblas_diagonal_iiT1_lPT2_llSB_llPT3_lli
		.amdhsa_group_segment_fixed_size 8192
		.amdhsa_private_segment_fixed_size 0
		.amdhsa_kernarg_size 108
		.amdhsa_user_sgpr_count 2
		.amdhsa_user_sgpr_dispatch_ptr 0
		.amdhsa_user_sgpr_queue_ptr 0
		.amdhsa_user_sgpr_kernarg_segment_ptr 1
		.amdhsa_user_sgpr_dispatch_id 0
		.amdhsa_user_sgpr_kernarg_preload_length 0
		.amdhsa_user_sgpr_kernarg_preload_offset 0
		.amdhsa_user_sgpr_private_segment_size 0
		.amdhsa_uses_dynamic_stack 0
		.amdhsa_enable_private_segment 0
		.amdhsa_system_sgpr_workgroup_id_x 1
		.amdhsa_system_sgpr_workgroup_id_y 0
		.amdhsa_system_sgpr_workgroup_id_z 1
		.amdhsa_system_sgpr_workgroup_info 0
		.amdhsa_system_vgpr_workitem_id 1
		.amdhsa_next_free_vgpr 76
		.amdhsa_next_free_sgpr 38
		.amdhsa_accum_offset 76
		.amdhsa_reserve_vcc 1
		.amdhsa_float_round_mode_32 0
		.amdhsa_float_round_mode_16_64 0
		.amdhsa_float_denorm_mode_32 3
		.amdhsa_float_denorm_mode_16_64 3
		.amdhsa_dx10_clamp 1
		.amdhsa_ieee_mode 1
		.amdhsa_fp16_overflow 0
		.amdhsa_tg_split 0
		.amdhsa_exception_fp_ieee_invalid_op 0
		.amdhsa_exception_fp_denorm_src 0
		.amdhsa_exception_fp_ieee_div_zero 0
		.amdhsa_exception_fp_ieee_overflow 0
		.amdhsa_exception_fp_ieee_underflow 0
		.amdhsa_exception_fp_ieee_inexact 0
		.amdhsa_exception_int_div_zero 0
	.end_amdhsa_kernel
	.section	.text._ZL23rocblas_trmm_lNx_kernelILi16E19rocblas_complex_numIdEPKS1_KS3_KPS1_Ev13rocblas_fill_17rocblas_diagonal_iiT1_lPT2_llSB_llPT3_lli,"axG",@progbits,_ZL23rocblas_trmm_lNx_kernelILi16E19rocblas_complex_numIdEPKS1_KS3_KPS1_Ev13rocblas_fill_17rocblas_diagonal_iiT1_lPT2_llSB_llPT3_lli,comdat
.Lfunc_end180:
	.size	_ZL23rocblas_trmm_lNx_kernelILi16E19rocblas_complex_numIdEPKS1_KS3_KPS1_Ev13rocblas_fill_17rocblas_diagonal_iiT1_lPT2_llSB_llPT3_lli, .Lfunc_end180-_ZL23rocblas_trmm_lNx_kernelILi16E19rocblas_complex_numIdEPKS1_KS3_KPS1_Ev13rocblas_fill_17rocblas_diagonal_iiT1_lPT2_llSB_llPT3_lli
                                        ; -- End function
	.set _ZL23rocblas_trmm_lNx_kernelILi16E19rocblas_complex_numIdEPKS1_KS3_KPS1_Ev13rocblas_fill_17rocblas_diagonal_iiT1_lPT2_llSB_llPT3_lli.num_vgpr, 76
	.set _ZL23rocblas_trmm_lNx_kernelILi16E19rocblas_complex_numIdEPKS1_KS3_KPS1_Ev13rocblas_fill_17rocblas_diagonal_iiT1_lPT2_llSB_llPT3_lli.num_agpr, 0
	.set _ZL23rocblas_trmm_lNx_kernelILi16E19rocblas_complex_numIdEPKS1_KS3_KPS1_Ev13rocblas_fill_17rocblas_diagonal_iiT1_lPT2_llSB_llPT3_lli.numbered_sgpr, 38
	.set _ZL23rocblas_trmm_lNx_kernelILi16E19rocblas_complex_numIdEPKS1_KS3_KPS1_Ev13rocblas_fill_17rocblas_diagonal_iiT1_lPT2_llSB_llPT3_lli.num_named_barrier, 0
	.set _ZL23rocblas_trmm_lNx_kernelILi16E19rocblas_complex_numIdEPKS1_KS3_KPS1_Ev13rocblas_fill_17rocblas_diagonal_iiT1_lPT2_llSB_llPT3_lli.private_seg_size, 0
	.set _ZL23rocblas_trmm_lNx_kernelILi16E19rocblas_complex_numIdEPKS1_KS3_KPS1_Ev13rocblas_fill_17rocblas_diagonal_iiT1_lPT2_llSB_llPT3_lli.uses_vcc, 1
	.set _ZL23rocblas_trmm_lNx_kernelILi16E19rocblas_complex_numIdEPKS1_KS3_KPS1_Ev13rocblas_fill_17rocblas_diagonal_iiT1_lPT2_llSB_llPT3_lli.uses_flat_scratch, 0
	.set _ZL23rocblas_trmm_lNx_kernelILi16E19rocblas_complex_numIdEPKS1_KS3_KPS1_Ev13rocblas_fill_17rocblas_diagonal_iiT1_lPT2_llSB_llPT3_lli.has_dyn_sized_stack, 0
	.set _ZL23rocblas_trmm_lNx_kernelILi16E19rocblas_complex_numIdEPKS1_KS3_KPS1_Ev13rocblas_fill_17rocblas_diagonal_iiT1_lPT2_llSB_llPT3_lli.has_recursion, 0
	.set _ZL23rocblas_trmm_lNx_kernelILi16E19rocblas_complex_numIdEPKS1_KS3_KPS1_Ev13rocblas_fill_17rocblas_diagonal_iiT1_lPT2_llSB_llPT3_lli.has_indirect_call, 0
	.section	.AMDGPU.csdata,"",@progbits
; Kernel info:
; codeLenInByte = 1832
; TotalNumSgprs: 44
; NumVgprs: 76
; NumAgprs: 0
; TotalNumVgprs: 76
; ScratchSize: 0
; MemoryBound: 0
; FloatMode: 240
; IeeeMode: 1
; LDSByteSize: 8192 bytes/workgroup (compile time only)
; SGPRBlocks: 5
; VGPRBlocks: 9
; NumSGPRsForWavesPerEU: 44
; NumVGPRsForWavesPerEU: 76
; AccumOffset: 76
; Occupancy: 6
; WaveLimiterHint : 1
; COMPUTE_PGM_RSRC2:SCRATCH_EN: 0
; COMPUTE_PGM_RSRC2:USER_SGPR: 2
; COMPUTE_PGM_RSRC2:TRAP_HANDLER: 0
; COMPUTE_PGM_RSRC2:TGID_X_EN: 1
; COMPUTE_PGM_RSRC2:TGID_Y_EN: 0
; COMPUTE_PGM_RSRC2:TGID_Z_EN: 1
; COMPUTE_PGM_RSRC2:TIDIG_COMP_CNT: 1
; COMPUTE_PGM_RSRC3_GFX90A:ACCUM_OFFSET: 18
; COMPUTE_PGM_RSRC3_GFX90A:TG_SPLIT: 0
	.section	.text._ZL23rocblas_trmm_lNx_kernelILi16E19rocblas_complex_numIdES1_KPKS1_KPS1_Ev13rocblas_fill_17rocblas_diagonal_iiT1_lPT2_llSB_llPT3_lli,"axG",@progbits,_ZL23rocblas_trmm_lNx_kernelILi16E19rocblas_complex_numIdES1_KPKS1_KPS1_Ev13rocblas_fill_17rocblas_diagonal_iiT1_lPT2_llSB_llPT3_lli,comdat
	.globl	_ZL23rocblas_trmm_lNx_kernelILi16E19rocblas_complex_numIdES1_KPKS1_KPS1_Ev13rocblas_fill_17rocblas_diagonal_iiT1_lPT2_llSB_llPT3_lli ; -- Begin function _ZL23rocblas_trmm_lNx_kernelILi16E19rocblas_complex_numIdES1_KPKS1_KPS1_Ev13rocblas_fill_17rocblas_diagonal_iiT1_lPT2_llSB_llPT3_lli
	.p2align	8
	.type	_ZL23rocblas_trmm_lNx_kernelILi16E19rocblas_complex_numIdES1_KPKS1_KPS1_Ev13rocblas_fill_17rocblas_diagonal_iiT1_lPT2_llSB_llPT3_lli,@function
_ZL23rocblas_trmm_lNx_kernelILi16E19rocblas_complex_numIdES1_KPKS1_KPS1_Ev13rocblas_fill_17rocblas_diagonal_iiT1_lPT2_llSB_llPT3_lli: ; @_ZL23rocblas_trmm_lNx_kernelILi16E19rocblas_complex_numIdES1_KPKS1_KPS1_Ev13rocblas_fill_17rocblas_diagonal_iiT1_lPT2_llSB_llPT3_lli
; %bb.0:
	s_load_dwordx4 s[24:27], s[0:1], 0x10
	s_waitcnt lgkmcnt(0)
	v_cmp_neq_f64_e64 s[6:7], s[24:25], 0
	v_cmp_neq_f64_e64 s[8:9], s[26:27], 0
	s_or_b64 s[6:7], s[6:7], s[8:9]
	s_andn2_b64 vcc, exec, s[6:7]
	s_cbranch_vccnz .LBB181_15
; %bb.1:
	s_load_dwordx4 s[28:31], s[0:1], 0x0
	s_load_dwordx16 s[8:23], s[0:1], 0x28
	s_mov_b32 s4, s3
	s_mov_b32 s5, 0
	s_lshl_b64 s[36:37], s[4:5], 3
	v_and_b32_e32 v5, 0x3ff, v0
	s_waitcnt lgkmcnt(0)
	s_add_u32 s6, s14, s36
	s_addc_u32 s7, s15, s37
	s_load_dwordx2 s[34:35], s[6:7], 0x0
	s_add_u32 s6, s20, s36
	s_addc_u32 s7, s21, s37
	s_load_dwordx2 s[14:15], s[6:7], 0x0
	s_mov_b32 s6, s5
	s_mov_b32 s7, s5
	v_bfe_u32 v2, v0, 10, 10
	s_mov_b32 s4, s5
	v_mov_b64_e32 v[8:9], s[6:7]
	v_lshlrev_b32_e32 v3, 4, v2
	v_mov_b64_e32 v[6:7], s[4:5]
	v_cmp_gt_i32_e64 s[4:5], s30, v2
	v_cmp_gt_i32_e32 vcc, s30, v5
	v_add_lshl_u32 v4, v3, v5, 4
	s_and_b64 s[6:7], s[4:5], vcc
	v_lshlrev_b32_e32 v0, 4, v5
	ds_write_b128 v4, v[6:9]
	ds_write_b128 v4, v[6:9] offset:4096
	s_and_saveexec_b64 s[4:5], s[6:7]
	s_cbranch_execz .LBB181_3
; %bb.2:
	s_add_u32 s6, s8, s36
	s_addc_u32 s7, s9, s37
	s_load_dwordx2 s[6:7], s[6:7], 0x0
	v_mad_u64_u32 v[6:7], s[8:9], s10, v2, 0
	s_lshl_b64 s[8:9], s[12:13], 4
	v_mov_b32_e32 v8, v7
	s_waitcnt lgkmcnt(0)
	s_add_u32 s6, s6, s8
	s_addc_u32 s7, s7, s9
	v_mad_u64_u32 v[8:9], s[8:9], s11, v2, v[8:9]
	v_mov_b32_e32 v7, v8
	v_lshl_add_u64 v[6:7], v[6:7], 4, s[6:7]
	v_mov_b32_e32 v1, 0
	v_lshl_add_u64 v[6:7], v[6:7], 0, v[0:1]
	flat_load_dwordx4 v[6:9], v[6:7]
	s_waitcnt vmcnt(0) lgkmcnt(0)
	ds_write2_b64 v4, v[6:7], v[8:9] offset1:1
.LBB181_3:
	s_or_b64 exec, exec, s[4:5]
	s_add_i32 s3, s31, -1
	s_ashr_i32 s4, s3, 31
	s_lshr_b32 s4, s4, 28
	s_add_i32 s3, s3, s4
	s_ashr_i32 s4, s3, 4
	s_and_b32 s3, s3, -16
	s_sub_i32 s3, s31, s3
	s_cmp_ge_i32 s2, s4
	s_cselect_b32 s3, s3, 16
	s_lshl_b32 s8, s2, 4
	v_cmp_gt_i32_e64 s[2:3], s3, v2
	s_ashr_i32 s9, s8, 31
	s_and_b64 s[2:3], vcc, s[2:3]
	s_and_saveexec_b64 s[4:5], s[2:3]
	s_cbranch_execz .LBB181_5
; %bb.4:
	s_lshl_b64 s[6:7], s[18:19], 4
	s_waitcnt lgkmcnt(0)
	s_add_u32 s10, s34, s6
	s_addc_u32 s11, s35, s7
	s_mul_i32 s6, s16, s9
	s_mul_hi_u32 s7, s16, s8
	s_add_i32 s6, s7, s6
	s_mul_i32 s7, s17, s8
	s_add_i32 s7, s6, s7
	s_mul_i32 s6, s16, s8
	s_lshl_b64 s[6:7], s[6:7], 4
	s_add_u32 s6, s10, s6
	s_addc_u32 s7, s11, s7
	v_mad_u64_u32 v[6:7], s[10:11], s16, v2, 0
	v_mov_b32_e32 v8, v7
	v_mad_u64_u32 v[8:9], s[10:11], s17, v2, v[8:9]
	v_mov_b32_e32 v7, v8
	v_lshl_add_u64 v[6:7], v[6:7], 4, s[6:7]
	v_mov_b32_e32 v1, 0
	v_lshl_add_u64 v[6:7], v[6:7], 0, v[0:1]
	flat_load_dwordx4 v[6:9], v[6:7]
	v_add_u32_e32 v1, 0x1000, v4
	s_waitcnt vmcnt(0) lgkmcnt(0)
	ds_write2_b64 v1, v[6:7], v[8:9] offset1:1
.LBB181_5:
	s_or_b64 exec, exec, s[4:5]
	s_cmpk_eq_i32 s29, 0x84
	s_cselect_b64 s[4:5], -1, 0
	v_cmp_eq_u32_e32 vcc, v2, v5
	s_and_b64 s[6:7], vcc, s[4:5]
	s_and_saveexec_b64 s[4:5], s[6:7]
; %bb.6:
	v_mov_b32_e32 v6, 0
	v_mov_b32_e32 v7, 0x3ff00000
	;; [unrolled: 1-line block ×4, first 2 shown]
	ds_write_b128 v4, v[6:9]
; %bb.7:
	s_or_b64 exec, exec, s[4:5]
	s_cmpk_lg_i32 s28, 0x79
	s_cbranch_scc0 .LBB181_9
; %bb.8:
	v_cmp_lt_u32_e32 vcc, v5, v2
	s_and_b64 s[4:5], vcc, exec
	s_cbranch_execz .LBB181_10
	s_branch .LBB181_11
.LBB181_9:
	s_mov_b64 s[4:5], 0
.LBB181_10:
	v_cmp_gt_u32_e32 vcc, v5, v2
	s_andn2_b64 s[4:5], s[4:5], exec
	s_and_b64 s[6:7], vcc, exec
	s_or_b64 s[4:5], s[4:5], s[6:7]
.LBB181_11:
	s_and_saveexec_b64 s[6:7], s[4:5]
; %bb.12:
	v_mov_b32_e32 v6, 0
	v_mov_b32_e32 v7, v6
	;; [unrolled: 1-line block ×4, first 2 shown]
	ds_write_b128 v4, v[6:9]
; %bb.13:
	s_or_b64 exec, exec, s[6:7]
	s_waitcnt lgkmcnt(0)
	s_barrier
	s_and_saveexec_b64 s[4:5], s[2:3]
	s_cbranch_execz .LBB181_15
; %bb.14:
	v_lshlrev_b32_e32 v1, 4, v3
	ds_read_b128 v[4:7], v0
	ds_read_b128 v[8:11], v1 offset:4096
	ds_read_b128 v[12:15], v1 offset:4112
	;; [unrolled: 1-line block ×5, first 2 shown]
	s_waitcnt lgkmcnt(4)
	v_mul_f64 v[28:29], v[8:9], v[6:7]
	v_fmac_f64_e32 v[28:29], v[10:11], v[4:5]
	v_add_f64 v[36:37], v[28:29], 0
	ds_read_b128 v[28:31], v0 offset:512
	ds_read_b128 v[32:35], v0 offset:768
	s_waitcnt lgkmcnt(2)
	v_mul_f64 v[38:39], v[12:13], v[26:27]
	v_fmac_f64_e32 v[38:39], v[14:15], v[24:25]
	v_add_f64 v[36:37], v[36:37], v[38:39]
	s_waitcnt lgkmcnt(1)
	v_mul_f64 v[38:39], v[16:17], v[30:31]
	v_fmac_f64_e32 v[38:39], v[18:19], v[28:29]
	v_add_f64 v[52:53], v[36:37], v[38:39]
	ds_read_b128 v[36:39], v1 offset:4160
	ds_read_b128 v[40:43], v0 offset:1024
	;; [unrolled: 1-line block ×4, first 2 shown]
	s_waitcnt lgkmcnt(4)
	v_mul_f64 v[54:55], v[20:21], v[34:35]
	v_fmac_f64_e32 v[54:55], v[22:23], v[32:33]
	v_add_f64 v[52:53], v[52:53], v[54:55]
	s_waitcnt lgkmcnt(2)
	v_mul_f64 v[54:55], v[36:37], v[42:43]
	v_fmac_f64_e32 v[54:55], v[38:39], v[40:41]
	v_add_f64 v[52:53], v[52:53], v[54:55]
	s_waitcnt lgkmcnt(0)
	v_mul_f64 v[54:55], v[44:45], v[50:51]
	v_fmac_f64_e32 v[54:55], v[46:47], v[48:49]
	v_mul_f64 v[6:7], v[10:11], v[6:7]
	v_add_f64 v[56:57], v[52:53], v[54:55]
	ds_read_b128 v[52:55], v1 offset:4192
	v_fma_f64 v[58:59], v[8:9], v[4:5], -v[6:7]
	ds_read_b128 v[4:7], v0 offset:1536
	v_mul_f64 v[8:9], v[14:15], v[26:27]
	v_fma_f64 v[60:61], v[12:13], v[24:25], -v[8:9]
	ds_read_b128 v[8:11], v1 offset:4208
	ds_read_b128 v[12:15], v0 offset:1792
	v_mul_f64 v[18:19], v[18:19], v[30:31]
	v_mul_f64 v[22:23], v[22:23], v[34:35]
	v_fma_f64 v[62:63], v[16:17], v[28:29], -v[18:19]
	ds_read_b128 v[16:19], v1 offset:4224
	v_fma_f64 v[66:67], v[20:21], v[32:33], -v[22:23]
	ds_read_b128 v[20:23], v0 offset:2048
	s_waitcnt lgkmcnt(4)
	v_mul_f64 v[24:25], v[52:53], v[6:7]
	v_fmac_f64_e32 v[24:25], v[54:55], v[4:5]
	s_waitcnt lgkmcnt(2)
	v_mul_f64 v[64:65], v[8:9], v[14:15]
	v_add_f64 v[56:57], v[56:57], v[24:25]
	v_fmac_f64_e32 v[64:65], v[10:11], v[12:13]
	s_waitcnt lgkmcnt(0)
	v_mul_f64 v[34:35], v[16:17], v[22:23]
	v_mul_f64 v[24:25], v[38:39], v[42:43]
	v_add_f64 v[32:33], v[56:57], v[64:65]
	v_fmac_f64_e32 v[34:35], v[18:19], v[20:21]
	v_fma_f64 v[68:69], v[36:37], v[40:41], -v[24:25]
	ds_read_b128 v[24:27], v1 offset:4240
	ds_read_b128 v[28:31], v0 offset:2304
	v_add_f64 v[40:41], v[32:33], v[34:35]
	v_mul_f64 v[32:33], v[46:47], v[50:51]
	v_fma_f64 v[56:57], v[44:45], v[48:49], -v[32:33]
	ds_read_b128 v[32:35], v0 offset:2560
	v_mul_f64 v[6:7], v[54:55], v[6:7]
	v_fma_f64 v[52:53], v[52:53], v[4:5], -v[6:7]
	ds_read_b128 v[4:7], v1 offset:4256
	ds_read_b128 v[36:39], v1 offset:4272
	s_waitcnt lgkmcnt(3)
	v_mul_f64 v[42:43], v[24:25], v[30:31]
	v_fmac_f64_e32 v[42:43], v[26:27], v[28:29]
	v_mul_f64 v[10:11], v[10:11], v[14:15]
	s_waitcnt lgkmcnt(1)
	v_mul_f64 v[14:15], v[4:5], v[34:35]
	v_fma_f64 v[54:55], v[8:9], v[12:13], -v[10:11]
	v_add_f64 v[12:13], v[40:41], v[42:43]
	v_fmac_f64_e32 v[14:15], v[6:7], v[32:33]
	v_add_f64 v[58:59], v[58:59], 0
	ds_read_b128 v[8:11], v0 offset:2816
	v_add_f64 v[40:41], v[12:13], v[14:15]
	v_mul_f64 v[12:13], v[18:19], v[22:23]
	v_add_f64 v[58:59], v[58:59], v[60:61]
	v_fma_f64 v[64:65], v[16:17], v[20:21], -v[12:13]
	ds_read_b128 v[12:15], v1 offset:4288
	ds_read_b128 v[16:19], v0 offset:3072
	v_add_f64 v[58:59], v[58:59], v[62:63]
	v_add_f64 v[58:59], v[58:59], v[66:67]
	v_add_f64 v[58:59], v[58:59], v[68:69]
	v_add_f64 v[56:57], v[58:59], v[56:57]
	s_waitcnt lgkmcnt(2)
	v_mul_f64 v[42:43], v[36:37], v[10:11]
	v_mul_f64 v[20:21], v[26:27], v[30:31]
	v_add_f64 v[52:53], v[56:57], v[52:53]
	v_fmac_f64_e32 v[42:43], v[38:39], v[8:9]
	v_fma_f64 v[70:71], v[24:25], v[28:29], -v[20:21]
	ds_read_b128 v[20:23], v1 offset:4304
	ds_read_b128 v[24:27], v0 offset:3328
	s_waitcnt lgkmcnt(2)
	v_mul_f64 v[30:31], v[12:13], v[18:19]
	v_add_f64 v[52:53], v[52:53], v[54:55]
	v_add_f64 v[28:29], v[40:41], v[42:43]
	v_fmac_f64_e32 v[30:31], v[14:15], v[16:17]
	s_load_dwordx2 s[0:1], s[0:1], 0x68
	v_add_f64 v[52:53], v[52:53], v[64:65]
	v_mul_f64 v[6:7], v[6:7], v[34:35]
	v_add_f64 v[72:73], v[28:29], v[30:31]
	ds_read_b128 v[28:31], v1 offset:4320
	ds_read_b128 v[40:43], v0 offset:3584
	v_add_f64 v[52:53], v[52:53], v[70:71]
	v_fma_f64 v[4:5], v[4:5], v[32:33], -v[6:7]
	v_mul_f64 v[6:7], v[38:39], v[10:11]
	v_add_f64 v[4:5], v[52:53], v[4:5]
	v_fma_f64 v[6:7], v[36:37], v[8:9], -v[6:7]
	ds_read_b128 v[44:47], v1 offset:4336
	ds_read_b128 v[48:51], v0 offset:3840
	v_add_f64 v[4:5], v[4:5], v[6:7]
	v_mul_f64 v[6:7], v[14:15], v[18:19]
	s_waitcnt lgkmcnt(0)
	v_mul_f64 v[74:75], v[20:21], v[26:27]
	v_fma_f64 v[6:7], v[12:13], v[16:17], -v[6:7]
	v_fmac_f64_e32 v[74:75], v[22:23], v[24:25]
	s_lshl_b64 s[0:1], s[0:1], 4
	v_add_f64 v[4:5], v[4:5], v[6:7]
	v_mul_f64 v[6:7], v[22:23], v[26:27]
	v_add_f64 v[72:73], v[72:73], v[74:75]
	v_mul_f64 v[74:75], v[28:29], v[42:43]
	s_add_u32 s2, s14, s0
	v_fma_f64 v[6:7], v[20:21], v[24:25], -v[6:7]
	v_fmac_f64_e32 v[74:75], v[30:31], v[40:41]
	s_addc_u32 s3, s15, s1
	s_mul_i32 s0, s22, s9
	s_mul_hi_u32 s1, s22, s8
	v_add_f64 v[4:5], v[4:5], v[6:7]
	v_mul_f64 v[6:7], v[30:31], v[42:43]
	v_add_f64 v[72:73], v[72:73], v[74:75]
	v_mul_f64 v[74:75], v[44:45], v[50:51]
	s_add_i32 s0, s1, s0
	s_mul_i32 s1, s23, s8
	v_fma_f64 v[6:7], v[28:29], v[40:41], -v[6:7]
	v_fmac_f64_e32 v[74:75], v[46:47], v[48:49]
	s_add_i32 s1, s0, s1
	s_mul_i32 s0, s22, s8
	v_add_f64 v[4:5], v[4:5], v[6:7]
	v_mul_f64 v[6:7], v[46:47], v[50:51]
	v_add_f64 v[72:73], v[72:73], v[74:75]
	s_lshl_b64 s[0:1], s[0:1], 4
	v_fma_f64 v[6:7], v[44:45], v[48:49], -v[6:7]
	s_add_u32 s0, s2, s0
	v_add_f64 v[4:5], v[4:5], v[6:7]
	v_mul_f64 v[6:7], s[24:25], v[72:73]
	v_mul_f64 v[8:9], s[26:27], v[72:73]
	s_addc_u32 s1, s3, s1
	v_fmac_f64_e32 v[6:7], s[26:27], v[4:5]
	v_fma_f64 v[4:5], s[24:25], v[4:5], -v[8:9]
	v_mad_u64_u32 v[8:9], s[2:3], s22, v2, 0
	v_mov_b32_e32 v10, v9
	v_mad_u64_u32 v[2:3], s[2:3], s23, v2, v[10:11]
	v_mov_b32_e32 v9, v2
	v_lshl_add_u64 v[2:3], v[8:9], 4, s[0:1]
	v_mov_b32_e32 v1, 0
	v_lshl_add_u64 v[0:1], v[2:3], 0, v[0:1]
	flat_store_dwordx4 v[0:1], v[4:7]
.LBB181_15:
	s_endpgm
	.section	.rodata,"a",@progbits
	.p2align	6, 0x0
	.amdhsa_kernel _ZL23rocblas_trmm_lNx_kernelILi16E19rocblas_complex_numIdES1_KPKS1_KPS1_Ev13rocblas_fill_17rocblas_diagonal_iiT1_lPT2_llSB_llPT3_lli
		.amdhsa_group_segment_fixed_size 8192
		.amdhsa_private_segment_fixed_size 0
		.amdhsa_kernarg_size 116
		.amdhsa_user_sgpr_count 2
		.amdhsa_user_sgpr_dispatch_ptr 0
		.amdhsa_user_sgpr_queue_ptr 0
		.amdhsa_user_sgpr_kernarg_segment_ptr 1
		.amdhsa_user_sgpr_dispatch_id 0
		.amdhsa_user_sgpr_kernarg_preload_length 0
		.amdhsa_user_sgpr_kernarg_preload_offset 0
		.amdhsa_user_sgpr_private_segment_size 0
		.amdhsa_uses_dynamic_stack 0
		.amdhsa_enable_private_segment 0
		.amdhsa_system_sgpr_workgroup_id_x 1
		.amdhsa_system_sgpr_workgroup_id_y 0
		.amdhsa_system_sgpr_workgroup_id_z 1
		.amdhsa_system_sgpr_workgroup_info 0
		.amdhsa_system_vgpr_workitem_id 1
		.amdhsa_next_free_vgpr 76
		.amdhsa_next_free_sgpr 38
		.amdhsa_accum_offset 76
		.amdhsa_reserve_vcc 1
		.amdhsa_float_round_mode_32 0
		.amdhsa_float_round_mode_16_64 0
		.amdhsa_float_denorm_mode_32 3
		.amdhsa_float_denorm_mode_16_64 3
		.amdhsa_dx10_clamp 1
		.amdhsa_ieee_mode 1
		.amdhsa_fp16_overflow 0
		.amdhsa_tg_split 0
		.amdhsa_exception_fp_ieee_invalid_op 0
		.amdhsa_exception_fp_denorm_src 0
		.amdhsa_exception_fp_ieee_div_zero 0
		.amdhsa_exception_fp_ieee_overflow 0
		.amdhsa_exception_fp_ieee_underflow 0
		.amdhsa_exception_fp_ieee_inexact 0
		.amdhsa_exception_int_div_zero 0
	.end_amdhsa_kernel
	.section	.text._ZL23rocblas_trmm_lNx_kernelILi16E19rocblas_complex_numIdES1_KPKS1_KPS1_Ev13rocblas_fill_17rocblas_diagonal_iiT1_lPT2_llSB_llPT3_lli,"axG",@progbits,_ZL23rocblas_trmm_lNx_kernelILi16E19rocblas_complex_numIdES1_KPKS1_KPS1_Ev13rocblas_fill_17rocblas_diagonal_iiT1_lPT2_llSB_llPT3_lli,comdat
.Lfunc_end181:
	.size	_ZL23rocblas_trmm_lNx_kernelILi16E19rocblas_complex_numIdES1_KPKS1_KPS1_Ev13rocblas_fill_17rocblas_diagonal_iiT1_lPT2_llSB_llPT3_lli, .Lfunc_end181-_ZL23rocblas_trmm_lNx_kernelILi16E19rocblas_complex_numIdES1_KPKS1_KPS1_Ev13rocblas_fill_17rocblas_diagonal_iiT1_lPT2_llSB_llPT3_lli
                                        ; -- End function
	.set _ZL23rocblas_trmm_lNx_kernelILi16E19rocblas_complex_numIdES1_KPKS1_KPS1_Ev13rocblas_fill_17rocblas_diagonal_iiT1_lPT2_llSB_llPT3_lli.num_vgpr, 76
	.set _ZL23rocblas_trmm_lNx_kernelILi16E19rocblas_complex_numIdES1_KPKS1_KPS1_Ev13rocblas_fill_17rocblas_diagonal_iiT1_lPT2_llSB_llPT3_lli.num_agpr, 0
	.set _ZL23rocblas_trmm_lNx_kernelILi16E19rocblas_complex_numIdES1_KPKS1_KPS1_Ev13rocblas_fill_17rocblas_diagonal_iiT1_lPT2_llSB_llPT3_lli.numbered_sgpr, 38
	.set _ZL23rocblas_trmm_lNx_kernelILi16E19rocblas_complex_numIdES1_KPKS1_KPS1_Ev13rocblas_fill_17rocblas_diagonal_iiT1_lPT2_llSB_llPT3_lli.num_named_barrier, 0
	.set _ZL23rocblas_trmm_lNx_kernelILi16E19rocblas_complex_numIdES1_KPKS1_KPS1_Ev13rocblas_fill_17rocblas_diagonal_iiT1_lPT2_llSB_llPT3_lli.private_seg_size, 0
	.set _ZL23rocblas_trmm_lNx_kernelILi16E19rocblas_complex_numIdES1_KPKS1_KPS1_Ev13rocblas_fill_17rocblas_diagonal_iiT1_lPT2_llSB_llPT3_lli.uses_vcc, 1
	.set _ZL23rocblas_trmm_lNx_kernelILi16E19rocblas_complex_numIdES1_KPKS1_KPS1_Ev13rocblas_fill_17rocblas_diagonal_iiT1_lPT2_llSB_llPT3_lli.uses_flat_scratch, 0
	.set _ZL23rocblas_trmm_lNx_kernelILi16E19rocblas_complex_numIdES1_KPKS1_KPS1_Ev13rocblas_fill_17rocblas_diagonal_iiT1_lPT2_llSB_llPT3_lli.has_dyn_sized_stack, 0
	.set _ZL23rocblas_trmm_lNx_kernelILi16E19rocblas_complex_numIdES1_KPKS1_KPS1_Ev13rocblas_fill_17rocblas_diagonal_iiT1_lPT2_llSB_llPT3_lli.has_recursion, 0
	.set _ZL23rocblas_trmm_lNx_kernelILi16E19rocblas_complex_numIdES1_KPKS1_KPS1_Ev13rocblas_fill_17rocblas_diagonal_iiT1_lPT2_llSB_llPT3_lli.has_indirect_call, 0
	.section	.AMDGPU.csdata,"",@progbits
; Kernel info:
; codeLenInByte = 1792
; TotalNumSgprs: 44
; NumVgprs: 76
; NumAgprs: 0
; TotalNumVgprs: 76
; ScratchSize: 0
; MemoryBound: 0
; FloatMode: 240
; IeeeMode: 1
; LDSByteSize: 8192 bytes/workgroup (compile time only)
; SGPRBlocks: 5
; VGPRBlocks: 9
; NumSGPRsForWavesPerEU: 44
; NumVGPRsForWavesPerEU: 76
; AccumOffset: 76
; Occupancy: 6
; WaveLimiterHint : 1
; COMPUTE_PGM_RSRC2:SCRATCH_EN: 0
; COMPUTE_PGM_RSRC2:USER_SGPR: 2
; COMPUTE_PGM_RSRC2:TRAP_HANDLER: 0
; COMPUTE_PGM_RSRC2:TGID_X_EN: 1
; COMPUTE_PGM_RSRC2:TGID_Y_EN: 0
; COMPUTE_PGM_RSRC2:TGID_Z_EN: 1
; COMPUTE_PGM_RSRC2:TIDIG_COMP_CNT: 1
; COMPUTE_PGM_RSRC3_GFX90A:ACCUM_OFFSET: 18
; COMPUTE_PGM_RSRC3_GFX90A:TG_SPLIT: 0
	.section	.text._ZL23rocblas_trmm_lTx_kernelILi16ELb0E19rocblas_complex_numIdEPKS1_KS3_KPS1_Ev13rocblas_fill_17rocblas_diagonal_iiT2_lPT3_llSB_llPT4_lli,"axG",@progbits,_ZL23rocblas_trmm_lTx_kernelILi16ELb0E19rocblas_complex_numIdEPKS1_KS3_KPS1_Ev13rocblas_fill_17rocblas_diagonal_iiT2_lPT3_llSB_llPT4_lli,comdat
	.globl	_ZL23rocblas_trmm_lTx_kernelILi16ELb0E19rocblas_complex_numIdEPKS1_KS3_KPS1_Ev13rocblas_fill_17rocblas_diagonal_iiT2_lPT3_llSB_llPT4_lli ; -- Begin function _ZL23rocblas_trmm_lTx_kernelILi16ELb0E19rocblas_complex_numIdEPKS1_KS3_KPS1_Ev13rocblas_fill_17rocblas_diagonal_iiT2_lPT3_llSB_llPT4_lli
	.p2align	8
	.type	_ZL23rocblas_trmm_lTx_kernelILi16ELb0E19rocblas_complex_numIdEPKS1_KS3_KPS1_Ev13rocblas_fill_17rocblas_diagonal_iiT2_lPT3_llSB_llPT4_lli,@function
_ZL23rocblas_trmm_lTx_kernelILi16ELb0E19rocblas_complex_numIdEPKS1_KS3_KPS1_Ev13rocblas_fill_17rocblas_diagonal_iiT2_lPT3_llSB_llPT4_lli: ; @_ZL23rocblas_trmm_lTx_kernelILi16ELb0E19rocblas_complex_numIdEPKS1_KS3_KPS1_Ev13rocblas_fill_17rocblas_diagonal_iiT2_lPT3_llSB_llPT4_lli
; %bb.0:
	s_load_dwordx16 s[4:19], s[0:1], 0x10
	s_mov_b32 s28, s3
	s_waitcnt lgkmcnt(0)
	s_mul_i32 s3, s7, s3
	s_mul_hi_u32 s7, s6, s28
	s_add_i32 s7, s7, s3
	s_mul_i32 s6, s6, s28
	s_lshl_b64 s[6:7], s[6:7], 4
	s_add_u32 s4, s4, s6
	s_addc_u32 s5, s5, s7
	s_load_dwordx4 s[20:23], s[4:5], 0x0
	s_waitcnt lgkmcnt(0)
	v_cmp_neq_f64_e64 s[4:5], s[20:21], 0
	v_cmp_neq_f64_e64 s[6:7], s[22:23], 0
	s_or_b64 s[4:5], s[4:5], s[6:7]
	s_andn2_b64 vcc, exec, s[4:5]
	s_cbranch_vccnz .LBB182_15
; %bb.1:
	s_mov_b32 s29, 0
	s_load_dwordx4 s[24:27], s[0:1], 0x0
	s_load_dwordx4 s[4:7], s[0:1], 0x50
	s_lshl_b64 s[30:31], s[28:29], 3
	s_add_u32 s8, s8, s30
	s_addc_u32 s9, s9, s31
	s_load_dwordx2 s[34:35], s[8:9], 0x0
	s_add_u32 s8, s14, s30
	s_addc_u32 s9, s15, s31
	s_waitcnt lgkmcnt(0)
	s_add_u32 s4, s4, s30
	s_addc_u32 s5, s5, s31
	s_load_dwordx2 s[14:15], s[8:9], 0x0
	v_and_b32_e32 v5, 0x3ff, v0
	s_load_dwordx2 s[8:9], s[4:5], 0x0
	v_bfe_u32 v2, v0, 10, 10
	s_mov_b32 s28, s29
	v_lshlrev_b32_e32 v3, 4, v2
	s_mov_b32 s30, s29
	s_mov_b32 s31, s29
	v_mov_b64_e32 v[6:7], s[28:29]
	v_cmp_gt_i32_e64 s[4:5], s26, v2
	v_cmp_gt_i32_e32 vcc, s26, v5
	v_add_lshl_u32 v4, v3, v5, 4
	v_mov_b64_e32 v[8:9], s[30:31]
	s_and_b64 s[28:29], s[4:5], vcc
	v_lshlrev_b32_e32 v0, 4, v5
	ds_write_b128 v4, v[6:9]
	ds_write_b128 v4, v[6:9] offset:4096
	s_waitcnt lgkmcnt(0)
	s_barrier
	s_and_saveexec_b64 s[4:5], s[28:29]
	s_cbranch_execz .LBB182_3
; %bb.2:
	v_mad_u64_u32 v[6:7], s[28:29], s10, v2, 0
	s_lshl_b64 s[12:13], s[12:13], 4
	v_mov_b32_e32 v8, v7
	s_add_u32 s12, s34, s12
	v_mad_u64_u32 v[8:9], s[10:11], s11, v2, v[8:9]
	s_addc_u32 s13, s35, s13
	v_mov_b32_e32 v7, v8
	v_lshl_add_u64 v[6:7], v[6:7], 4, s[12:13]
	v_mov_b32_e32 v1, 0
	v_lshl_add_u64 v[6:7], v[6:7], 0, v[0:1]
	flat_load_dwordx4 v[6:9], v[6:7]
	v_lshl_add_u32 v1, v5, 8, v3
	s_waitcnt vmcnt(0) lgkmcnt(0)
	ds_write2_b64 v1, v[6:7], v[8:9] offset1:1
.LBB182_3:
	s_or_b64 exec, exec, s[4:5]
	s_add_i32 s3, s27, -1
	s_ashr_i32 s4, s3, 31
	s_lshr_b32 s4, s4, 28
	s_add_i32 s3, s3, s4
	s_ashr_i32 s4, s3, 4
	s_and_b32 s3, s3, -16
	s_sub_i32 s3, s27, s3
	s_cmp_ge_i32 s2, s4
	s_cselect_b32 s3, s3, 16
	s_lshl_b32 s12, s2, 4
	v_cmp_gt_i32_e64 s[2:3], s3, v2
	s_ashr_i32 s13, s12, 31
	s_and_b64 s[2:3], vcc, s[2:3]
	s_and_saveexec_b64 s[4:5], s[2:3]
	s_cbranch_execz .LBB182_5
; %bb.4:
	s_lshl_b64 s[10:11], s[18:19], 4
	s_add_u32 s14, s14, s10
	s_addc_u32 s15, s15, s11
	s_mul_i32 s10, s16, s13
	s_mul_hi_u32 s11, s16, s12
	s_add_i32 s10, s11, s10
	s_mul_i32 s11, s17, s12
	s_add_i32 s11, s10, s11
	s_mul_i32 s10, s16, s12
	s_lshl_b64 s[10:11], s[10:11], 4
	s_add_u32 s10, s14, s10
	s_addc_u32 s11, s15, s11
	v_mad_u64_u32 v[6:7], s[14:15], s16, v2, 0
	v_mov_b32_e32 v8, v7
	v_mad_u64_u32 v[8:9], s[14:15], s17, v2, v[8:9]
	v_mov_b32_e32 v7, v8
	v_lshl_add_u64 v[6:7], v[6:7], 4, s[10:11]
	v_mov_b32_e32 v1, 0
	v_lshl_add_u64 v[6:7], v[6:7], 0, v[0:1]
	flat_load_dwordx4 v[6:9], v[6:7]
	v_add_u32_e32 v1, 0x1000, v4
	s_waitcnt vmcnt(0) lgkmcnt(0)
	ds_write2_b64 v1, v[6:7], v[8:9] offset1:1
.LBB182_5:
	s_or_b64 exec, exec, s[4:5]
	s_cmpk_eq_i32 s25, 0x84
	s_cselect_b64 s[4:5], -1, 0
	v_cmp_eq_u32_e32 vcc, v2, v5
	s_and_b64 s[10:11], vcc, s[4:5]
	s_and_saveexec_b64 s[4:5], s[10:11]
; %bb.6:
	v_mov_b32_e32 v6, 0
	v_mov_b32_e32 v7, 0x3ff00000
	;; [unrolled: 1-line block ×4, first 2 shown]
	ds_write_b128 v4, v[6:9]
; %bb.7:
	s_or_b64 exec, exec, s[4:5]
	s_cmpk_lg_i32 s24, 0x7a
	s_waitcnt lgkmcnt(0)
	s_barrier
	s_cbranch_scc0 .LBB182_9
; %bb.8:
	v_cmp_lt_u32_e32 vcc, v5, v2
	s_and_b64 s[4:5], vcc, exec
	s_cbranch_execz .LBB182_10
	s_branch .LBB182_11
.LBB182_9:
	s_mov_b64 s[4:5], 0
.LBB182_10:
	v_cmp_gt_u32_e32 vcc, v5, v2
	s_andn2_b64 s[4:5], s[4:5], exec
	s_and_b64 s[10:11], vcc, exec
	s_or_b64 s[4:5], s[4:5], s[10:11]
.LBB182_11:
	s_and_saveexec_b64 s[10:11], s[4:5]
; %bb.12:
	v_mov_b32_e32 v6, 0
	v_mov_b32_e32 v7, v6
	;; [unrolled: 1-line block ×4, first 2 shown]
	ds_write_b128 v4, v[6:9]
; %bb.13:
	s_or_b64 exec, exec, s[10:11]
	s_waitcnt lgkmcnt(0)
	s_barrier
	s_and_saveexec_b64 s[4:5], s[2:3]
	s_cbranch_execz .LBB182_15
; %bb.14:
	v_lshlrev_b32_e32 v1, 4, v3
	ds_read_b128 v[4:7], v0
	ds_read_b128 v[8:11], v1 offset:4096
	ds_read_b128 v[12:15], v1 offset:4112
	;; [unrolled: 1-line block ×5, first 2 shown]
	s_waitcnt lgkmcnt(4)
	v_mul_f64 v[28:29], v[8:9], v[6:7]
	v_fmac_f64_e32 v[28:29], v[10:11], v[4:5]
	v_add_f64 v[36:37], v[28:29], 0
	ds_read_b128 v[28:31], v0 offset:512
	ds_read_b128 v[32:35], v0 offset:768
	s_waitcnt lgkmcnt(2)
	v_mul_f64 v[38:39], v[12:13], v[26:27]
	v_fmac_f64_e32 v[38:39], v[14:15], v[24:25]
	v_add_f64 v[36:37], v[36:37], v[38:39]
	s_waitcnt lgkmcnt(1)
	v_mul_f64 v[38:39], v[16:17], v[30:31]
	v_fmac_f64_e32 v[38:39], v[18:19], v[28:29]
	v_add_f64 v[52:53], v[36:37], v[38:39]
	ds_read_b128 v[36:39], v1 offset:4160
	ds_read_b128 v[40:43], v0 offset:1024
	;; [unrolled: 1-line block ×4, first 2 shown]
	s_waitcnt lgkmcnt(4)
	v_mul_f64 v[54:55], v[20:21], v[34:35]
	v_fmac_f64_e32 v[54:55], v[22:23], v[32:33]
	v_add_f64 v[52:53], v[52:53], v[54:55]
	s_waitcnt lgkmcnt(2)
	v_mul_f64 v[54:55], v[36:37], v[42:43]
	v_fmac_f64_e32 v[54:55], v[38:39], v[40:41]
	v_add_f64 v[52:53], v[52:53], v[54:55]
	s_waitcnt lgkmcnt(0)
	v_mul_f64 v[54:55], v[44:45], v[50:51]
	v_fmac_f64_e32 v[54:55], v[46:47], v[48:49]
	v_mul_f64 v[6:7], v[10:11], v[6:7]
	v_add_f64 v[56:57], v[52:53], v[54:55]
	ds_read_b128 v[52:55], v1 offset:4192
	v_fma_f64 v[58:59], v[8:9], v[4:5], -v[6:7]
	ds_read_b128 v[4:7], v0 offset:1536
	v_mul_f64 v[8:9], v[14:15], v[26:27]
	v_fma_f64 v[60:61], v[12:13], v[24:25], -v[8:9]
	ds_read_b128 v[8:11], v1 offset:4208
	ds_read_b128 v[12:15], v0 offset:1792
	v_mul_f64 v[18:19], v[18:19], v[30:31]
	v_mul_f64 v[22:23], v[22:23], v[34:35]
	v_fma_f64 v[62:63], v[16:17], v[28:29], -v[18:19]
	ds_read_b128 v[16:19], v1 offset:4224
	v_fma_f64 v[66:67], v[20:21], v[32:33], -v[22:23]
	ds_read_b128 v[20:23], v0 offset:2048
	s_waitcnt lgkmcnt(4)
	v_mul_f64 v[24:25], v[52:53], v[6:7]
	v_fmac_f64_e32 v[24:25], v[54:55], v[4:5]
	s_waitcnt lgkmcnt(2)
	v_mul_f64 v[64:65], v[8:9], v[14:15]
	v_add_f64 v[56:57], v[56:57], v[24:25]
	v_fmac_f64_e32 v[64:65], v[10:11], v[12:13]
	s_waitcnt lgkmcnt(0)
	v_mul_f64 v[34:35], v[16:17], v[22:23]
	v_mul_f64 v[24:25], v[38:39], v[42:43]
	v_add_f64 v[32:33], v[56:57], v[64:65]
	v_fmac_f64_e32 v[34:35], v[18:19], v[20:21]
	v_fma_f64 v[68:69], v[36:37], v[40:41], -v[24:25]
	ds_read_b128 v[24:27], v1 offset:4240
	ds_read_b128 v[28:31], v0 offset:2304
	v_add_f64 v[40:41], v[32:33], v[34:35]
	v_mul_f64 v[32:33], v[46:47], v[50:51]
	v_fma_f64 v[56:57], v[44:45], v[48:49], -v[32:33]
	ds_read_b128 v[32:35], v0 offset:2560
	v_mul_f64 v[6:7], v[54:55], v[6:7]
	v_fma_f64 v[52:53], v[52:53], v[4:5], -v[6:7]
	ds_read_b128 v[4:7], v1 offset:4256
	ds_read_b128 v[36:39], v1 offset:4272
	s_waitcnt lgkmcnt(3)
	v_mul_f64 v[42:43], v[24:25], v[30:31]
	v_fmac_f64_e32 v[42:43], v[26:27], v[28:29]
	v_mul_f64 v[10:11], v[10:11], v[14:15]
	s_waitcnt lgkmcnt(1)
	v_mul_f64 v[14:15], v[4:5], v[34:35]
	v_fma_f64 v[54:55], v[8:9], v[12:13], -v[10:11]
	v_add_f64 v[12:13], v[40:41], v[42:43]
	v_fmac_f64_e32 v[14:15], v[6:7], v[32:33]
	v_add_f64 v[58:59], v[58:59], 0
	ds_read_b128 v[8:11], v0 offset:2816
	v_add_f64 v[40:41], v[12:13], v[14:15]
	v_mul_f64 v[12:13], v[18:19], v[22:23]
	v_add_f64 v[58:59], v[58:59], v[60:61]
	v_fma_f64 v[64:65], v[16:17], v[20:21], -v[12:13]
	ds_read_b128 v[12:15], v1 offset:4288
	ds_read_b128 v[16:19], v0 offset:3072
	v_add_f64 v[58:59], v[58:59], v[62:63]
	v_add_f64 v[58:59], v[58:59], v[66:67]
	;; [unrolled: 1-line block ×4, first 2 shown]
	s_waitcnt lgkmcnt(2)
	v_mul_f64 v[42:43], v[36:37], v[10:11]
	v_mul_f64 v[20:21], v[26:27], v[30:31]
	v_add_f64 v[52:53], v[56:57], v[52:53]
	v_fmac_f64_e32 v[42:43], v[38:39], v[8:9]
	v_fma_f64 v[70:71], v[24:25], v[28:29], -v[20:21]
	ds_read_b128 v[20:23], v1 offset:4304
	ds_read_b128 v[24:27], v0 offset:3328
	s_waitcnt lgkmcnt(2)
	v_mul_f64 v[30:31], v[12:13], v[18:19]
	v_add_f64 v[52:53], v[52:53], v[54:55]
	v_add_f64 v[28:29], v[40:41], v[42:43]
	v_fmac_f64_e32 v[30:31], v[14:15], v[16:17]
	s_load_dwordx2 s[0:1], s[0:1], 0x60
	v_add_f64 v[52:53], v[52:53], v[64:65]
	v_mul_f64 v[6:7], v[6:7], v[34:35]
	v_add_f64 v[72:73], v[28:29], v[30:31]
	ds_read_b128 v[28:31], v1 offset:4320
	ds_read_b128 v[40:43], v0 offset:3584
	v_add_f64 v[52:53], v[52:53], v[70:71]
	v_fma_f64 v[4:5], v[4:5], v[32:33], -v[6:7]
	v_mul_f64 v[6:7], v[38:39], v[10:11]
	v_add_f64 v[4:5], v[52:53], v[4:5]
	v_fma_f64 v[6:7], v[36:37], v[8:9], -v[6:7]
	ds_read_b128 v[44:47], v1 offset:4336
	ds_read_b128 v[48:51], v0 offset:3840
	v_add_f64 v[4:5], v[4:5], v[6:7]
	v_mul_f64 v[6:7], v[14:15], v[18:19]
	s_waitcnt lgkmcnt(0)
	v_mul_f64 v[74:75], v[20:21], v[26:27]
	v_fma_f64 v[6:7], v[12:13], v[16:17], -v[6:7]
	v_fmac_f64_e32 v[74:75], v[22:23], v[24:25]
	s_lshl_b64 s[0:1], s[0:1], 4
	v_add_f64 v[4:5], v[4:5], v[6:7]
	v_mul_f64 v[6:7], v[22:23], v[26:27]
	v_add_f64 v[72:73], v[72:73], v[74:75]
	v_mul_f64 v[74:75], v[28:29], v[42:43]
	s_add_u32 s2, s8, s0
	v_fma_f64 v[6:7], v[20:21], v[24:25], -v[6:7]
	v_fmac_f64_e32 v[74:75], v[30:31], v[40:41]
	s_addc_u32 s3, s9, s1
	s_mul_i32 s0, s6, s13
	s_mul_hi_u32 s1, s6, s12
	v_add_f64 v[4:5], v[4:5], v[6:7]
	v_mul_f64 v[6:7], v[30:31], v[42:43]
	v_add_f64 v[72:73], v[72:73], v[74:75]
	v_mul_f64 v[74:75], v[44:45], v[50:51]
	s_add_i32 s0, s1, s0
	s_mul_i32 s1, s7, s12
	v_fma_f64 v[6:7], v[28:29], v[40:41], -v[6:7]
	v_fmac_f64_e32 v[74:75], v[46:47], v[48:49]
	s_add_i32 s1, s0, s1
	s_mul_i32 s0, s6, s12
	v_add_f64 v[4:5], v[4:5], v[6:7]
	v_mul_f64 v[6:7], v[46:47], v[50:51]
	v_add_f64 v[72:73], v[72:73], v[74:75]
	s_lshl_b64 s[0:1], s[0:1], 4
	v_fma_f64 v[6:7], v[44:45], v[48:49], -v[6:7]
	s_add_u32 s0, s2, s0
	v_add_f64 v[4:5], v[4:5], v[6:7]
	v_mul_f64 v[6:7], s[20:21], v[72:73]
	v_mul_f64 v[8:9], s[22:23], v[72:73]
	s_addc_u32 s1, s3, s1
	v_fmac_f64_e32 v[6:7], s[22:23], v[4:5]
	v_fma_f64 v[4:5], s[20:21], v[4:5], -v[8:9]
	v_mad_u64_u32 v[8:9], s[2:3], s6, v2, 0
	v_mov_b32_e32 v10, v9
	v_mad_u64_u32 v[2:3], s[2:3], s7, v2, v[10:11]
	v_mov_b32_e32 v9, v2
	v_lshl_add_u64 v[2:3], v[8:9], 4, s[0:1]
	v_mov_b32_e32 v1, 0
	v_lshl_add_u64 v[0:1], v[2:3], 0, v[0:1]
	flat_store_dwordx4 v[0:1], v[4:7]
.LBB182_15:
	s_endpgm
	.section	.rodata,"a",@progbits
	.p2align	6, 0x0
	.amdhsa_kernel _ZL23rocblas_trmm_lTx_kernelILi16ELb0E19rocblas_complex_numIdEPKS1_KS3_KPS1_Ev13rocblas_fill_17rocblas_diagonal_iiT2_lPT3_llSB_llPT4_lli
		.amdhsa_group_segment_fixed_size 8192
		.amdhsa_private_segment_fixed_size 0
		.amdhsa_kernarg_size 108
		.amdhsa_user_sgpr_count 2
		.amdhsa_user_sgpr_dispatch_ptr 0
		.amdhsa_user_sgpr_queue_ptr 0
		.amdhsa_user_sgpr_kernarg_segment_ptr 1
		.amdhsa_user_sgpr_dispatch_id 0
		.amdhsa_user_sgpr_kernarg_preload_length 0
		.amdhsa_user_sgpr_kernarg_preload_offset 0
		.amdhsa_user_sgpr_private_segment_size 0
		.amdhsa_uses_dynamic_stack 0
		.amdhsa_enable_private_segment 0
		.amdhsa_system_sgpr_workgroup_id_x 1
		.amdhsa_system_sgpr_workgroup_id_y 0
		.amdhsa_system_sgpr_workgroup_id_z 1
		.amdhsa_system_sgpr_workgroup_info 0
		.amdhsa_system_vgpr_workitem_id 1
		.amdhsa_next_free_vgpr 76
		.amdhsa_next_free_sgpr 36
		.amdhsa_accum_offset 76
		.amdhsa_reserve_vcc 1
		.amdhsa_float_round_mode_32 0
		.amdhsa_float_round_mode_16_64 0
		.amdhsa_float_denorm_mode_32 3
		.amdhsa_float_denorm_mode_16_64 3
		.amdhsa_dx10_clamp 1
		.amdhsa_ieee_mode 1
		.amdhsa_fp16_overflow 0
		.amdhsa_tg_split 0
		.amdhsa_exception_fp_ieee_invalid_op 0
		.amdhsa_exception_fp_denorm_src 0
		.amdhsa_exception_fp_ieee_div_zero 0
		.amdhsa_exception_fp_ieee_overflow 0
		.amdhsa_exception_fp_ieee_underflow 0
		.amdhsa_exception_fp_ieee_inexact 0
		.amdhsa_exception_int_div_zero 0
	.end_amdhsa_kernel
	.section	.text._ZL23rocblas_trmm_lTx_kernelILi16ELb0E19rocblas_complex_numIdEPKS1_KS3_KPS1_Ev13rocblas_fill_17rocblas_diagonal_iiT2_lPT3_llSB_llPT4_lli,"axG",@progbits,_ZL23rocblas_trmm_lTx_kernelILi16ELb0E19rocblas_complex_numIdEPKS1_KS3_KPS1_Ev13rocblas_fill_17rocblas_diagonal_iiT2_lPT3_llSB_llPT4_lli,comdat
.Lfunc_end182:
	.size	_ZL23rocblas_trmm_lTx_kernelILi16ELb0E19rocblas_complex_numIdEPKS1_KS3_KPS1_Ev13rocblas_fill_17rocblas_diagonal_iiT2_lPT3_llSB_llPT4_lli, .Lfunc_end182-_ZL23rocblas_trmm_lTx_kernelILi16ELb0E19rocblas_complex_numIdEPKS1_KS3_KPS1_Ev13rocblas_fill_17rocblas_diagonal_iiT2_lPT3_llSB_llPT4_lli
                                        ; -- End function
	.set _ZL23rocblas_trmm_lTx_kernelILi16ELb0E19rocblas_complex_numIdEPKS1_KS3_KPS1_Ev13rocblas_fill_17rocblas_diagonal_iiT2_lPT3_llSB_llPT4_lli.num_vgpr, 76
	.set _ZL23rocblas_trmm_lTx_kernelILi16ELb0E19rocblas_complex_numIdEPKS1_KS3_KPS1_Ev13rocblas_fill_17rocblas_diagonal_iiT2_lPT3_llSB_llPT4_lli.num_agpr, 0
	.set _ZL23rocblas_trmm_lTx_kernelILi16ELb0E19rocblas_complex_numIdEPKS1_KS3_KPS1_Ev13rocblas_fill_17rocblas_diagonal_iiT2_lPT3_llSB_llPT4_lli.numbered_sgpr, 36
	.set _ZL23rocblas_trmm_lTx_kernelILi16ELb0E19rocblas_complex_numIdEPKS1_KS3_KPS1_Ev13rocblas_fill_17rocblas_diagonal_iiT2_lPT3_llSB_llPT4_lli.num_named_barrier, 0
	.set _ZL23rocblas_trmm_lTx_kernelILi16ELb0E19rocblas_complex_numIdEPKS1_KS3_KPS1_Ev13rocblas_fill_17rocblas_diagonal_iiT2_lPT3_llSB_llPT4_lli.private_seg_size, 0
	.set _ZL23rocblas_trmm_lTx_kernelILi16ELb0E19rocblas_complex_numIdEPKS1_KS3_KPS1_Ev13rocblas_fill_17rocblas_diagonal_iiT2_lPT3_llSB_llPT4_lli.uses_vcc, 1
	.set _ZL23rocblas_trmm_lTx_kernelILi16ELb0E19rocblas_complex_numIdEPKS1_KS3_KPS1_Ev13rocblas_fill_17rocblas_diagonal_iiT2_lPT3_llSB_llPT4_lli.uses_flat_scratch, 0
	.set _ZL23rocblas_trmm_lTx_kernelILi16ELb0E19rocblas_complex_numIdEPKS1_KS3_KPS1_Ev13rocblas_fill_17rocblas_diagonal_iiT2_lPT3_llSB_llPT4_lli.has_dyn_sized_stack, 0
	.set _ZL23rocblas_trmm_lTx_kernelILi16ELb0E19rocblas_complex_numIdEPKS1_KS3_KPS1_Ev13rocblas_fill_17rocblas_diagonal_iiT2_lPT3_llSB_llPT4_lli.has_recursion, 0
	.set _ZL23rocblas_trmm_lTx_kernelILi16ELb0E19rocblas_complex_numIdEPKS1_KS3_KPS1_Ev13rocblas_fill_17rocblas_diagonal_iiT2_lPT3_llSB_llPT4_lli.has_indirect_call, 0
	.section	.AMDGPU.csdata,"",@progbits
; Kernel info:
; codeLenInByte = 1848
; TotalNumSgprs: 42
; NumVgprs: 76
; NumAgprs: 0
; TotalNumVgprs: 76
; ScratchSize: 0
; MemoryBound: 0
; FloatMode: 240
; IeeeMode: 1
; LDSByteSize: 8192 bytes/workgroup (compile time only)
; SGPRBlocks: 5
; VGPRBlocks: 9
; NumSGPRsForWavesPerEU: 42
; NumVGPRsForWavesPerEU: 76
; AccumOffset: 76
; Occupancy: 6
; WaveLimiterHint : 1
; COMPUTE_PGM_RSRC2:SCRATCH_EN: 0
; COMPUTE_PGM_RSRC2:USER_SGPR: 2
; COMPUTE_PGM_RSRC2:TRAP_HANDLER: 0
; COMPUTE_PGM_RSRC2:TGID_X_EN: 1
; COMPUTE_PGM_RSRC2:TGID_Y_EN: 0
; COMPUTE_PGM_RSRC2:TGID_Z_EN: 1
; COMPUTE_PGM_RSRC2:TIDIG_COMP_CNT: 1
; COMPUTE_PGM_RSRC3_GFX90A:ACCUM_OFFSET: 18
; COMPUTE_PGM_RSRC3_GFX90A:TG_SPLIT: 0
	.section	.text._ZL23rocblas_trmm_lTx_kernelILi16ELb0E19rocblas_complex_numIdES1_KPKS1_KPS1_Ev13rocblas_fill_17rocblas_diagonal_iiT2_lPT3_llSB_llPT4_lli,"axG",@progbits,_ZL23rocblas_trmm_lTx_kernelILi16ELb0E19rocblas_complex_numIdES1_KPKS1_KPS1_Ev13rocblas_fill_17rocblas_diagonal_iiT2_lPT3_llSB_llPT4_lli,comdat
	.globl	_ZL23rocblas_trmm_lTx_kernelILi16ELb0E19rocblas_complex_numIdES1_KPKS1_KPS1_Ev13rocblas_fill_17rocblas_diagonal_iiT2_lPT3_llSB_llPT4_lli ; -- Begin function _ZL23rocblas_trmm_lTx_kernelILi16ELb0E19rocblas_complex_numIdES1_KPKS1_KPS1_Ev13rocblas_fill_17rocblas_diagonal_iiT2_lPT3_llSB_llPT4_lli
	.p2align	8
	.type	_ZL23rocblas_trmm_lTx_kernelILi16ELb0E19rocblas_complex_numIdES1_KPKS1_KPS1_Ev13rocblas_fill_17rocblas_diagonal_iiT2_lPT3_llSB_llPT4_lli,@function
_ZL23rocblas_trmm_lTx_kernelILi16ELb0E19rocblas_complex_numIdES1_KPKS1_KPS1_Ev13rocblas_fill_17rocblas_diagonal_iiT2_lPT3_llSB_llPT4_lli: ; @_ZL23rocblas_trmm_lTx_kernelILi16ELb0E19rocblas_complex_numIdES1_KPKS1_KPS1_Ev13rocblas_fill_17rocblas_diagonal_iiT2_lPT3_llSB_llPT4_lli
; %bb.0:
	s_load_dwordx4 s[20:23], s[0:1], 0x10
	s_waitcnt lgkmcnt(0)
	v_cmp_neq_f64_e64 s[4:5], s[20:21], 0
	v_cmp_neq_f64_e64 s[6:7], s[22:23], 0
	s_or_b64 s[4:5], s[4:5], s[6:7]
	s_andn2_b64 vcc, exec, s[4:5]
	s_cbranch_vccnz .LBB183_15
; %bb.1:
	s_load_dwordx4 s[24:27], s[0:1], 0x0
	s_load_dwordx16 s[4:19], s[0:1], 0x28
	s_mov_b32 s28, s3
	s_mov_b32 s29, 0
	s_lshl_b64 s[30:31], s[28:29], 3
	v_and_b32_e32 v4, 0x3ff, v0
	s_waitcnt lgkmcnt(0)
	s_add_u32 s4, s4, s30
	s_addc_u32 s5, s5, s31
	s_load_dwordx2 s[36:37], s[4:5], 0x0
	s_add_u32 s4, s10, s30
	s_addc_u32 s5, s11, s31
	s_load_dwordx2 s[34:35], s[4:5], 0x0
	;; [unrolled: 3-line block ×3, first 2 shown]
	v_bfe_u32 v2, v0, 10, 10
	s_mov_b32 s28, s29
	v_lshlrev_b32_e32 v3, 4, v2
	s_mov_b32 s30, s29
	s_mov_b32 s31, s29
	v_mov_b64_e32 v[6:7], s[28:29]
	v_cmp_gt_i32_e64 s[4:5], s26, v2
	v_cmp_gt_i32_e32 vcc, s26, v4
	v_add_lshl_u32 v5, v3, v4, 4
	v_mov_b64_e32 v[8:9], s[30:31]
	s_and_b64 s[16:17], s[4:5], vcc
	v_lshlrev_b32_e32 v0, 4, v4
	ds_write_b128 v5, v[6:9]
	ds_write_b128 v5, v[6:9] offset:4096
	s_waitcnt lgkmcnt(0)
	s_barrier
	s_and_saveexec_b64 s[4:5], s[16:17]
	s_cbranch_execz .LBB183_3
; %bb.2:
	v_mad_u64_u32 v[6:7], s[16:17], s6, v2, 0
	s_lshl_b64 s[8:9], s[8:9], 4
	v_mov_b32_e32 v8, v7
	s_add_u32 s8, s36, s8
	v_mad_u64_u32 v[8:9], s[6:7], s7, v2, v[8:9]
	s_addc_u32 s9, s37, s9
	v_mov_b32_e32 v7, v8
	v_lshl_add_u64 v[6:7], v[6:7], 4, s[8:9]
	v_mov_b32_e32 v1, 0
	v_lshl_add_u64 v[6:7], v[6:7], 0, v[0:1]
	flat_load_dwordx4 v[6:9], v[6:7]
	v_lshl_add_u32 v1, v4, 8, v3
	s_waitcnt vmcnt(0) lgkmcnt(0)
	ds_write2_b64 v1, v[6:7], v[8:9] offset1:1
.LBB183_3:
	s_or_b64 exec, exec, s[4:5]
	s_add_i32 s3, s27, -1
	s_ashr_i32 s4, s3, 31
	s_lshr_b32 s4, s4, 28
	s_add_i32 s3, s3, s4
	s_ashr_i32 s4, s3, 4
	s_and_b32 s3, s3, -16
	s_sub_i32 s3, s27, s3
	s_cmp_ge_i32 s2, s4
	s_cselect_b32 s3, s3, 16
	s_lshl_b32 s8, s2, 4
	v_cmp_gt_i32_e64 s[2:3], s3, v2
	s_ashr_i32 s9, s8, 31
	s_and_b64 s[2:3], vcc, s[2:3]
	s_and_saveexec_b64 s[4:5], s[2:3]
	s_cbranch_execz .LBB183_5
; %bb.4:
	s_lshl_b64 s[6:7], s[14:15], 4
	s_add_u32 s14, s34, s6
	s_addc_u32 s15, s35, s7
	s_mul_i32 s6, s12, s9
	s_mul_hi_u32 s7, s12, s8
	s_add_i32 s6, s7, s6
	s_mul_i32 s7, s13, s8
	s_add_i32 s7, s6, s7
	s_mul_i32 s6, s12, s8
	s_lshl_b64 s[6:7], s[6:7], 4
	s_add_u32 s6, s14, s6
	s_addc_u32 s7, s15, s7
	v_mad_u64_u32 v[6:7], s[14:15], s12, v2, 0
	v_mov_b32_e32 v8, v7
	v_mad_u64_u32 v[8:9], s[12:13], s13, v2, v[8:9]
	v_mov_b32_e32 v7, v8
	v_lshl_add_u64 v[6:7], v[6:7], 4, s[6:7]
	v_mov_b32_e32 v1, 0
	v_lshl_add_u64 v[6:7], v[6:7], 0, v[0:1]
	flat_load_dwordx4 v[6:9], v[6:7]
	v_add_u32_e32 v1, 0x1000, v5
	s_waitcnt vmcnt(0) lgkmcnt(0)
	ds_write2_b64 v1, v[6:7], v[8:9] offset1:1
.LBB183_5:
	s_or_b64 exec, exec, s[4:5]
	s_cmpk_eq_i32 s25, 0x84
	s_cselect_b64 s[4:5], -1, 0
	v_cmp_eq_u32_e32 vcc, v2, v4
	s_and_b64 s[6:7], vcc, s[4:5]
	s_and_saveexec_b64 s[4:5], s[6:7]
; %bb.6:
	v_mov_b32_e32 v6, 0
	v_mov_b32_e32 v7, 0x3ff00000
	;; [unrolled: 1-line block ×4, first 2 shown]
	ds_write_b128 v5, v[6:9]
; %bb.7:
	s_or_b64 exec, exec, s[4:5]
	s_cmpk_lg_i32 s24, 0x7a
	s_waitcnt lgkmcnt(0)
	s_barrier
	s_cbranch_scc0 .LBB183_9
; %bb.8:
	v_cmp_lt_u32_e32 vcc, v4, v2
	s_and_b64 s[4:5], vcc, exec
	s_cbranch_execz .LBB183_10
	s_branch .LBB183_11
.LBB183_9:
	s_mov_b64 s[4:5], 0
.LBB183_10:
	v_cmp_gt_u32_e32 vcc, v4, v2
	s_andn2_b64 s[4:5], s[4:5], exec
	s_and_b64 s[6:7], vcc, exec
	s_or_b64 s[4:5], s[4:5], s[6:7]
.LBB183_11:
	s_and_saveexec_b64 s[6:7], s[4:5]
; %bb.12:
	v_mov_b32_e32 v6, 0
	v_mov_b32_e32 v7, v6
	;; [unrolled: 1-line block ×4, first 2 shown]
	ds_write_b128 v5, v[6:9]
; %bb.13:
	s_or_b64 exec, exec, s[6:7]
	s_waitcnt lgkmcnt(0)
	s_barrier
	s_and_saveexec_b64 s[4:5], s[2:3]
	s_cbranch_execz .LBB183_15
; %bb.14:
	v_lshlrev_b32_e32 v1, 4, v3
	ds_read_b128 v[4:7], v0
	ds_read_b128 v[8:11], v1 offset:4096
	ds_read_b128 v[12:15], v1 offset:4112
	;; [unrolled: 1-line block ×5, first 2 shown]
	s_waitcnt lgkmcnt(4)
	v_mul_f64 v[28:29], v[8:9], v[6:7]
	v_fmac_f64_e32 v[28:29], v[10:11], v[4:5]
	v_add_f64 v[36:37], v[28:29], 0
	ds_read_b128 v[28:31], v0 offset:512
	ds_read_b128 v[32:35], v0 offset:768
	s_waitcnt lgkmcnt(2)
	v_mul_f64 v[38:39], v[12:13], v[26:27]
	v_fmac_f64_e32 v[38:39], v[14:15], v[24:25]
	v_add_f64 v[36:37], v[36:37], v[38:39]
	s_waitcnt lgkmcnt(1)
	v_mul_f64 v[38:39], v[16:17], v[30:31]
	v_fmac_f64_e32 v[38:39], v[18:19], v[28:29]
	v_add_f64 v[52:53], v[36:37], v[38:39]
	ds_read_b128 v[36:39], v1 offset:4160
	ds_read_b128 v[40:43], v0 offset:1024
	;; [unrolled: 1-line block ×4, first 2 shown]
	s_waitcnt lgkmcnt(4)
	v_mul_f64 v[54:55], v[20:21], v[34:35]
	v_fmac_f64_e32 v[54:55], v[22:23], v[32:33]
	v_add_f64 v[52:53], v[52:53], v[54:55]
	s_waitcnt lgkmcnt(2)
	v_mul_f64 v[54:55], v[36:37], v[42:43]
	v_fmac_f64_e32 v[54:55], v[38:39], v[40:41]
	v_add_f64 v[52:53], v[52:53], v[54:55]
	s_waitcnt lgkmcnt(0)
	v_mul_f64 v[54:55], v[44:45], v[50:51]
	v_fmac_f64_e32 v[54:55], v[46:47], v[48:49]
	v_mul_f64 v[6:7], v[10:11], v[6:7]
	v_add_f64 v[56:57], v[52:53], v[54:55]
	ds_read_b128 v[52:55], v1 offset:4192
	v_fma_f64 v[58:59], v[8:9], v[4:5], -v[6:7]
	ds_read_b128 v[4:7], v0 offset:1536
	v_mul_f64 v[8:9], v[14:15], v[26:27]
	v_fma_f64 v[60:61], v[12:13], v[24:25], -v[8:9]
	ds_read_b128 v[8:11], v1 offset:4208
	ds_read_b128 v[12:15], v0 offset:1792
	v_mul_f64 v[18:19], v[18:19], v[30:31]
	v_mul_f64 v[22:23], v[22:23], v[34:35]
	v_fma_f64 v[62:63], v[16:17], v[28:29], -v[18:19]
	ds_read_b128 v[16:19], v1 offset:4224
	v_fma_f64 v[66:67], v[20:21], v[32:33], -v[22:23]
	ds_read_b128 v[20:23], v0 offset:2048
	s_waitcnt lgkmcnt(4)
	v_mul_f64 v[24:25], v[52:53], v[6:7]
	v_fmac_f64_e32 v[24:25], v[54:55], v[4:5]
	s_waitcnt lgkmcnt(2)
	v_mul_f64 v[64:65], v[8:9], v[14:15]
	v_add_f64 v[56:57], v[56:57], v[24:25]
	v_fmac_f64_e32 v[64:65], v[10:11], v[12:13]
	s_waitcnt lgkmcnt(0)
	v_mul_f64 v[34:35], v[16:17], v[22:23]
	v_mul_f64 v[24:25], v[38:39], v[42:43]
	v_add_f64 v[32:33], v[56:57], v[64:65]
	v_fmac_f64_e32 v[34:35], v[18:19], v[20:21]
	v_fma_f64 v[68:69], v[36:37], v[40:41], -v[24:25]
	ds_read_b128 v[24:27], v1 offset:4240
	ds_read_b128 v[28:31], v0 offset:2304
	v_add_f64 v[40:41], v[32:33], v[34:35]
	v_mul_f64 v[32:33], v[46:47], v[50:51]
	v_fma_f64 v[56:57], v[44:45], v[48:49], -v[32:33]
	ds_read_b128 v[32:35], v0 offset:2560
	v_mul_f64 v[6:7], v[54:55], v[6:7]
	v_fma_f64 v[52:53], v[52:53], v[4:5], -v[6:7]
	ds_read_b128 v[4:7], v1 offset:4256
	ds_read_b128 v[36:39], v1 offset:4272
	s_waitcnt lgkmcnt(3)
	v_mul_f64 v[42:43], v[24:25], v[30:31]
	v_fmac_f64_e32 v[42:43], v[26:27], v[28:29]
	v_mul_f64 v[10:11], v[10:11], v[14:15]
	s_waitcnt lgkmcnt(1)
	v_mul_f64 v[14:15], v[4:5], v[34:35]
	v_fma_f64 v[54:55], v[8:9], v[12:13], -v[10:11]
	v_add_f64 v[12:13], v[40:41], v[42:43]
	v_fmac_f64_e32 v[14:15], v[6:7], v[32:33]
	v_add_f64 v[58:59], v[58:59], 0
	ds_read_b128 v[8:11], v0 offset:2816
	v_add_f64 v[40:41], v[12:13], v[14:15]
	v_mul_f64 v[12:13], v[18:19], v[22:23]
	v_add_f64 v[58:59], v[58:59], v[60:61]
	v_fma_f64 v[64:65], v[16:17], v[20:21], -v[12:13]
	ds_read_b128 v[12:15], v1 offset:4288
	ds_read_b128 v[16:19], v0 offset:3072
	v_add_f64 v[58:59], v[58:59], v[62:63]
	v_add_f64 v[58:59], v[58:59], v[66:67]
	;; [unrolled: 1-line block ×4, first 2 shown]
	s_waitcnt lgkmcnt(2)
	v_mul_f64 v[42:43], v[36:37], v[10:11]
	v_mul_f64 v[20:21], v[26:27], v[30:31]
	v_add_f64 v[52:53], v[56:57], v[52:53]
	v_fmac_f64_e32 v[42:43], v[38:39], v[8:9]
	v_fma_f64 v[70:71], v[24:25], v[28:29], -v[20:21]
	ds_read_b128 v[20:23], v1 offset:4304
	ds_read_b128 v[24:27], v0 offset:3328
	s_waitcnt lgkmcnt(2)
	v_mul_f64 v[30:31], v[12:13], v[18:19]
	v_add_f64 v[52:53], v[52:53], v[54:55]
	v_add_f64 v[28:29], v[40:41], v[42:43]
	v_fmac_f64_e32 v[30:31], v[14:15], v[16:17]
	s_load_dwordx2 s[0:1], s[0:1], 0x68
	v_add_f64 v[52:53], v[52:53], v[64:65]
	v_mul_f64 v[6:7], v[6:7], v[34:35]
	v_add_f64 v[72:73], v[28:29], v[30:31]
	ds_read_b128 v[28:31], v1 offset:4320
	ds_read_b128 v[40:43], v0 offset:3584
	v_add_f64 v[52:53], v[52:53], v[70:71]
	v_fma_f64 v[4:5], v[4:5], v[32:33], -v[6:7]
	v_mul_f64 v[6:7], v[38:39], v[10:11]
	v_add_f64 v[4:5], v[52:53], v[4:5]
	v_fma_f64 v[6:7], v[36:37], v[8:9], -v[6:7]
	ds_read_b128 v[44:47], v1 offset:4336
	ds_read_b128 v[48:51], v0 offset:3840
	v_add_f64 v[4:5], v[4:5], v[6:7]
	v_mul_f64 v[6:7], v[14:15], v[18:19]
	s_waitcnt lgkmcnt(0)
	v_mul_f64 v[74:75], v[20:21], v[26:27]
	v_fma_f64 v[6:7], v[12:13], v[16:17], -v[6:7]
	v_fmac_f64_e32 v[74:75], v[22:23], v[24:25]
	s_lshl_b64 s[0:1], s[0:1], 4
	v_add_f64 v[4:5], v[4:5], v[6:7]
	v_mul_f64 v[6:7], v[22:23], v[26:27]
	v_add_f64 v[72:73], v[72:73], v[74:75]
	v_mul_f64 v[74:75], v[28:29], v[42:43]
	s_add_u32 s2, s10, s0
	v_fma_f64 v[6:7], v[20:21], v[24:25], -v[6:7]
	v_fmac_f64_e32 v[74:75], v[30:31], v[40:41]
	s_addc_u32 s3, s11, s1
	s_mul_i32 s0, s18, s9
	s_mul_hi_u32 s1, s18, s8
	v_add_f64 v[4:5], v[4:5], v[6:7]
	v_mul_f64 v[6:7], v[30:31], v[42:43]
	v_add_f64 v[72:73], v[72:73], v[74:75]
	v_mul_f64 v[74:75], v[44:45], v[50:51]
	s_add_i32 s0, s1, s0
	s_mul_i32 s1, s19, s8
	v_fma_f64 v[6:7], v[28:29], v[40:41], -v[6:7]
	v_fmac_f64_e32 v[74:75], v[46:47], v[48:49]
	s_add_i32 s1, s0, s1
	s_mul_i32 s0, s18, s8
	v_add_f64 v[4:5], v[4:5], v[6:7]
	v_mul_f64 v[6:7], v[46:47], v[50:51]
	v_add_f64 v[72:73], v[72:73], v[74:75]
	s_lshl_b64 s[0:1], s[0:1], 4
	v_fma_f64 v[6:7], v[44:45], v[48:49], -v[6:7]
	s_add_u32 s0, s2, s0
	v_add_f64 v[4:5], v[4:5], v[6:7]
	v_mul_f64 v[6:7], s[20:21], v[72:73]
	v_mul_f64 v[8:9], s[22:23], v[72:73]
	s_addc_u32 s1, s3, s1
	v_fmac_f64_e32 v[6:7], s[22:23], v[4:5]
	v_fma_f64 v[4:5], s[20:21], v[4:5], -v[8:9]
	v_mad_u64_u32 v[8:9], s[2:3], s18, v2, 0
	v_mov_b32_e32 v10, v9
	v_mad_u64_u32 v[2:3], s[2:3], s19, v2, v[10:11]
	v_mov_b32_e32 v9, v2
	v_lshl_add_u64 v[2:3], v[8:9], 4, s[0:1]
	v_mov_b32_e32 v1, 0
	v_lshl_add_u64 v[0:1], v[2:3], 0, v[0:1]
	flat_store_dwordx4 v[0:1], v[4:7]
.LBB183_15:
	s_endpgm
	.section	.rodata,"a",@progbits
	.p2align	6, 0x0
	.amdhsa_kernel _ZL23rocblas_trmm_lTx_kernelILi16ELb0E19rocblas_complex_numIdES1_KPKS1_KPS1_Ev13rocblas_fill_17rocblas_diagonal_iiT2_lPT3_llSB_llPT4_lli
		.amdhsa_group_segment_fixed_size 8192
		.amdhsa_private_segment_fixed_size 0
		.amdhsa_kernarg_size 116
		.amdhsa_user_sgpr_count 2
		.amdhsa_user_sgpr_dispatch_ptr 0
		.amdhsa_user_sgpr_queue_ptr 0
		.amdhsa_user_sgpr_kernarg_segment_ptr 1
		.amdhsa_user_sgpr_dispatch_id 0
		.amdhsa_user_sgpr_kernarg_preload_length 0
		.amdhsa_user_sgpr_kernarg_preload_offset 0
		.amdhsa_user_sgpr_private_segment_size 0
		.amdhsa_uses_dynamic_stack 0
		.amdhsa_enable_private_segment 0
		.amdhsa_system_sgpr_workgroup_id_x 1
		.amdhsa_system_sgpr_workgroup_id_y 0
		.amdhsa_system_sgpr_workgroup_id_z 1
		.amdhsa_system_sgpr_workgroup_info 0
		.amdhsa_system_vgpr_workitem_id 1
		.amdhsa_next_free_vgpr 76
		.amdhsa_next_free_sgpr 38
		.amdhsa_accum_offset 76
		.amdhsa_reserve_vcc 1
		.amdhsa_float_round_mode_32 0
		.amdhsa_float_round_mode_16_64 0
		.amdhsa_float_denorm_mode_32 3
		.amdhsa_float_denorm_mode_16_64 3
		.amdhsa_dx10_clamp 1
		.amdhsa_ieee_mode 1
		.amdhsa_fp16_overflow 0
		.amdhsa_tg_split 0
		.amdhsa_exception_fp_ieee_invalid_op 0
		.amdhsa_exception_fp_denorm_src 0
		.amdhsa_exception_fp_ieee_div_zero 0
		.amdhsa_exception_fp_ieee_overflow 0
		.amdhsa_exception_fp_ieee_underflow 0
		.amdhsa_exception_fp_ieee_inexact 0
		.amdhsa_exception_int_div_zero 0
	.end_amdhsa_kernel
	.section	.text._ZL23rocblas_trmm_lTx_kernelILi16ELb0E19rocblas_complex_numIdES1_KPKS1_KPS1_Ev13rocblas_fill_17rocblas_diagonal_iiT2_lPT3_llSB_llPT4_lli,"axG",@progbits,_ZL23rocblas_trmm_lTx_kernelILi16ELb0E19rocblas_complex_numIdES1_KPKS1_KPS1_Ev13rocblas_fill_17rocblas_diagonal_iiT2_lPT3_llSB_llPT4_lli,comdat
.Lfunc_end183:
	.size	_ZL23rocblas_trmm_lTx_kernelILi16ELb0E19rocblas_complex_numIdES1_KPKS1_KPS1_Ev13rocblas_fill_17rocblas_diagonal_iiT2_lPT3_llSB_llPT4_lli, .Lfunc_end183-_ZL23rocblas_trmm_lTx_kernelILi16ELb0E19rocblas_complex_numIdES1_KPKS1_KPS1_Ev13rocblas_fill_17rocblas_diagonal_iiT2_lPT3_llSB_llPT4_lli
                                        ; -- End function
	.set _ZL23rocblas_trmm_lTx_kernelILi16ELb0E19rocblas_complex_numIdES1_KPKS1_KPS1_Ev13rocblas_fill_17rocblas_diagonal_iiT2_lPT3_llSB_llPT4_lli.num_vgpr, 76
	.set _ZL23rocblas_trmm_lTx_kernelILi16ELb0E19rocblas_complex_numIdES1_KPKS1_KPS1_Ev13rocblas_fill_17rocblas_diagonal_iiT2_lPT3_llSB_llPT4_lli.num_agpr, 0
	.set _ZL23rocblas_trmm_lTx_kernelILi16ELb0E19rocblas_complex_numIdES1_KPKS1_KPS1_Ev13rocblas_fill_17rocblas_diagonal_iiT2_lPT3_llSB_llPT4_lli.numbered_sgpr, 38
	.set _ZL23rocblas_trmm_lTx_kernelILi16ELb0E19rocblas_complex_numIdES1_KPKS1_KPS1_Ev13rocblas_fill_17rocblas_diagonal_iiT2_lPT3_llSB_llPT4_lli.num_named_barrier, 0
	.set _ZL23rocblas_trmm_lTx_kernelILi16ELb0E19rocblas_complex_numIdES1_KPKS1_KPS1_Ev13rocblas_fill_17rocblas_diagonal_iiT2_lPT3_llSB_llPT4_lli.private_seg_size, 0
	.set _ZL23rocblas_trmm_lTx_kernelILi16ELb0E19rocblas_complex_numIdES1_KPKS1_KPS1_Ev13rocblas_fill_17rocblas_diagonal_iiT2_lPT3_llSB_llPT4_lli.uses_vcc, 1
	.set _ZL23rocblas_trmm_lTx_kernelILi16ELb0E19rocblas_complex_numIdES1_KPKS1_KPS1_Ev13rocblas_fill_17rocblas_diagonal_iiT2_lPT3_llSB_llPT4_lli.uses_flat_scratch, 0
	.set _ZL23rocblas_trmm_lTx_kernelILi16ELb0E19rocblas_complex_numIdES1_KPKS1_KPS1_Ev13rocblas_fill_17rocblas_diagonal_iiT2_lPT3_llSB_llPT4_lli.has_dyn_sized_stack, 0
	.set _ZL23rocblas_trmm_lTx_kernelILi16ELb0E19rocblas_complex_numIdES1_KPKS1_KPS1_Ev13rocblas_fill_17rocblas_diagonal_iiT2_lPT3_llSB_llPT4_lli.has_recursion, 0
	.set _ZL23rocblas_trmm_lTx_kernelILi16ELb0E19rocblas_complex_numIdES1_KPKS1_KPS1_Ev13rocblas_fill_17rocblas_diagonal_iiT2_lPT3_llSB_llPT4_lli.has_indirect_call, 0
	.section	.AMDGPU.csdata,"",@progbits
; Kernel info:
; codeLenInByte = 1808
; TotalNumSgprs: 44
; NumVgprs: 76
; NumAgprs: 0
; TotalNumVgprs: 76
; ScratchSize: 0
; MemoryBound: 0
; FloatMode: 240
; IeeeMode: 1
; LDSByteSize: 8192 bytes/workgroup (compile time only)
; SGPRBlocks: 5
; VGPRBlocks: 9
; NumSGPRsForWavesPerEU: 44
; NumVGPRsForWavesPerEU: 76
; AccumOffset: 76
; Occupancy: 6
; WaveLimiterHint : 1
; COMPUTE_PGM_RSRC2:SCRATCH_EN: 0
; COMPUTE_PGM_RSRC2:USER_SGPR: 2
; COMPUTE_PGM_RSRC2:TRAP_HANDLER: 0
; COMPUTE_PGM_RSRC2:TGID_X_EN: 1
; COMPUTE_PGM_RSRC2:TGID_Y_EN: 0
; COMPUTE_PGM_RSRC2:TGID_Z_EN: 1
; COMPUTE_PGM_RSRC2:TIDIG_COMP_CNT: 1
; COMPUTE_PGM_RSRC3_GFX90A:ACCUM_OFFSET: 18
; COMPUTE_PGM_RSRC3_GFX90A:TG_SPLIT: 0
	.section	.text._ZL23rocblas_trmm_lTx_kernelILi16ELb1E19rocblas_complex_numIdEPKS1_KS3_KPS1_Ev13rocblas_fill_17rocblas_diagonal_iiT2_lPT3_llSB_llPT4_lli,"axG",@progbits,_ZL23rocblas_trmm_lTx_kernelILi16ELb1E19rocblas_complex_numIdEPKS1_KS3_KPS1_Ev13rocblas_fill_17rocblas_diagonal_iiT2_lPT3_llSB_llPT4_lli,comdat
	.globl	_ZL23rocblas_trmm_lTx_kernelILi16ELb1E19rocblas_complex_numIdEPKS1_KS3_KPS1_Ev13rocblas_fill_17rocblas_diagonal_iiT2_lPT3_llSB_llPT4_lli ; -- Begin function _ZL23rocblas_trmm_lTx_kernelILi16ELb1E19rocblas_complex_numIdEPKS1_KS3_KPS1_Ev13rocblas_fill_17rocblas_diagonal_iiT2_lPT3_llSB_llPT4_lli
	.p2align	8
	.type	_ZL23rocblas_trmm_lTx_kernelILi16ELb1E19rocblas_complex_numIdEPKS1_KS3_KPS1_Ev13rocblas_fill_17rocblas_diagonal_iiT2_lPT3_llSB_llPT4_lli,@function
_ZL23rocblas_trmm_lTx_kernelILi16ELb1E19rocblas_complex_numIdEPKS1_KS3_KPS1_Ev13rocblas_fill_17rocblas_diagonal_iiT2_lPT3_llSB_llPT4_lli: ; @_ZL23rocblas_trmm_lTx_kernelILi16ELb1E19rocblas_complex_numIdEPKS1_KS3_KPS1_Ev13rocblas_fill_17rocblas_diagonal_iiT2_lPT3_llSB_llPT4_lli
; %bb.0:
	s_load_dwordx16 s[4:19], s[0:1], 0x10
	s_mov_b32 s28, s3
	s_waitcnt lgkmcnt(0)
	s_mul_i32 s3, s7, s3
	s_mul_hi_u32 s7, s6, s28
	s_add_i32 s7, s7, s3
	s_mul_i32 s6, s6, s28
	s_lshl_b64 s[6:7], s[6:7], 4
	s_add_u32 s4, s4, s6
	s_addc_u32 s5, s5, s7
	s_load_dwordx4 s[20:23], s[4:5], 0x0
	s_waitcnt lgkmcnt(0)
	v_cmp_neq_f64_e64 s[4:5], s[20:21], 0
	v_cmp_neq_f64_e64 s[6:7], s[22:23], 0
	s_or_b64 s[4:5], s[4:5], s[6:7]
	s_andn2_b64 vcc, exec, s[4:5]
	s_cbranch_vccnz .LBB184_15
; %bb.1:
	s_mov_b32 s29, 0
	s_load_dwordx4 s[24:27], s[0:1], 0x0
	s_load_dwordx4 s[4:7], s[0:1], 0x50
	s_lshl_b64 s[30:31], s[28:29], 3
	s_add_u32 s8, s8, s30
	s_addc_u32 s9, s9, s31
	s_load_dwordx2 s[34:35], s[8:9], 0x0
	s_add_u32 s8, s14, s30
	s_addc_u32 s9, s15, s31
	s_waitcnt lgkmcnt(0)
	s_add_u32 s4, s4, s30
	s_addc_u32 s5, s5, s31
	s_load_dwordx2 s[14:15], s[8:9], 0x0
	v_and_b32_e32 v5, 0x3ff, v0
	s_load_dwordx2 s[8:9], s[4:5], 0x0
	v_bfe_u32 v2, v0, 10, 10
	s_mov_b32 s28, s29
	v_lshlrev_b32_e32 v3, 4, v2
	s_mov_b32 s30, s29
	s_mov_b32 s31, s29
	v_mov_b64_e32 v[6:7], s[28:29]
	v_cmp_gt_i32_e64 s[4:5], s26, v2
	v_cmp_gt_i32_e32 vcc, s26, v5
	v_add_lshl_u32 v4, v3, v5, 4
	v_mov_b64_e32 v[8:9], s[30:31]
	s_and_b64 s[28:29], s[4:5], vcc
	v_lshlrev_b32_e32 v0, 4, v5
	ds_write_b128 v4, v[6:9]
	ds_write_b128 v4, v[6:9] offset:4096
	s_waitcnt lgkmcnt(0)
	s_barrier
	s_and_saveexec_b64 s[4:5], s[28:29]
	s_cbranch_execz .LBB184_3
; %bb.2:
	v_mad_u64_u32 v[6:7], s[28:29], s10, v2, 0
	s_lshl_b64 s[12:13], s[12:13], 4
	v_mov_b32_e32 v8, v7
	s_add_u32 s12, s34, s12
	v_mad_u64_u32 v[8:9], s[10:11], s11, v2, v[8:9]
	s_addc_u32 s13, s35, s13
	v_mov_b32_e32 v7, v8
	v_lshl_add_u64 v[6:7], v[6:7], 4, s[12:13]
	v_mov_b32_e32 v1, 0
	v_lshl_add_u64 v[6:7], v[6:7], 0, v[0:1]
	flat_load_dwordx4 v[6:9], v[6:7]
	v_lshl_add_u32 v1, v5, 8, v3
	s_waitcnt vmcnt(0) lgkmcnt(0)
	v_xor_b32_e32 v9, 0x80000000, v9
	ds_write_b128 v1, v[6:9]
.LBB184_3:
	s_or_b64 exec, exec, s[4:5]
	s_add_i32 s3, s27, -1
	s_ashr_i32 s4, s3, 31
	s_lshr_b32 s4, s4, 28
	s_add_i32 s3, s3, s4
	s_ashr_i32 s4, s3, 4
	s_and_b32 s3, s3, -16
	s_sub_i32 s3, s27, s3
	s_cmp_ge_i32 s2, s4
	s_cselect_b32 s3, s3, 16
	s_lshl_b32 s12, s2, 4
	v_cmp_gt_i32_e64 s[2:3], s3, v2
	s_ashr_i32 s13, s12, 31
	s_and_b64 s[2:3], vcc, s[2:3]
	s_and_saveexec_b64 s[4:5], s[2:3]
	s_cbranch_execz .LBB184_5
; %bb.4:
	s_lshl_b64 s[10:11], s[18:19], 4
	s_add_u32 s14, s14, s10
	s_addc_u32 s15, s15, s11
	s_mul_i32 s10, s16, s13
	s_mul_hi_u32 s11, s16, s12
	s_add_i32 s10, s11, s10
	s_mul_i32 s11, s17, s12
	s_add_i32 s11, s10, s11
	s_mul_i32 s10, s16, s12
	s_lshl_b64 s[10:11], s[10:11], 4
	s_add_u32 s10, s14, s10
	s_addc_u32 s11, s15, s11
	v_mad_u64_u32 v[6:7], s[14:15], s16, v2, 0
	v_mov_b32_e32 v8, v7
	v_mad_u64_u32 v[8:9], s[14:15], s17, v2, v[8:9]
	v_mov_b32_e32 v7, v8
	v_lshl_add_u64 v[6:7], v[6:7], 4, s[10:11]
	v_mov_b32_e32 v1, 0
	v_lshl_add_u64 v[6:7], v[6:7], 0, v[0:1]
	flat_load_dwordx4 v[6:9], v[6:7]
	v_add_u32_e32 v1, 0x1000, v4
	s_waitcnt vmcnt(0) lgkmcnt(0)
	ds_write2_b64 v1, v[6:7], v[8:9] offset1:1
.LBB184_5:
	s_or_b64 exec, exec, s[4:5]
	s_cmpk_eq_i32 s25, 0x84
	s_cselect_b64 s[4:5], -1, 0
	v_cmp_eq_u32_e32 vcc, v2, v5
	s_and_b64 s[10:11], vcc, s[4:5]
	s_and_saveexec_b64 s[4:5], s[10:11]
; %bb.6:
	v_mov_b32_e32 v6, 0
	v_mov_b32_e32 v7, 0x3ff00000
	;; [unrolled: 1-line block ×4, first 2 shown]
	ds_write_b128 v4, v[6:9]
; %bb.7:
	s_or_b64 exec, exec, s[4:5]
	s_cmpk_lg_i32 s24, 0x7a
	s_waitcnt lgkmcnt(0)
	s_barrier
	s_cbranch_scc0 .LBB184_9
; %bb.8:
	v_cmp_lt_u32_e32 vcc, v5, v2
	s_and_b64 s[4:5], vcc, exec
	s_cbranch_execz .LBB184_10
	s_branch .LBB184_11
.LBB184_9:
	s_mov_b64 s[4:5], 0
.LBB184_10:
	v_cmp_gt_u32_e32 vcc, v5, v2
	s_andn2_b64 s[4:5], s[4:5], exec
	s_and_b64 s[10:11], vcc, exec
	s_or_b64 s[4:5], s[4:5], s[10:11]
.LBB184_11:
	s_and_saveexec_b64 s[10:11], s[4:5]
; %bb.12:
	v_mov_b32_e32 v6, 0
	v_mov_b32_e32 v7, v6
	;; [unrolled: 1-line block ×4, first 2 shown]
	ds_write_b128 v4, v[6:9]
; %bb.13:
	s_or_b64 exec, exec, s[10:11]
	s_waitcnt lgkmcnt(0)
	s_barrier
	s_and_saveexec_b64 s[4:5], s[2:3]
	s_cbranch_execz .LBB184_15
; %bb.14:
	v_lshlrev_b32_e32 v1, 4, v3
	ds_read_b128 v[4:7], v0
	ds_read_b128 v[8:11], v1 offset:4096
	ds_read_b128 v[12:15], v1 offset:4112
	;; [unrolled: 1-line block ×5, first 2 shown]
	s_waitcnt lgkmcnt(4)
	v_mul_f64 v[28:29], v[8:9], v[6:7]
	v_fmac_f64_e32 v[28:29], v[10:11], v[4:5]
	v_add_f64 v[36:37], v[28:29], 0
	ds_read_b128 v[28:31], v0 offset:512
	ds_read_b128 v[32:35], v0 offset:768
	s_waitcnt lgkmcnt(2)
	v_mul_f64 v[38:39], v[12:13], v[26:27]
	v_fmac_f64_e32 v[38:39], v[14:15], v[24:25]
	v_add_f64 v[36:37], v[36:37], v[38:39]
	s_waitcnt lgkmcnt(1)
	v_mul_f64 v[38:39], v[16:17], v[30:31]
	v_fmac_f64_e32 v[38:39], v[18:19], v[28:29]
	v_add_f64 v[52:53], v[36:37], v[38:39]
	ds_read_b128 v[36:39], v1 offset:4160
	ds_read_b128 v[40:43], v0 offset:1024
	;; [unrolled: 1-line block ×4, first 2 shown]
	s_waitcnt lgkmcnt(4)
	v_mul_f64 v[54:55], v[20:21], v[34:35]
	v_fmac_f64_e32 v[54:55], v[22:23], v[32:33]
	v_add_f64 v[52:53], v[52:53], v[54:55]
	s_waitcnt lgkmcnt(2)
	v_mul_f64 v[54:55], v[36:37], v[42:43]
	v_fmac_f64_e32 v[54:55], v[38:39], v[40:41]
	v_add_f64 v[52:53], v[52:53], v[54:55]
	s_waitcnt lgkmcnt(0)
	v_mul_f64 v[54:55], v[44:45], v[50:51]
	v_fmac_f64_e32 v[54:55], v[46:47], v[48:49]
	v_mul_f64 v[6:7], v[10:11], v[6:7]
	v_add_f64 v[56:57], v[52:53], v[54:55]
	ds_read_b128 v[52:55], v1 offset:4192
	v_fma_f64 v[58:59], v[8:9], v[4:5], -v[6:7]
	ds_read_b128 v[4:7], v0 offset:1536
	v_mul_f64 v[8:9], v[14:15], v[26:27]
	v_fma_f64 v[60:61], v[12:13], v[24:25], -v[8:9]
	ds_read_b128 v[8:11], v1 offset:4208
	ds_read_b128 v[12:15], v0 offset:1792
	v_mul_f64 v[18:19], v[18:19], v[30:31]
	v_mul_f64 v[22:23], v[22:23], v[34:35]
	v_fma_f64 v[62:63], v[16:17], v[28:29], -v[18:19]
	ds_read_b128 v[16:19], v1 offset:4224
	v_fma_f64 v[66:67], v[20:21], v[32:33], -v[22:23]
	ds_read_b128 v[20:23], v0 offset:2048
	s_waitcnt lgkmcnt(4)
	v_mul_f64 v[24:25], v[52:53], v[6:7]
	v_fmac_f64_e32 v[24:25], v[54:55], v[4:5]
	s_waitcnt lgkmcnt(2)
	v_mul_f64 v[64:65], v[8:9], v[14:15]
	v_add_f64 v[56:57], v[56:57], v[24:25]
	v_fmac_f64_e32 v[64:65], v[10:11], v[12:13]
	s_waitcnt lgkmcnt(0)
	v_mul_f64 v[34:35], v[16:17], v[22:23]
	v_mul_f64 v[24:25], v[38:39], v[42:43]
	v_add_f64 v[32:33], v[56:57], v[64:65]
	v_fmac_f64_e32 v[34:35], v[18:19], v[20:21]
	v_fma_f64 v[68:69], v[36:37], v[40:41], -v[24:25]
	ds_read_b128 v[24:27], v1 offset:4240
	ds_read_b128 v[28:31], v0 offset:2304
	v_add_f64 v[40:41], v[32:33], v[34:35]
	v_mul_f64 v[32:33], v[46:47], v[50:51]
	v_fma_f64 v[56:57], v[44:45], v[48:49], -v[32:33]
	ds_read_b128 v[32:35], v0 offset:2560
	v_mul_f64 v[6:7], v[54:55], v[6:7]
	v_fma_f64 v[52:53], v[52:53], v[4:5], -v[6:7]
	ds_read_b128 v[4:7], v1 offset:4256
	ds_read_b128 v[36:39], v1 offset:4272
	s_waitcnt lgkmcnt(3)
	v_mul_f64 v[42:43], v[24:25], v[30:31]
	v_fmac_f64_e32 v[42:43], v[26:27], v[28:29]
	v_mul_f64 v[10:11], v[10:11], v[14:15]
	s_waitcnt lgkmcnt(1)
	v_mul_f64 v[14:15], v[4:5], v[34:35]
	v_fma_f64 v[54:55], v[8:9], v[12:13], -v[10:11]
	v_add_f64 v[12:13], v[40:41], v[42:43]
	v_fmac_f64_e32 v[14:15], v[6:7], v[32:33]
	v_add_f64 v[58:59], v[58:59], 0
	ds_read_b128 v[8:11], v0 offset:2816
	v_add_f64 v[40:41], v[12:13], v[14:15]
	v_mul_f64 v[12:13], v[18:19], v[22:23]
	v_add_f64 v[58:59], v[58:59], v[60:61]
	v_fma_f64 v[64:65], v[16:17], v[20:21], -v[12:13]
	ds_read_b128 v[12:15], v1 offset:4288
	ds_read_b128 v[16:19], v0 offset:3072
	v_add_f64 v[58:59], v[58:59], v[62:63]
	v_add_f64 v[58:59], v[58:59], v[66:67]
	;; [unrolled: 1-line block ×4, first 2 shown]
	s_waitcnt lgkmcnt(2)
	v_mul_f64 v[42:43], v[36:37], v[10:11]
	v_mul_f64 v[20:21], v[26:27], v[30:31]
	v_add_f64 v[52:53], v[56:57], v[52:53]
	v_fmac_f64_e32 v[42:43], v[38:39], v[8:9]
	v_fma_f64 v[70:71], v[24:25], v[28:29], -v[20:21]
	ds_read_b128 v[20:23], v1 offset:4304
	ds_read_b128 v[24:27], v0 offset:3328
	s_waitcnt lgkmcnt(2)
	v_mul_f64 v[30:31], v[12:13], v[18:19]
	v_add_f64 v[52:53], v[52:53], v[54:55]
	v_add_f64 v[28:29], v[40:41], v[42:43]
	v_fmac_f64_e32 v[30:31], v[14:15], v[16:17]
	s_load_dwordx2 s[0:1], s[0:1], 0x60
	v_add_f64 v[52:53], v[52:53], v[64:65]
	v_mul_f64 v[6:7], v[6:7], v[34:35]
	v_add_f64 v[72:73], v[28:29], v[30:31]
	ds_read_b128 v[28:31], v1 offset:4320
	ds_read_b128 v[40:43], v0 offset:3584
	v_add_f64 v[52:53], v[52:53], v[70:71]
	v_fma_f64 v[4:5], v[4:5], v[32:33], -v[6:7]
	v_mul_f64 v[6:7], v[38:39], v[10:11]
	v_add_f64 v[4:5], v[52:53], v[4:5]
	v_fma_f64 v[6:7], v[36:37], v[8:9], -v[6:7]
	ds_read_b128 v[44:47], v1 offset:4336
	ds_read_b128 v[48:51], v0 offset:3840
	v_add_f64 v[4:5], v[4:5], v[6:7]
	v_mul_f64 v[6:7], v[14:15], v[18:19]
	s_waitcnt lgkmcnt(0)
	v_mul_f64 v[74:75], v[20:21], v[26:27]
	v_fma_f64 v[6:7], v[12:13], v[16:17], -v[6:7]
	v_fmac_f64_e32 v[74:75], v[22:23], v[24:25]
	s_lshl_b64 s[0:1], s[0:1], 4
	v_add_f64 v[4:5], v[4:5], v[6:7]
	v_mul_f64 v[6:7], v[22:23], v[26:27]
	v_add_f64 v[72:73], v[72:73], v[74:75]
	v_mul_f64 v[74:75], v[28:29], v[42:43]
	s_add_u32 s2, s8, s0
	v_fma_f64 v[6:7], v[20:21], v[24:25], -v[6:7]
	v_fmac_f64_e32 v[74:75], v[30:31], v[40:41]
	s_addc_u32 s3, s9, s1
	s_mul_i32 s0, s6, s13
	s_mul_hi_u32 s1, s6, s12
	v_add_f64 v[4:5], v[4:5], v[6:7]
	v_mul_f64 v[6:7], v[30:31], v[42:43]
	v_add_f64 v[72:73], v[72:73], v[74:75]
	v_mul_f64 v[74:75], v[44:45], v[50:51]
	s_add_i32 s0, s1, s0
	s_mul_i32 s1, s7, s12
	v_fma_f64 v[6:7], v[28:29], v[40:41], -v[6:7]
	v_fmac_f64_e32 v[74:75], v[46:47], v[48:49]
	s_add_i32 s1, s0, s1
	s_mul_i32 s0, s6, s12
	v_add_f64 v[4:5], v[4:5], v[6:7]
	v_mul_f64 v[6:7], v[46:47], v[50:51]
	v_add_f64 v[72:73], v[72:73], v[74:75]
	s_lshl_b64 s[0:1], s[0:1], 4
	v_fma_f64 v[6:7], v[44:45], v[48:49], -v[6:7]
	s_add_u32 s0, s2, s0
	v_add_f64 v[4:5], v[4:5], v[6:7]
	v_mul_f64 v[6:7], s[20:21], v[72:73]
	v_mul_f64 v[8:9], s[22:23], v[72:73]
	s_addc_u32 s1, s3, s1
	v_fmac_f64_e32 v[6:7], s[22:23], v[4:5]
	v_fma_f64 v[4:5], s[20:21], v[4:5], -v[8:9]
	v_mad_u64_u32 v[8:9], s[2:3], s6, v2, 0
	v_mov_b32_e32 v10, v9
	v_mad_u64_u32 v[2:3], s[2:3], s7, v2, v[10:11]
	v_mov_b32_e32 v9, v2
	v_lshl_add_u64 v[2:3], v[8:9], 4, s[0:1]
	v_mov_b32_e32 v1, 0
	v_lshl_add_u64 v[0:1], v[2:3], 0, v[0:1]
	flat_store_dwordx4 v[0:1], v[4:7]
.LBB184_15:
	s_endpgm
	.section	.rodata,"a",@progbits
	.p2align	6, 0x0
	.amdhsa_kernel _ZL23rocblas_trmm_lTx_kernelILi16ELb1E19rocblas_complex_numIdEPKS1_KS3_KPS1_Ev13rocblas_fill_17rocblas_diagonal_iiT2_lPT3_llSB_llPT4_lli
		.amdhsa_group_segment_fixed_size 8192
		.amdhsa_private_segment_fixed_size 0
		.amdhsa_kernarg_size 108
		.amdhsa_user_sgpr_count 2
		.amdhsa_user_sgpr_dispatch_ptr 0
		.amdhsa_user_sgpr_queue_ptr 0
		.amdhsa_user_sgpr_kernarg_segment_ptr 1
		.amdhsa_user_sgpr_dispatch_id 0
		.amdhsa_user_sgpr_kernarg_preload_length 0
		.amdhsa_user_sgpr_kernarg_preload_offset 0
		.amdhsa_user_sgpr_private_segment_size 0
		.amdhsa_uses_dynamic_stack 0
		.amdhsa_enable_private_segment 0
		.amdhsa_system_sgpr_workgroup_id_x 1
		.amdhsa_system_sgpr_workgroup_id_y 0
		.amdhsa_system_sgpr_workgroup_id_z 1
		.amdhsa_system_sgpr_workgroup_info 0
		.amdhsa_system_vgpr_workitem_id 1
		.amdhsa_next_free_vgpr 76
		.amdhsa_next_free_sgpr 36
		.amdhsa_accum_offset 76
		.amdhsa_reserve_vcc 1
		.amdhsa_float_round_mode_32 0
		.amdhsa_float_round_mode_16_64 0
		.amdhsa_float_denorm_mode_32 3
		.amdhsa_float_denorm_mode_16_64 3
		.amdhsa_dx10_clamp 1
		.amdhsa_ieee_mode 1
		.amdhsa_fp16_overflow 0
		.amdhsa_tg_split 0
		.amdhsa_exception_fp_ieee_invalid_op 0
		.amdhsa_exception_fp_denorm_src 0
		.amdhsa_exception_fp_ieee_div_zero 0
		.amdhsa_exception_fp_ieee_overflow 0
		.amdhsa_exception_fp_ieee_underflow 0
		.amdhsa_exception_fp_ieee_inexact 0
		.amdhsa_exception_int_div_zero 0
	.end_amdhsa_kernel
	.section	.text._ZL23rocblas_trmm_lTx_kernelILi16ELb1E19rocblas_complex_numIdEPKS1_KS3_KPS1_Ev13rocblas_fill_17rocblas_diagonal_iiT2_lPT3_llSB_llPT4_lli,"axG",@progbits,_ZL23rocblas_trmm_lTx_kernelILi16ELb1E19rocblas_complex_numIdEPKS1_KS3_KPS1_Ev13rocblas_fill_17rocblas_diagonal_iiT2_lPT3_llSB_llPT4_lli,comdat
.Lfunc_end184:
	.size	_ZL23rocblas_trmm_lTx_kernelILi16ELb1E19rocblas_complex_numIdEPKS1_KS3_KPS1_Ev13rocblas_fill_17rocblas_diagonal_iiT2_lPT3_llSB_llPT4_lli, .Lfunc_end184-_ZL23rocblas_trmm_lTx_kernelILi16ELb1E19rocblas_complex_numIdEPKS1_KS3_KPS1_Ev13rocblas_fill_17rocblas_diagonal_iiT2_lPT3_llSB_llPT4_lli
                                        ; -- End function
	.set _ZL23rocblas_trmm_lTx_kernelILi16ELb1E19rocblas_complex_numIdEPKS1_KS3_KPS1_Ev13rocblas_fill_17rocblas_diagonal_iiT2_lPT3_llSB_llPT4_lli.num_vgpr, 76
	.set _ZL23rocblas_trmm_lTx_kernelILi16ELb1E19rocblas_complex_numIdEPKS1_KS3_KPS1_Ev13rocblas_fill_17rocblas_diagonal_iiT2_lPT3_llSB_llPT4_lli.num_agpr, 0
	.set _ZL23rocblas_trmm_lTx_kernelILi16ELb1E19rocblas_complex_numIdEPKS1_KS3_KPS1_Ev13rocblas_fill_17rocblas_diagonal_iiT2_lPT3_llSB_llPT4_lli.numbered_sgpr, 36
	.set _ZL23rocblas_trmm_lTx_kernelILi16ELb1E19rocblas_complex_numIdEPKS1_KS3_KPS1_Ev13rocblas_fill_17rocblas_diagonal_iiT2_lPT3_llSB_llPT4_lli.num_named_barrier, 0
	.set _ZL23rocblas_trmm_lTx_kernelILi16ELb1E19rocblas_complex_numIdEPKS1_KS3_KPS1_Ev13rocblas_fill_17rocblas_diagonal_iiT2_lPT3_llSB_llPT4_lli.private_seg_size, 0
	.set _ZL23rocblas_trmm_lTx_kernelILi16ELb1E19rocblas_complex_numIdEPKS1_KS3_KPS1_Ev13rocblas_fill_17rocblas_diagonal_iiT2_lPT3_llSB_llPT4_lli.uses_vcc, 1
	.set _ZL23rocblas_trmm_lTx_kernelILi16ELb1E19rocblas_complex_numIdEPKS1_KS3_KPS1_Ev13rocblas_fill_17rocblas_diagonal_iiT2_lPT3_llSB_llPT4_lli.uses_flat_scratch, 0
	.set _ZL23rocblas_trmm_lTx_kernelILi16ELb1E19rocblas_complex_numIdEPKS1_KS3_KPS1_Ev13rocblas_fill_17rocblas_diagonal_iiT2_lPT3_llSB_llPT4_lli.has_dyn_sized_stack, 0
	.set _ZL23rocblas_trmm_lTx_kernelILi16ELb1E19rocblas_complex_numIdEPKS1_KS3_KPS1_Ev13rocblas_fill_17rocblas_diagonal_iiT2_lPT3_llSB_llPT4_lli.has_recursion, 0
	.set _ZL23rocblas_trmm_lTx_kernelILi16ELb1E19rocblas_complex_numIdEPKS1_KS3_KPS1_Ev13rocblas_fill_17rocblas_diagonal_iiT2_lPT3_llSB_llPT4_lli.has_indirect_call, 0
	.section	.AMDGPU.csdata,"",@progbits
; Kernel info:
; codeLenInByte = 1856
; TotalNumSgprs: 42
; NumVgprs: 76
; NumAgprs: 0
; TotalNumVgprs: 76
; ScratchSize: 0
; MemoryBound: 0
; FloatMode: 240
; IeeeMode: 1
; LDSByteSize: 8192 bytes/workgroup (compile time only)
; SGPRBlocks: 5
; VGPRBlocks: 9
; NumSGPRsForWavesPerEU: 42
; NumVGPRsForWavesPerEU: 76
; AccumOffset: 76
; Occupancy: 6
; WaveLimiterHint : 1
; COMPUTE_PGM_RSRC2:SCRATCH_EN: 0
; COMPUTE_PGM_RSRC2:USER_SGPR: 2
; COMPUTE_PGM_RSRC2:TRAP_HANDLER: 0
; COMPUTE_PGM_RSRC2:TGID_X_EN: 1
; COMPUTE_PGM_RSRC2:TGID_Y_EN: 0
; COMPUTE_PGM_RSRC2:TGID_Z_EN: 1
; COMPUTE_PGM_RSRC2:TIDIG_COMP_CNT: 1
; COMPUTE_PGM_RSRC3_GFX90A:ACCUM_OFFSET: 18
; COMPUTE_PGM_RSRC3_GFX90A:TG_SPLIT: 0
	.section	.text._ZL23rocblas_trmm_lTx_kernelILi16ELb1E19rocblas_complex_numIdES1_KPKS1_KPS1_Ev13rocblas_fill_17rocblas_diagonal_iiT2_lPT3_llSB_llPT4_lli,"axG",@progbits,_ZL23rocblas_trmm_lTx_kernelILi16ELb1E19rocblas_complex_numIdES1_KPKS1_KPS1_Ev13rocblas_fill_17rocblas_diagonal_iiT2_lPT3_llSB_llPT4_lli,comdat
	.globl	_ZL23rocblas_trmm_lTx_kernelILi16ELb1E19rocblas_complex_numIdES1_KPKS1_KPS1_Ev13rocblas_fill_17rocblas_diagonal_iiT2_lPT3_llSB_llPT4_lli ; -- Begin function _ZL23rocblas_trmm_lTx_kernelILi16ELb1E19rocblas_complex_numIdES1_KPKS1_KPS1_Ev13rocblas_fill_17rocblas_diagonal_iiT2_lPT3_llSB_llPT4_lli
	.p2align	8
	.type	_ZL23rocblas_trmm_lTx_kernelILi16ELb1E19rocblas_complex_numIdES1_KPKS1_KPS1_Ev13rocblas_fill_17rocblas_diagonal_iiT2_lPT3_llSB_llPT4_lli,@function
_ZL23rocblas_trmm_lTx_kernelILi16ELb1E19rocblas_complex_numIdES1_KPKS1_KPS1_Ev13rocblas_fill_17rocblas_diagonal_iiT2_lPT3_llSB_llPT4_lli: ; @_ZL23rocblas_trmm_lTx_kernelILi16ELb1E19rocblas_complex_numIdES1_KPKS1_KPS1_Ev13rocblas_fill_17rocblas_diagonal_iiT2_lPT3_llSB_llPT4_lli
; %bb.0:
	s_load_dwordx4 s[20:23], s[0:1], 0x10
	s_waitcnt lgkmcnt(0)
	v_cmp_neq_f64_e64 s[4:5], s[20:21], 0
	v_cmp_neq_f64_e64 s[6:7], s[22:23], 0
	s_or_b64 s[4:5], s[4:5], s[6:7]
	s_andn2_b64 vcc, exec, s[4:5]
	s_cbranch_vccnz .LBB185_15
; %bb.1:
	s_load_dwordx4 s[24:27], s[0:1], 0x0
	s_load_dwordx16 s[4:19], s[0:1], 0x28
	s_mov_b32 s28, s3
	s_mov_b32 s29, 0
	s_lshl_b64 s[30:31], s[28:29], 3
	v_and_b32_e32 v4, 0x3ff, v0
	s_waitcnt lgkmcnt(0)
	s_add_u32 s4, s4, s30
	s_addc_u32 s5, s5, s31
	s_load_dwordx2 s[36:37], s[4:5], 0x0
	s_add_u32 s4, s10, s30
	s_addc_u32 s5, s11, s31
	s_load_dwordx2 s[34:35], s[4:5], 0x0
	;; [unrolled: 3-line block ×3, first 2 shown]
	v_bfe_u32 v2, v0, 10, 10
	s_mov_b32 s28, s29
	v_lshlrev_b32_e32 v3, 4, v2
	s_mov_b32 s30, s29
	s_mov_b32 s31, s29
	v_mov_b64_e32 v[6:7], s[28:29]
	v_cmp_gt_i32_e64 s[4:5], s26, v2
	v_cmp_gt_i32_e32 vcc, s26, v4
	v_add_lshl_u32 v5, v3, v4, 4
	v_mov_b64_e32 v[8:9], s[30:31]
	s_and_b64 s[16:17], s[4:5], vcc
	v_lshlrev_b32_e32 v0, 4, v4
	ds_write_b128 v5, v[6:9]
	ds_write_b128 v5, v[6:9] offset:4096
	s_waitcnt lgkmcnt(0)
	s_barrier
	s_and_saveexec_b64 s[4:5], s[16:17]
	s_cbranch_execz .LBB185_3
; %bb.2:
	v_mad_u64_u32 v[6:7], s[16:17], s6, v2, 0
	s_lshl_b64 s[8:9], s[8:9], 4
	v_mov_b32_e32 v8, v7
	s_add_u32 s8, s36, s8
	v_mad_u64_u32 v[8:9], s[6:7], s7, v2, v[8:9]
	s_addc_u32 s9, s37, s9
	v_mov_b32_e32 v7, v8
	v_lshl_add_u64 v[6:7], v[6:7], 4, s[8:9]
	v_mov_b32_e32 v1, 0
	v_lshl_add_u64 v[6:7], v[6:7], 0, v[0:1]
	flat_load_dwordx4 v[6:9], v[6:7]
	v_lshl_add_u32 v1, v4, 8, v3
	s_waitcnt vmcnt(0) lgkmcnt(0)
	v_xor_b32_e32 v9, 0x80000000, v9
	ds_write_b128 v1, v[6:9]
.LBB185_3:
	s_or_b64 exec, exec, s[4:5]
	s_add_i32 s3, s27, -1
	s_ashr_i32 s4, s3, 31
	s_lshr_b32 s4, s4, 28
	s_add_i32 s3, s3, s4
	s_ashr_i32 s4, s3, 4
	s_and_b32 s3, s3, -16
	s_sub_i32 s3, s27, s3
	s_cmp_ge_i32 s2, s4
	s_cselect_b32 s3, s3, 16
	s_lshl_b32 s8, s2, 4
	v_cmp_gt_i32_e64 s[2:3], s3, v2
	s_ashr_i32 s9, s8, 31
	s_and_b64 s[2:3], vcc, s[2:3]
	s_and_saveexec_b64 s[4:5], s[2:3]
	s_cbranch_execz .LBB185_5
; %bb.4:
	s_lshl_b64 s[6:7], s[14:15], 4
	s_add_u32 s14, s34, s6
	s_addc_u32 s15, s35, s7
	s_mul_i32 s6, s12, s9
	s_mul_hi_u32 s7, s12, s8
	s_add_i32 s6, s7, s6
	s_mul_i32 s7, s13, s8
	s_add_i32 s7, s6, s7
	s_mul_i32 s6, s12, s8
	s_lshl_b64 s[6:7], s[6:7], 4
	s_add_u32 s6, s14, s6
	s_addc_u32 s7, s15, s7
	v_mad_u64_u32 v[6:7], s[14:15], s12, v2, 0
	v_mov_b32_e32 v8, v7
	v_mad_u64_u32 v[8:9], s[12:13], s13, v2, v[8:9]
	v_mov_b32_e32 v7, v8
	v_lshl_add_u64 v[6:7], v[6:7], 4, s[6:7]
	v_mov_b32_e32 v1, 0
	v_lshl_add_u64 v[6:7], v[6:7], 0, v[0:1]
	flat_load_dwordx4 v[6:9], v[6:7]
	v_add_u32_e32 v1, 0x1000, v5
	s_waitcnt vmcnt(0) lgkmcnt(0)
	ds_write2_b64 v1, v[6:7], v[8:9] offset1:1
.LBB185_5:
	s_or_b64 exec, exec, s[4:5]
	s_cmpk_eq_i32 s25, 0x84
	s_cselect_b64 s[4:5], -1, 0
	v_cmp_eq_u32_e32 vcc, v2, v4
	s_and_b64 s[6:7], vcc, s[4:5]
	s_and_saveexec_b64 s[4:5], s[6:7]
; %bb.6:
	v_mov_b32_e32 v6, 0
	v_mov_b32_e32 v7, 0x3ff00000
	;; [unrolled: 1-line block ×4, first 2 shown]
	ds_write_b128 v5, v[6:9]
; %bb.7:
	s_or_b64 exec, exec, s[4:5]
	s_cmpk_lg_i32 s24, 0x7a
	s_waitcnt lgkmcnt(0)
	s_barrier
	s_cbranch_scc0 .LBB185_9
; %bb.8:
	v_cmp_lt_u32_e32 vcc, v4, v2
	s_and_b64 s[4:5], vcc, exec
	s_cbranch_execz .LBB185_10
	s_branch .LBB185_11
.LBB185_9:
	s_mov_b64 s[4:5], 0
.LBB185_10:
	v_cmp_gt_u32_e32 vcc, v4, v2
	s_andn2_b64 s[4:5], s[4:5], exec
	s_and_b64 s[6:7], vcc, exec
	s_or_b64 s[4:5], s[4:5], s[6:7]
.LBB185_11:
	s_and_saveexec_b64 s[6:7], s[4:5]
; %bb.12:
	v_mov_b32_e32 v6, 0
	v_mov_b32_e32 v7, v6
	;; [unrolled: 1-line block ×4, first 2 shown]
	ds_write_b128 v5, v[6:9]
; %bb.13:
	s_or_b64 exec, exec, s[6:7]
	s_waitcnt lgkmcnt(0)
	s_barrier
	s_and_saveexec_b64 s[4:5], s[2:3]
	s_cbranch_execz .LBB185_15
; %bb.14:
	v_lshlrev_b32_e32 v1, 4, v3
	ds_read_b128 v[4:7], v0
	ds_read_b128 v[8:11], v1 offset:4096
	ds_read_b128 v[12:15], v1 offset:4112
	;; [unrolled: 1-line block ×5, first 2 shown]
	s_waitcnt lgkmcnt(4)
	v_mul_f64 v[28:29], v[8:9], v[6:7]
	v_fmac_f64_e32 v[28:29], v[10:11], v[4:5]
	v_add_f64 v[36:37], v[28:29], 0
	ds_read_b128 v[28:31], v0 offset:512
	ds_read_b128 v[32:35], v0 offset:768
	s_waitcnt lgkmcnt(2)
	v_mul_f64 v[38:39], v[12:13], v[26:27]
	v_fmac_f64_e32 v[38:39], v[14:15], v[24:25]
	v_add_f64 v[36:37], v[36:37], v[38:39]
	s_waitcnt lgkmcnt(1)
	v_mul_f64 v[38:39], v[16:17], v[30:31]
	v_fmac_f64_e32 v[38:39], v[18:19], v[28:29]
	v_add_f64 v[52:53], v[36:37], v[38:39]
	ds_read_b128 v[36:39], v1 offset:4160
	ds_read_b128 v[40:43], v0 offset:1024
	;; [unrolled: 1-line block ×4, first 2 shown]
	s_waitcnt lgkmcnt(4)
	v_mul_f64 v[54:55], v[20:21], v[34:35]
	v_fmac_f64_e32 v[54:55], v[22:23], v[32:33]
	v_add_f64 v[52:53], v[52:53], v[54:55]
	s_waitcnt lgkmcnt(2)
	v_mul_f64 v[54:55], v[36:37], v[42:43]
	v_fmac_f64_e32 v[54:55], v[38:39], v[40:41]
	v_add_f64 v[52:53], v[52:53], v[54:55]
	s_waitcnt lgkmcnt(0)
	v_mul_f64 v[54:55], v[44:45], v[50:51]
	v_fmac_f64_e32 v[54:55], v[46:47], v[48:49]
	v_mul_f64 v[6:7], v[10:11], v[6:7]
	v_add_f64 v[56:57], v[52:53], v[54:55]
	ds_read_b128 v[52:55], v1 offset:4192
	v_fma_f64 v[58:59], v[8:9], v[4:5], -v[6:7]
	ds_read_b128 v[4:7], v0 offset:1536
	v_mul_f64 v[8:9], v[14:15], v[26:27]
	v_fma_f64 v[60:61], v[12:13], v[24:25], -v[8:9]
	ds_read_b128 v[8:11], v1 offset:4208
	ds_read_b128 v[12:15], v0 offset:1792
	v_mul_f64 v[18:19], v[18:19], v[30:31]
	v_mul_f64 v[22:23], v[22:23], v[34:35]
	v_fma_f64 v[62:63], v[16:17], v[28:29], -v[18:19]
	ds_read_b128 v[16:19], v1 offset:4224
	v_fma_f64 v[66:67], v[20:21], v[32:33], -v[22:23]
	ds_read_b128 v[20:23], v0 offset:2048
	s_waitcnt lgkmcnt(4)
	v_mul_f64 v[24:25], v[52:53], v[6:7]
	v_fmac_f64_e32 v[24:25], v[54:55], v[4:5]
	s_waitcnt lgkmcnt(2)
	v_mul_f64 v[64:65], v[8:9], v[14:15]
	v_add_f64 v[56:57], v[56:57], v[24:25]
	v_fmac_f64_e32 v[64:65], v[10:11], v[12:13]
	s_waitcnt lgkmcnt(0)
	v_mul_f64 v[34:35], v[16:17], v[22:23]
	v_mul_f64 v[24:25], v[38:39], v[42:43]
	v_add_f64 v[32:33], v[56:57], v[64:65]
	v_fmac_f64_e32 v[34:35], v[18:19], v[20:21]
	v_fma_f64 v[68:69], v[36:37], v[40:41], -v[24:25]
	ds_read_b128 v[24:27], v1 offset:4240
	ds_read_b128 v[28:31], v0 offset:2304
	v_add_f64 v[40:41], v[32:33], v[34:35]
	v_mul_f64 v[32:33], v[46:47], v[50:51]
	v_fma_f64 v[56:57], v[44:45], v[48:49], -v[32:33]
	ds_read_b128 v[32:35], v0 offset:2560
	v_mul_f64 v[6:7], v[54:55], v[6:7]
	v_fma_f64 v[52:53], v[52:53], v[4:5], -v[6:7]
	ds_read_b128 v[4:7], v1 offset:4256
	ds_read_b128 v[36:39], v1 offset:4272
	s_waitcnt lgkmcnt(3)
	v_mul_f64 v[42:43], v[24:25], v[30:31]
	v_fmac_f64_e32 v[42:43], v[26:27], v[28:29]
	v_mul_f64 v[10:11], v[10:11], v[14:15]
	s_waitcnt lgkmcnt(1)
	v_mul_f64 v[14:15], v[4:5], v[34:35]
	v_fma_f64 v[54:55], v[8:9], v[12:13], -v[10:11]
	v_add_f64 v[12:13], v[40:41], v[42:43]
	v_fmac_f64_e32 v[14:15], v[6:7], v[32:33]
	v_add_f64 v[58:59], v[58:59], 0
	ds_read_b128 v[8:11], v0 offset:2816
	v_add_f64 v[40:41], v[12:13], v[14:15]
	v_mul_f64 v[12:13], v[18:19], v[22:23]
	v_add_f64 v[58:59], v[58:59], v[60:61]
	v_fma_f64 v[64:65], v[16:17], v[20:21], -v[12:13]
	ds_read_b128 v[12:15], v1 offset:4288
	ds_read_b128 v[16:19], v0 offset:3072
	v_add_f64 v[58:59], v[58:59], v[62:63]
	v_add_f64 v[58:59], v[58:59], v[66:67]
	;; [unrolled: 1-line block ×4, first 2 shown]
	s_waitcnt lgkmcnt(2)
	v_mul_f64 v[42:43], v[36:37], v[10:11]
	v_mul_f64 v[20:21], v[26:27], v[30:31]
	v_add_f64 v[52:53], v[56:57], v[52:53]
	v_fmac_f64_e32 v[42:43], v[38:39], v[8:9]
	v_fma_f64 v[70:71], v[24:25], v[28:29], -v[20:21]
	ds_read_b128 v[20:23], v1 offset:4304
	ds_read_b128 v[24:27], v0 offset:3328
	s_waitcnt lgkmcnt(2)
	v_mul_f64 v[30:31], v[12:13], v[18:19]
	v_add_f64 v[52:53], v[52:53], v[54:55]
	v_add_f64 v[28:29], v[40:41], v[42:43]
	v_fmac_f64_e32 v[30:31], v[14:15], v[16:17]
	s_load_dwordx2 s[0:1], s[0:1], 0x68
	v_add_f64 v[52:53], v[52:53], v[64:65]
	v_mul_f64 v[6:7], v[6:7], v[34:35]
	v_add_f64 v[72:73], v[28:29], v[30:31]
	ds_read_b128 v[28:31], v1 offset:4320
	ds_read_b128 v[40:43], v0 offset:3584
	v_add_f64 v[52:53], v[52:53], v[70:71]
	v_fma_f64 v[4:5], v[4:5], v[32:33], -v[6:7]
	v_mul_f64 v[6:7], v[38:39], v[10:11]
	v_add_f64 v[4:5], v[52:53], v[4:5]
	v_fma_f64 v[6:7], v[36:37], v[8:9], -v[6:7]
	ds_read_b128 v[44:47], v1 offset:4336
	ds_read_b128 v[48:51], v0 offset:3840
	v_add_f64 v[4:5], v[4:5], v[6:7]
	v_mul_f64 v[6:7], v[14:15], v[18:19]
	s_waitcnt lgkmcnt(0)
	v_mul_f64 v[74:75], v[20:21], v[26:27]
	v_fma_f64 v[6:7], v[12:13], v[16:17], -v[6:7]
	v_fmac_f64_e32 v[74:75], v[22:23], v[24:25]
	s_lshl_b64 s[0:1], s[0:1], 4
	v_add_f64 v[4:5], v[4:5], v[6:7]
	v_mul_f64 v[6:7], v[22:23], v[26:27]
	v_add_f64 v[72:73], v[72:73], v[74:75]
	v_mul_f64 v[74:75], v[28:29], v[42:43]
	s_add_u32 s2, s10, s0
	v_fma_f64 v[6:7], v[20:21], v[24:25], -v[6:7]
	v_fmac_f64_e32 v[74:75], v[30:31], v[40:41]
	s_addc_u32 s3, s11, s1
	s_mul_i32 s0, s18, s9
	s_mul_hi_u32 s1, s18, s8
	v_add_f64 v[4:5], v[4:5], v[6:7]
	v_mul_f64 v[6:7], v[30:31], v[42:43]
	v_add_f64 v[72:73], v[72:73], v[74:75]
	v_mul_f64 v[74:75], v[44:45], v[50:51]
	s_add_i32 s0, s1, s0
	s_mul_i32 s1, s19, s8
	v_fma_f64 v[6:7], v[28:29], v[40:41], -v[6:7]
	v_fmac_f64_e32 v[74:75], v[46:47], v[48:49]
	s_add_i32 s1, s0, s1
	s_mul_i32 s0, s18, s8
	v_add_f64 v[4:5], v[4:5], v[6:7]
	v_mul_f64 v[6:7], v[46:47], v[50:51]
	v_add_f64 v[72:73], v[72:73], v[74:75]
	s_lshl_b64 s[0:1], s[0:1], 4
	v_fma_f64 v[6:7], v[44:45], v[48:49], -v[6:7]
	s_add_u32 s0, s2, s0
	v_add_f64 v[4:5], v[4:5], v[6:7]
	v_mul_f64 v[6:7], s[20:21], v[72:73]
	v_mul_f64 v[8:9], s[22:23], v[72:73]
	s_addc_u32 s1, s3, s1
	v_fmac_f64_e32 v[6:7], s[22:23], v[4:5]
	v_fma_f64 v[4:5], s[20:21], v[4:5], -v[8:9]
	v_mad_u64_u32 v[8:9], s[2:3], s18, v2, 0
	v_mov_b32_e32 v10, v9
	v_mad_u64_u32 v[2:3], s[2:3], s19, v2, v[10:11]
	v_mov_b32_e32 v9, v2
	v_lshl_add_u64 v[2:3], v[8:9], 4, s[0:1]
	v_mov_b32_e32 v1, 0
	v_lshl_add_u64 v[0:1], v[2:3], 0, v[0:1]
	flat_store_dwordx4 v[0:1], v[4:7]
.LBB185_15:
	s_endpgm
	.section	.rodata,"a",@progbits
	.p2align	6, 0x0
	.amdhsa_kernel _ZL23rocblas_trmm_lTx_kernelILi16ELb1E19rocblas_complex_numIdES1_KPKS1_KPS1_Ev13rocblas_fill_17rocblas_diagonal_iiT2_lPT3_llSB_llPT4_lli
		.amdhsa_group_segment_fixed_size 8192
		.amdhsa_private_segment_fixed_size 0
		.amdhsa_kernarg_size 116
		.amdhsa_user_sgpr_count 2
		.amdhsa_user_sgpr_dispatch_ptr 0
		.amdhsa_user_sgpr_queue_ptr 0
		.amdhsa_user_sgpr_kernarg_segment_ptr 1
		.amdhsa_user_sgpr_dispatch_id 0
		.amdhsa_user_sgpr_kernarg_preload_length 0
		.amdhsa_user_sgpr_kernarg_preload_offset 0
		.amdhsa_user_sgpr_private_segment_size 0
		.amdhsa_uses_dynamic_stack 0
		.amdhsa_enable_private_segment 0
		.amdhsa_system_sgpr_workgroup_id_x 1
		.amdhsa_system_sgpr_workgroup_id_y 0
		.amdhsa_system_sgpr_workgroup_id_z 1
		.amdhsa_system_sgpr_workgroup_info 0
		.amdhsa_system_vgpr_workitem_id 1
		.amdhsa_next_free_vgpr 76
		.amdhsa_next_free_sgpr 38
		.amdhsa_accum_offset 76
		.amdhsa_reserve_vcc 1
		.amdhsa_float_round_mode_32 0
		.amdhsa_float_round_mode_16_64 0
		.amdhsa_float_denorm_mode_32 3
		.amdhsa_float_denorm_mode_16_64 3
		.amdhsa_dx10_clamp 1
		.amdhsa_ieee_mode 1
		.amdhsa_fp16_overflow 0
		.amdhsa_tg_split 0
		.amdhsa_exception_fp_ieee_invalid_op 0
		.amdhsa_exception_fp_denorm_src 0
		.amdhsa_exception_fp_ieee_div_zero 0
		.amdhsa_exception_fp_ieee_overflow 0
		.amdhsa_exception_fp_ieee_underflow 0
		.amdhsa_exception_fp_ieee_inexact 0
		.amdhsa_exception_int_div_zero 0
	.end_amdhsa_kernel
	.section	.text._ZL23rocblas_trmm_lTx_kernelILi16ELb1E19rocblas_complex_numIdES1_KPKS1_KPS1_Ev13rocblas_fill_17rocblas_diagonal_iiT2_lPT3_llSB_llPT4_lli,"axG",@progbits,_ZL23rocblas_trmm_lTx_kernelILi16ELb1E19rocblas_complex_numIdES1_KPKS1_KPS1_Ev13rocblas_fill_17rocblas_diagonal_iiT2_lPT3_llSB_llPT4_lli,comdat
.Lfunc_end185:
	.size	_ZL23rocblas_trmm_lTx_kernelILi16ELb1E19rocblas_complex_numIdES1_KPKS1_KPS1_Ev13rocblas_fill_17rocblas_diagonal_iiT2_lPT3_llSB_llPT4_lli, .Lfunc_end185-_ZL23rocblas_trmm_lTx_kernelILi16ELb1E19rocblas_complex_numIdES1_KPKS1_KPS1_Ev13rocblas_fill_17rocblas_diagonal_iiT2_lPT3_llSB_llPT4_lli
                                        ; -- End function
	.set _ZL23rocblas_trmm_lTx_kernelILi16ELb1E19rocblas_complex_numIdES1_KPKS1_KPS1_Ev13rocblas_fill_17rocblas_diagonal_iiT2_lPT3_llSB_llPT4_lli.num_vgpr, 76
	.set _ZL23rocblas_trmm_lTx_kernelILi16ELb1E19rocblas_complex_numIdES1_KPKS1_KPS1_Ev13rocblas_fill_17rocblas_diagonal_iiT2_lPT3_llSB_llPT4_lli.num_agpr, 0
	.set _ZL23rocblas_trmm_lTx_kernelILi16ELb1E19rocblas_complex_numIdES1_KPKS1_KPS1_Ev13rocblas_fill_17rocblas_diagonal_iiT2_lPT3_llSB_llPT4_lli.numbered_sgpr, 38
	.set _ZL23rocblas_trmm_lTx_kernelILi16ELb1E19rocblas_complex_numIdES1_KPKS1_KPS1_Ev13rocblas_fill_17rocblas_diagonal_iiT2_lPT3_llSB_llPT4_lli.num_named_barrier, 0
	.set _ZL23rocblas_trmm_lTx_kernelILi16ELb1E19rocblas_complex_numIdES1_KPKS1_KPS1_Ev13rocblas_fill_17rocblas_diagonal_iiT2_lPT3_llSB_llPT4_lli.private_seg_size, 0
	.set _ZL23rocblas_trmm_lTx_kernelILi16ELb1E19rocblas_complex_numIdES1_KPKS1_KPS1_Ev13rocblas_fill_17rocblas_diagonal_iiT2_lPT3_llSB_llPT4_lli.uses_vcc, 1
	.set _ZL23rocblas_trmm_lTx_kernelILi16ELb1E19rocblas_complex_numIdES1_KPKS1_KPS1_Ev13rocblas_fill_17rocblas_diagonal_iiT2_lPT3_llSB_llPT4_lli.uses_flat_scratch, 0
	.set _ZL23rocblas_trmm_lTx_kernelILi16ELb1E19rocblas_complex_numIdES1_KPKS1_KPS1_Ev13rocblas_fill_17rocblas_diagonal_iiT2_lPT3_llSB_llPT4_lli.has_dyn_sized_stack, 0
	.set _ZL23rocblas_trmm_lTx_kernelILi16ELb1E19rocblas_complex_numIdES1_KPKS1_KPS1_Ev13rocblas_fill_17rocblas_diagonal_iiT2_lPT3_llSB_llPT4_lli.has_recursion, 0
	.set _ZL23rocblas_trmm_lTx_kernelILi16ELb1E19rocblas_complex_numIdES1_KPKS1_KPS1_Ev13rocblas_fill_17rocblas_diagonal_iiT2_lPT3_llSB_llPT4_lli.has_indirect_call, 0
	.section	.AMDGPU.csdata,"",@progbits
; Kernel info:
; codeLenInByte = 1816
; TotalNumSgprs: 44
; NumVgprs: 76
; NumAgprs: 0
; TotalNumVgprs: 76
; ScratchSize: 0
; MemoryBound: 0
; FloatMode: 240
; IeeeMode: 1
; LDSByteSize: 8192 bytes/workgroup (compile time only)
; SGPRBlocks: 5
; VGPRBlocks: 9
; NumSGPRsForWavesPerEU: 44
; NumVGPRsForWavesPerEU: 76
; AccumOffset: 76
; Occupancy: 6
; WaveLimiterHint : 1
; COMPUTE_PGM_RSRC2:SCRATCH_EN: 0
; COMPUTE_PGM_RSRC2:USER_SGPR: 2
; COMPUTE_PGM_RSRC2:TRAP_HANDLER: 0
; COMPUTE_PGM_RSRC2:TGID_X_EN: 1
; COMPUTE_PGM_RSRC2:TGID_Y_EN: 0
; COMPUTE_PGM_RSRC2:TGID_Z_EN: 1
; COMPUTE_PGM_RSRC2:TIDIG_COMP_CNT: 1
; COMPUTE_PGM_RSRC3_GFX90A:ACCUM_OFFSET: 18
; COMPUTE_PGM_RSRC3_GFX90A:TG_SPLIT: 0
	.section	.text._ZL23rocblas_trmm_rNx_kernelILi16E19rocblas_complex_numIdEPKS1_KS3_KPS1_Ev13rocblas_fill_17rocblas_diagonal_iiT1_lPT2_llSB_llPT3_lli,"axG",@progbits,_ZL23rocblas_trmm_rNx_kernelILi16E19rocblas_complex_numIdEPKS1_KS3_KPS1_Ev13rocblas_fill_17rocblas_diagonal_iiT1_lPT2_llSB_llPT3_lli,comdat
	.globl	_ZL23rocblas_trmm_rNx_kernelILi16E19rocblas_complex_numIdEPKS1_KS3_KPS1_Ev13rocblas_fill_17rocblas_diagonal_iiT1_lPT2_llSB_llPT3_lli ; -- Begin function _ZL23rocblas_trmm_rNx_kernelILi16E19rocblas_complex_numIdEPKS1_KS3_KPS1_Ev13rocblas_fill_17rocblas_diagonal_iiT1_lPT2_llSB_llPT3_lli
	.p2align	8
	.type	_ZL23rocblas_trmm_rNx_kernelILi16E19rocblas_complex_numIdEPKS1_KS3_KPS1_Ev13rocblas_fill_17rocblas_diagonal_iiT1_lPT2_llSB_llPT3_lli,@function
_ZL23rocblas_trmm_rNx_kernelILi16E19rocblas_complex_numIdEPKS1_KS3_KPS1_Ev13rocblas_fill_17rocblas_diagonal_iiT1_lPT2_llSB_llPT3_lli: ; @_ZL23rocblas_trmm_rNx_kernelILi16E19rocblas_complex_numIdEPKS1_KS3_KPS1_Ev13rocblas_fill_17rocblas_diagonal_iiT1_lPT2_llSB_llPT3_lli
; %bb.0:
	s_load_dwordx16 s[4:19], s[0:1], 0x10
	s_mov_b32 s28, s3
	s_waitcnt lgkmcnt(0)
	s_mul_i32 s3, s7, s3
	s_mul_hi_u32 s7, s6, s28
	s_add_i32 s7, s7, s3
	s_mul_i32 s6, s6, s28
	s_lshl_b64 s[6:7], s[6:7], 4
	s_add_u32 s4, s4, s6
	s_addc_u32 s5, s5, s7
	s_load_dwordx4 s[20:23], s[4:5], 0x0
	s_waitcnt lgkmcnt(0)
	v_cmp_neq_f64_e64 s[4:5], s[20:21], 0
	v_cmp_neq_f64_e64 s[6:7], s[22:23], 0
	s_or_b64 s[4:5], s[4:5], s[6:7]
	s_andn2_b64 vcc, exec, s[4:5]
	s_cbranch_vccnz .LBB186_15
; %bb.1:
	s_load_dwordx4 s[24:27], s[0:1], 0x0
	s_load_dwordx4 s[4:7], s[0:1], 0x50
	s_mov_b32 s29, 0
	s_lshl_b64 s[36:37], s[28:29], 3
	s_add_u32 s14, s14, s36
	s_addc_u32 s15, s15, s37
	s_waitcnt lgkmcnt(0)
	s_add_u32 s4, s4, s36
	s_addc_u32 s5, s5, s37
	s_load_dwordx2 s[34:35], s[14:15], 0x0
	v_and_b32_e32 v5, 0x3ff, v0
	s_load_dwordx2 s[14:15], s[4:5], 0x0
	v_bfe_u32 v2, v0, 10, 10
	s_mov_b32 s28, s29
	v_lshlrev_b32_e32 v3, 4, v2
	s_mov_b32 s30, s29
	s_mov_b32 s31, s29
	v_mov_b64_e32 v[6:7], s[28:29]
	v_cmp_gt_i32_e32 vcc, s27, v2
	v_cmp_gt_i32_e64 s[4:5], s27, v5
	v_add_lshl_u32 v4, v3, v5, 4
	v_mov_b64_e32 v[8:9], s[30:31]
	s_and_b64 s[28:29], vcc, s[4:5]
	v_lshlrev_b32_e32 v0, 4, v5
	ds_write_b128 v4, v[6:9]
	ds_write_b128 v4, v[6:9] offset:4096
	s_and_saveexec_b64 s[4:5], s[28:29]
	s_cbranch_execz .LBB186_3
; %bb.2:
	s_add_u32 s8, s8, s36
	s_addc_u32 s9, s9, s37
	s_load_dwordx2 s[8:9], s[8:9], 0x0
	v_mad_u64_u32 v[6:7], s[28:29], s10, v2, 0
	s_lshl_b64 s[12:13], s[12:13], 4
	v_mov_b32_e32 v8, v7
	s_waitcnt lgkmcnt(0)
	s_add_u32 s8, s8, s12
	v_mad_u64_u32 v[8:9], s[10:11], s11, v2, v[8:9]
	s_addc_u32 s9, s9, s13
	v_mov_b32_e32 v7, v8
	v_lshl_add_u64 v[6:7], v[6:7], 4, s[8:9]
	v_mov_b32_e32 v1, 0
	v_lshl_add_u64 v[6:7], v[6:7], 0, v[0:1]
	flat_load_dwordx4 v[6:9], v[6:7]
	s_waitcnt vmcnt(0) lgkmcnt(0)
	ds_write2_b64 v4, v[6:7], v[8:9] offset1:1
.LBB186_3:
	s_or_b64 exec, exec, s[4:5]
	s_add_i32 s3, s26, -1
	s_ashr_i32 s4, s3, 31
	s_lshr_b32 s4, s4, 28
	s_add_i32 s3, s3, s4
	s_ashr_i32 s4, s3, 4
	s_and_b32 s3, s3, -16
	s_sub_i32 s3, s26, s3
	s_cmp_ge_i32 s2, s4
	s_cselect_b32 s3, s3, 16
	s_lshl_b32 s4, s2, 4
	v_cmp_gt_i32_e64 s[2:3], s3, v5
	s_ashr_i32 s5, s4, 31
	s_and_b64 s[2:3], vcc, s[2:3]
	s_and_saveexec_b64 s[8:9], s[2:3]
	s_cbranch_execz .LBB186_5
; %bb.4:
	s_lshl_b64 s[10:11], s[18:19], 4
	s_waitcnt lgkmcnt(0)
	s_add_u32 s12, s34, s10
	s_addc_u32 s13, s35, s11
	s_lshl_b64 s[10:11], s[4:5], 4
	s_add_u32 s10, s12, s10
	s_addc_u32 s11, s13, s11
	v_mad_u64_u32 v[6:7], s[12:13], s16, v2, 0
	v_mov_b32_e32 v8, v7
	v_mad_u64_u32 v[8:9], s[12:13], s17, v2, v[8:9]
	v_mov_b32_e32 v7, v8
	v_lshl_add_u64 v[6:7], v[6:7], 4, s[10:11]
	v_mov_b32_e32 v1, 0
	v_lshl_add_u64 v[6:7], v[6:7], 0, v[0:1]
	flat_load_dwordx4 v[6:9], v[6:7]
	v_add_u32_e32 v1, 0x1000, v4
	s_waitcnt vmcnt(0) lgkmcnt(0)
	ds_write2_b64 v1, v[6:7], v[8:9] offset1:1
.LBB186_5:
	s_or_b64 exec, exec, s[8:9]
	s_cmpk_eq_i32 s25, 0x84
	s_cselect_b64 s[8:9], -1, 0
	v_cmp_eq_u32_e32 vcc, v2, v5
	s_and_b64 s[10:11], vcc, s[8:9]
	s_and_saveexec_b64 s[8:9], s[10:11]
; %bb.6:
	v_mov_b32_e32 v6, 0
	v_mov_b32_e32 v7, 0x3ff00000
	;; [unrolled: 1-line block ×4, first 2 shown]
	ds_write_b128 v4, v[6:9]
; %bb.7:
	s_or_b64 exec, exec, s[8:9]
	s_cmpk_lg_i32 s24, 0x79
	s_cbranch_scc0 .LBB186_9
; %bb.8:
	v_cmp_lt_u32_e32 vcc, v5, v2
	s_and_b64 s[8:9], vcc, exec
	s_cbranch_execz .LBB186_10
	s_branch .LBB186_11
.LBB186_9:
	s_mov_b64 s[8:9], 0
.LBB186_10:
	v_cmp_gt_u32_e32 vcc, v5, v2
	s_andn2_b64 s[8:9], s[8:9], exec
	s_and_b64 s[10:11], vcc, exec
	s_or_b64 s[8:9], s[8:9], s[10:11]
.LBB186_11:
	s_and_saveexec_b64 s[10:11], s[8:9]
; %bb.12:
	v_mov_b32_e32 v6, 0
	v_mov_b32_e32 v7, v6
	;; [unrolled: 1-line block ×4, first 2 shown]
	ds_write_b128 v4, v[6:9]
; %bb.13:
	s_or_b64 exec, exec, s[10:11]
	s_waitcnt lgkmcnt(0)
	s_barrier
	s_and_saveexec_b64 s[8:9], s[2:3]
	s_cbranch_execz .LBB186_15
; %bb.14:
	v_lshlrev_b32_e32 v1, 4, v3
	ds_read_b128 v[4:7], v0 offset:4096
	ds_read_b128 v[8:11], v1
	ds_read_b128 v[12:15], v1 offset:16
	ds_read_b128 v[16:19], v1 offset:32
	;; [unrolled: 1-line block ×4, first 2 shown]
	s_waitcnt lgkmcnt(4)
	v_mul_f64 v[28:29], v[8:9], v[6:7]
	v_fmac_f64_e32 v[28:29], v[10:11], v[4:5]
	v_add_f64 v[36:37], v[28:29], 0
	ds_read_b128 v[28:31], v0 offset:4608
	ds_read_b128 v[32:35], v0 offset:4864
	s_waitcnt lgkmcnt(2)
	v_mul_f64 v[38:39], v[12:13], v[26:27]
	v_fmac_f64_e32 v[38:39], v[14:15], v[24:25]
	v_add_f64 v[36:37], v[36:37], v[38:39]
	s_waitcnt lgkmcnt(1)
	v_mul_f64 v[38:39], v[16:17], v[30:31]
	v_fmac_f64_e32 v[38:39], v[18:19], v[28:29]
	v_add_f64 v[52:53], v[36:37], v[38:39]
	ds_read_b128 v[36:39], v1 offset:64
	ds_read_b128 v[40:43], v0 offset:5120
	;; [unrolled: 1-line block ×4, first 2 shown]
	s_waitcnt lgkmcnt(4)
	v_mul_f64 v[54:55], v[20:21], v[34:35]
	v_fmac_f64_e32 v[54:55], v[22:23], v[32:33]
	v_add_f64 v[52:53], v[52:53], v[54:55]
	s_waitcnt lgkmcnt(2)
	v_mul_f64 v[54:55], v[36:37], v[42:43]
	v_fmac_f64_e32 v[54:55], v[38:39], v[40:41]
	v_add_f64 v[52:53], v[52:53], v[54:55]
	s_waitcnt lgkmcnt(0)
	v_mul_f64 v[54:55], v[44:45], v[50:51]
	v_fmac_f64_e32 v[54:55], v[46:47], v[48:49]
	v_mul_f64 v[6:7], v[10:11], v[6:7]
	v_add_f64 v[56:57], v[52:53], v[54:55]
	ds_read_b128 v[52:55], v1 offset:96
	v_fma_f64 v[58:59], v[8:9], v[4:5], -v[6:7]
	ds_read_b128 v[4:7], v0 offset:5632
	v_mul_f64 v[8:9], v[14:15], v[26:27]
	v_fma_f64 v[60:61], v[12:13], v[24:25], -v[8:9]
	ds_read_b128 v[8:11], v1 offset:112
	ds_read_b128 v[12:15], v0 offset:5888
	v_mul_f64 v[18:19], v[18:19], v[30:31]
	v_mul_f64 v[22:23], v[22:23], v[34:35]
	v_fma_f64 v[62:63], v[16:17], v[28:29], -v[18:19]
	ds_read_b128 v[16:19], v1 offset:128
	v_fma_f64 v[66:67], v[20:21], v[32:33], -v[22:23]
	ds_read_b128 v[20:23], v0 offset:6144
	s_waitcnt lgkmcnt(4)
	v_mul_f64 v[24:25], v[52:53], v[6:7]
	v_fmac_f64_e32 v[24:25], v[54:55], v[4:5]
	s_waitcnt lgkmcnt(2)
	v_mul_f64 v[64:65], v[8:9], v[14:15]
	v_add_f64 v[56:57], v[56:57], v[24:25]
	v_fmac_f64_e32 v[64:65], v[10:11], v[12:13]
	s_waitcnt lgkmcnt(0)
	v_mul_f64 v[34:35], v[16:17], v[22:23]
	v_mul_f64 v[24:25], v[38:39], v[42:43]
	v_add_f64 v[32:33], v[56:57], v[64:65]
	v_fmac_f64_e32 v[34:35], v[18:19], v[20:21]
	v_fma_f64 v[68:69], v[36:37], v[40:41], -v[24:25]
	ds_read_b128 v[24:27], v1 offset:144
	ds_read_b128 v[28:31], v0 offset:6400
	v_add_f64 v[40:41], v[32:33], v[34:35]
	v_mul_f64 v[32:33], v[46:47], v[50:51]
	v_fma_f64 v[56:57], v[44:45], v[48:49], -v[32:33]
	ds_read_b128 v[32:35], v0 offset:6656
	v_mul_f64 v[6:7], v[54:55], v[6:7]
	v_fma_f64 v[52:53], v[52:53], v[4:5], -v[6:7]
	ds_read_b128 v[4:7], v1 offset:160
	ds_read_b128 v[36:39], v1 offset:176
	s_waitcnt lgkmcnt(3)
	v_mul_f64 v[42:43], v[24:25], v[30:31]
	v_fmac_f64_e32 v[42:43], v[26:27], v[28:29]
	v_mul_f64 v[10:11], v[10:11], v[14:15]
	s_waitcnt lgkmcnt(1)
	v_mul_f64 v[14:15], v[4:5], v[34:35]
	v_fma_f64 v[54:55], v[8:9], v[12:13], -v[10:11]
	v_add_f64 v[12:13], v[40:41], v[42:43]
	v_fmac_f64_e32 v[14:15], v[6:7], v[32:33]
	v_add_f64 v[58:59], v[58:59], 0
	ds_read_b128 v[8:11], v0 offset:6912
	v_add_f64 v[40:41], v[12:13], v[14:15]
	v_mul_f64 v[12:13], v[18:19], v[22:23]
	v_add_f64 v[58:59], v[58:59], v[60:61]
	v_fma_f64 v[64:65], v[16:17], v[20:21], -v[12:13]
	ds_read_b128 v[12:15], v1 offset:192
	ds_read_b128 v[16:19], v0 offset:7168
	v_add_f64 v[58:59], v[58:59], v[62:63]
	v_add_f64 v[58:59], v[58:59], v[66:67]
	;; [unrolled: 1-line block ×4, first 2 shown]
	s_waitcnt lgkmcnt(2)
	v_mul_f64 v[42:43], v[36:37], v[10:11]
	v_mul_f64 v[20:21], v[26:27], v[30:31]
	v_add_f64 v[52:53], v[56:57], v[52:53]
	v_fmac_f64_e32 v[42:43], v[38:39], v[8:9]
	v_fma_f64 v[70:71], v[24:25], v[28:29], -v[20:21]
	ds_read_b128 v[20:23], v1 offset:208
	ds_read_b128 v[24:27], v0 offset:7424
	s_waitcnt lgkmcnt(2)
	v_mul_f64 v[30:31], v[12:13], v[18:19]
	v_add_f64 v[52:53], v[52:53], v[54:55]
	v_add_f64 v[28:29], v[40:41], v[42:43]
	v_fmac_f64_e32 v[30:31], v[14:15], v[16:17]
	v_add_f64 v[52:53], v[52:53], v[64:65]
	v_mul_f64 v[6:7], v[6:7], v[34:35]
	v_add_f64 v[72:73], v[28:29], v[30:31]
	ds_read_b128 v[28:31], v1 offset:224
	ds_read_b128 v[40:43], v0 offset:7680
	v_add_f64 v[52:53], v[52:53], v[70:71]
	v_fma_f64 v[4:5], v[4:5], v[32:33], -v[6:7]
	v_mul_f64 v[6:7], v[38:39], v[10:11]
	v_add_f64 v[4:5], v[52:53], v[4:5]
	v_fma_f64 v[6:7], v[36:37], v[8:9], -v[6:7]
	ds_read_b128 v[44:47], v1 offset:240
	ds_read_b128 v[48:51], v0 offset:7936
	s_load_dwordx2 s[0:1], s[0:1], 0x60
	v_add_f64 v[4:5], v[4:5], v[6:7]
	v_mul_f64 v[6:7], v[14:15], v[18:19]
	s_waitcnt lgkmcnt(0)
	v_mul_f64 v[74:75], v[20:21], v[26:27]
	v_fma_f64 v[6:7], v[12:13], v[16:17], -v[6:7]
	v_fmac_f64_e32 v[74:75], v[22:23], v[24:25]
	v_add_f64 v[4:5], v[4:5], v[6:7]
	v_mul_f64 v[6:7], v[22:23], v[26:27]
	v_add_f64 v[72:73], v[72:73], v[74:75]
	v_mul_f64 v[74:75], v[28:29], v[42:43]
	v_fma_f64 v[6:7], v[20:21], v[24:25], -v[6:7]
	v_fmac_f64_e32 v[74:75], v[30:31], v[40:41]
	v_add_f64 v[4:5], v[4:5], v[6:7]
	v_mul_f64 v[6:7], v[30:31], v[42:43]
	v_add_f64 v[72:73], v[72:73], v[74:75]
	v_mul_f64 v[74:75], v[44:45], v[50:51]
	s_lshl_b64 s[0:1], s[0:1], 4
	v_fma_f64 v[6:7], v[28:29], v[40:41], -v[6:7]
	v_fmac_f64_e32 v[74:75], v[46:47], v[48:49]
	s_add_u32 s2, s14, s0
	v_add_f64 v[4:5], v[4:5], v[6:7]
	v_mul_f64 v[6:7], v[46:47], v[50:51]
	v_add_f64 v[72:73], v[72:73], v[74:75]
	s_addc_u32 s3, s15, s1
	s_lshl_b64 s[0:1], s[4:5], 4
	v_fma_f64 v[6:7], v[44:45], v[48:49], -v[6:7]
	s_add_u32 s0, s2, s0
	v_add_f64 v[4:5], v[4:5], v[6:7]
	v_mul_f64 v[6:7], s[20:21], v[72:73]
	v_mul_f64 v[8:9], s[22:23], v[72:73]
	s_addc_u32 s1, s3, s1
	v_fmac_f64_e32 v[6:7], s[22:23], v[4:5]
	v_fma_f64 v[4:5], s[20:21], v[4:5], -v[8:9]
	v_mad_u64_u32 v[8:9], s[2:3], s6, v2, 0
	v_mov_b32_e32 v10, v9
	v_mad_u64_u32 v[2:3], s[2:3], s7, v2, v[10:11]
	v_mov_b32_e32 v9, v2
	v_lshl_add_u64 v[2:3], v[8:9], 4, s[0:1]
	v_mov_b32_e32 v1, 0
	v_lshl_add_u64 v[0:1], v[2:3], 0, v[0:1]
	flat_store_dwordx4 v[0:1], v[4:7]
.LBB186_15:
	s_endpgm
	.section	.rodata,"a",@progbits
	.p2align	6, 0x0
	.amdhsa_kernel _ZL23rocblas_trmm_rNx_kernelILi16E19rocblas_complex_numIdEPKS1_KS3_KPS1_Ev13rocblas_fill_17rocblas_diagonal_iiT1_lPT2_llSB_llPT3_lli
		.amdhsa_group_segment_fixed_size 8192
		.amdhsa_private_segment_fixed_size 0
		.amdhsa_kernarg_size 108
		.amdhsa_user_sgpr_count 2
		.amdhsa_user_sgpr_dispatch_ptr 0
		.amdhsa_user_sgpr_queue_ptr 0
		.amdhsa_user_sgpr_kernarg_segment_ptr 1
		.amdhsa_user_sgpr_dispatch_id 0
		.amdhsa_user_sgpr_kernarg_preload_length 0
		.amdhsa_user_sgpr_kernarg_preload_offset 0
		.amdhsa_user_sgpr_private_segment_size 0
		.amdhsa_uses_dynamic_stack 0
		.amdhsa_enable_private_segment 0
		.amdhsa_system_sgpr_workgroup_id_x 1
		.amdhsa_system_sgpr_workgroup_id_y 0
		.amdhsa_system_sgpr_workgroup_id_z 1
		.amdhsa_system_sgpr_workgroup_info 0
		.amdhsa_system_vgpr_workitem_id 1
		.amdhsa_next_free_vgpr 76
		.amdhsa_next_free_sgpr 38
		.amdhsa_accum_offset 76
		.amdhsa_reserve_vcc 1
		.amdhsa_float_round_mode_32 0
		.amdhsa_float_round_mode_16_64 0
		.amdhsa_float_denorm_mode_32 3
		.amdhsa_float_denorm_mode_16_64 3
		.amdhsa_dx10_clamp 1
		.amdhsa_ieee_mode 1
		.amdhsa_fp16_overflow 0
		.amdhsa_tg_split 0
		.amdhsa_exception_fp_ieee_invalid_op 0
		.amdhsa_exception_fp_denorm_src 0
		.amdhsa_exception_fp_ieee_div_zero 0
		.amdhsa_exception_fp_ieee_overflow 0
		.amdhsa_exception_fp_ieee_underflow 0
		.amdhsa_exception_fp_ieee_inexact 0
		.amdhsa_exception_int_div_zero 0
	.end_amdhsa_kernel
	.section	.text._ZL23rocblas_trmm_rNx_kernelILi16E19rocblas_complex_numIdEPKS1_KS3_KPS1_Ev13rocblas_fill_17rocblas_diagonal_iiT1_lPT2_llSB_llPT3_lli,"axG",@progbits,_ZL23rocblas_trmm_rNx_kernelILi16E19rocblas_complex_numIdEPKS1_KS3_KPS1_Ev13rocblas_fill_17rocblas_diagonal_iiT1_lPT2_llSB_llPT3_lli,comdat
.Lfunc_end186:
	.size	_ZL23rocblas_trmm_rNx_kernelILi16E19rocblas_complex_numIdEPKS1_KS3_KPS1_Ev13rocblas_fill_17rocblas_diagonal_iiT1_lPT2_llSB_llPT3_lli, .Lfunc_end186-_ZL23rocblas_trmm_rNx_kernelILi16E19rocblas_complex_numIdEPKS1_KS3_KPS1_Ev13rocblas_fill_17rocblas_diagonal_iiT1_lPT2_llSB_llPT3_lli
                                        ; -- End function
	.set _ZL23rocblas_trmm_rNx_kernelILi16E19rocblas_complex_numIdEPKS1_KS3_KPS1_Ev13rocblas_fill_17rocblas_diagonal_iiT1_lPT2_llSB_llPT3_lli.num_vgpr, 76
	.set _ZL23rocblas_trmm_rNx_kernelILi16E19rocblas_complex_numIdEPKS1_KS3_KPS1_Ev13rocblas_fill_17rocblas_diagonal_iiT1_lPT2_llSB_llPT3_lli.num_agpr, 0
	.set _ZL23rocblas_trmm_rNx_kernelILi16E19rocblas_complex_numIdEPKS1_KS3_KPS1_Ev13rocblas_fill_17rocblas_diagonal_iiT1_lPT2_llSB_llPT3_lli.numbered_sgpr, 38
	.set _ZL23rocblas_trmm_rNx_kernelILi16E19rocblas_complex_numIdEPKS1_KS3_KPS1_Ev13rocblas_fill_17rocblas_diagonal_iiT1_lPT2_llSB_llPT3_lli.num_named_barrier, 0
	.set _ZL23rocblas_trmm_rNx_kernelILi16E19rocblas_complex_numIdEPKS1_KS3_KPS1_Ev13rocblas_fill_17rocblas_diagonal_iiT1_lPT2_llSB_llPT3_lli.private_seg_size, 0
	.set _ZL23rocblas_trmm_rNx_kernelILi16E19rocblas_complex_numIdEPKS1_KS3_KPS1_Ev13rocblas_fill_17rocblas_diagonal_iiT1_lPT2_llSB_llPT3_lli.uses_vcc, 1
	.set _ZL23rocblas_trmm_rNx_kernelILi16E19rocblas_complex_numIdEPKS1_KS3_KPS1_Ev13rocblas_fill_17rocblas_diagonal_iiT1_lPT2_llSB_llPT3_lli.uses_flat_scratch, 0
	.set _ZL23rocblas_trmm_rNx_kernelILi16E19rocblas_complex_numIdEPKS1_KS3_KPS1_Ev13rocblas_fill_17rocblas_diagonal_iiT1_lPT2_llSB_llPT3_lli.has_dyn_sized_stack, 0
	.set _ZL23rocblas_trmm_rNx_kernelILi16E19rocblas_complex_numIdEPKS1_KS3_KPS1_Ev13rocblas_fill_17rocblas_diagonal_iiT1_lPT2_llSB_llPT3_lli.has_recursion, 0
	.set _ZL23rocblas_trmm_rNx_kernelILi16E19rocblas_complex_numIdEPKS1_KS3_KPS1_Ev13rocblas_fill_17rocblas_diagonal_iiT1_lPT2_llSB_llPT3_lli.has_indirect_call, 0
	.section	.AMDGPU.csdata,"",@progbits
; Kernel info:
; codeLenInByte = 1784
; TotalNumSgprs: 44
; NumVgprs: 76
; NumAgprs: 0
; TotalNumVgprs: 76
; ScratchSize: 0
; MemoryBound: 0
; FloatMode: 240
; IeeeMode: 1
; LDSByteSize: 8192 bytes/workgroup (compile time only)
; SGPRBlocks: 5
; VGPRBlocks: 9
; NumSGPRsForWavesPerEU: 44
; NumVGPRsForWavesPerEU: 76
; AccumOffset: 76
; Occupancy: 6
; WaveLimiterHint : 1
; COMPUTE_PGM_RSRC2:SCRATCH_EN: 0
; COMPUTE_PGM_RSRC2:USER_SGPR: 2
; COMPUTE_PGM_RSRC2:TRAP_HANDLER: 0
; COMPUTE_PGM_RSRC2:TGID_X_EN: 1
; COMPUTE_PGM_RSRC2:TGID_Y_EN: 0
; COMPUTE_PGM_RSRC2:TGID_Z_EN: 1
; COMPUTE_PGM_RSRC2:TIDIG_COMP_CNT: 1
; COMPUTE_PGM_RSRC3_GFX90A:ACCUM_OFFSET: 18
; COMPUTE_PGM_RSRC3_GFX90A:TG_SPLIT: 0
	.section	.text._ZL23rocblas_trmm_rNx_kernelILi16E19rocblas_complex_numIdES1_KPKS1_KPS1_Ev13rocblas_fill_17rocblas_diagonal_iiT1_lPT2_llSB_llPT3_lli,"axG",@progbits,_ZL23rocblas_trmm_rNx_kernelILi16E19rocblas_complex_numIdES1_KPKS1_KPS1_Ev13rocblas_fill_17rocblas_diagonal_iiT1_lPT2_llSB_llPT3_lli,comdat
	.globl	_ZL23rocblas_trmm_rNx_kernelILi16E19rocblas_complex_numIdES1_KPKS1_KPS1_Ev13rocblas_fill_17rocblas_diagonal_iiT1_lPT2_llSB_llPT3_lli ; -- Begin function _ZL23rocblas_trmm_rNx_kernelILi16E19rocblas_complex_numIdES1_KPKS1_KPS1_Ev13rocblas_fill_17rocblas_diagonal_iiT1_lPT2_llSB_llPT3_lli
	.p2align	8
	.type	_ZL23rocblas_trmm_rNx_kernelILi16E19rocblas_complex_numIdES1_KPKS1_KPS1_Ev13rocblas_fill_17rocblas_diagonal_iiT1_lPT2_llSB_llPT3_lli,@function
_ZL23rocblas_trmm_rNx_kernelILi16E19rocblas_complex_numIdES1_KPKS1_KPS1_Ev13rocblas_fill_17rocblas_diagonal_iiT1_lPT2_llSB_llPT3_lli: ; @_ZL23rocblas_trmm_rNx_kernelILi16E19rocblas_complex_numIdES1_KPKS1_KPS1_Ev13rocblas_fill_17rocblas_diagonal_iiT1_lPT2_llSB_llPT3_lli
; %bb.0:
	s_load_dwordx4 s[24:27], s[0:1], 0x10
	s_waitcnt lgkmcnt(0)
	v_cmp_neq_f64_e64 s[6:7], s[24:25], 0
	v_cmp_neq_f64_e64 s[8:9], s[26:27], 0
	s_or_b64 s[6:7], s[6:7], s[8:9]
	s_andn2_b64 vcc, exec, s[6:7]
	s_cbranch_vccnz .LBB187_15
; %bb.1:
	s_load_dwordx4 s[28:31], s[0:1], 0x0
	s_load_dwordx16 s[8:23], s[0:1], 0x28
	s_mov_b32 s4, s3
	s_mov_b32 s5, 0
	s_lshl_b64 s[36:37], s[4:5], 3
	v_and_b32_e32 v5, 0x3ff, v0
	s_waitcnt lgkmcnt(0)
	s_add_u32 s6, s14, s36
	s_addc_u32 s7, s15, s37
	s_load_dwordx2 s[34:35], s[6:7], 0x0
	s_add_u32 s6, s20, s36
	s_addc_u32 s7, s21, s37
	s_load_dwordx2 s[14:15], s[6:7], 0x0
	s_mov_b32 s6, s5
	s_mov_b32 s7, s5
	v_bfe_u32 v2, v0, 10, 10
	s_mov_b32 s4, s5
	v_mov_b64_e32 v[8:9], s[6:7]
	v_lshlrev_b32_e32 v3, 4, v2
	v_mov_b64_e32 v[6:7], s[4:5]
	v_cmp_gt_i32_e32 vcc, s31, v2
	v_cmp_gt_i32_e64 s[4:5], s31, v5
	v_add_lshl_u32 v4, v3, v5, 4
	s_and_b64 s[6:7], vcc, s[4:5]
	v_lshlrev_b32_e32 v0, 4, v5
	ds_write_b128 v4, v[6:9]
	ds_write_b128 v4, v[6:9] offset:4096
	s_and_saveexec_b64 s[4:5], s[6:7]
	s_cbranch_execz .LBB187_3
; %bb.2:
	s_add_u32 s6, s8, s36
	s_addc_u32 s7, s9, s37
	s_load_dwordx2 s[6:7], s[6:7], 0x0
	v_mad_u64_u32 v[6:7], s[8:9], s10, v2, 0
	s_lshl_b64 s[8:9], s[12:13], 4
	v_mov_b32_e32 v8, v7
	s_waitcnt lgkmcnt(0)
	s_add_u32 s6, s6, s8
	s_addc_u32 s7, s7, s9
	v_mad_u64_u32 v[8:9], s[8:9], s11, v2, v[8:9]
	v_mov_b32_e32 v7, v8
	v_lshl_add_u64 v[6:7], v[6:7], 4, s[6:7]
	v_mov_b32_e32 v1, 0
	v_lshl_add_u64 v[6:7], v[6:7], 0, v[0:1]
	flat_load_dwordx4 v[6:9], v[6:7]
	s_waitcnt vmcnt(0) lgkmcnt(0)
	ds_write2_b64 v4, v[6:7], v[8:9] offset1:1
.LBB187_3:
	s_or_b64 exec, exec, s[4:5]
	s_add_i32 s3, s30, -1
	s_ashr_i32 s4, s3, 31
	s_lshr_b32 s4, s4, 28
	s_add_i32 s3, s3, s4
	s_ashr_i32 s4, s3, 4
	s_and_b32 s3, s3, -16
	s_sub_i32 s3, s30, s3
	s_cmp_ge_i32 s2, s4
	s_cselect_b32 s3, s3, 16
	s_lshl_b32 s4, s2, 4
	v_cmp_gt_i32_e64 s[2:3], s3, v5
	s_ashr_i32 s5, s4, 31
	s_and_b64 s[2:3], vcc, s[2:3]
	s_and_saveexec_b64 s[6:7], s[2:3]
	s_cbranch_execz .LBB187_5
; %bb.4:
	s_lshl_b64 s[8:9], s[18:19], 4
	s_waitcnt lgkmcnt(0)
	s_add_u32 s10, s34, s8
	s_addc_u32 s11, s35, s9
	s_lshl_b64 s[8:9], s[4:5], 4
	s_add_u32 s8, s10, s8
	s_addc_u32 s9, s11, s9
	v_mad_u64_u32 v[6:7], s[10:11], s16, v2, 0
	v_mov_b32_e32 v8, v7
	v_mad_u64_u32 v[8:9], s[10:11], s17, v2, v[8:9]
	v_mov_b32_e32 v7, v8
	v_lshl_add_u64 v[6:7], v[6:7], 4, s[8:9]
	v_mov_b32_e32 v1, 0
	v_lshl_add_u64 v[6:7], v[6:7], 0, v[0:1]
	flat_load_dwordx4 v[6:9], v[6:7]
	v_add_u32_e32 v1, 0x1000, v4
	s_waitcnt vmcnt(0) lgkmcnt(0)
	ds_write2_b64 v1, v[6:7], v[8:9] offset1:1
.LBB187_5:
	s_or_b64 exec, exec, s[6:7]
	s_cmpk_eq_i32 s29, 0x84
	s_cselect_b64 s[6:7], -1, 0
	v_cmp_eq_u32_e32 vcc, v2, v5
	s_and_b64 s[8:9], vcc, s[6:7]
	s_and_saveexec_b64 s[6:7], s[8:9]
; %bb.6:
	v_mov_b32_e32 v6, 0
	v_mov_b32_e32 v7, 0x3ff00000
	;; [unrolled: 1-line block ×4, first 2 shown]
	ds_write_b128 v4, v[6:9]
; %bb.7:
	s_or_b64 exec, exec, s[6:7]
	s_cmpk_lg_i32 s28, 0x79
	s_cbranch_scc0 .LBB187_9
; %bb.8:
	v_cmp_lt_u32_e32 vcc, v5, v2
	s_and_b64 s[6:7], vcc, exec
	s_cbranch_execz .LBB187_10
	s_branch .LBB187_11
.LBB187_9:
	s_mov_b64 s[6:7], 0
.LBB187_10:
	v_cmp_gt_u32_e32 vcc, v5, v2
	s_andn2_b64 s[6:7], s[6:7], exec
	s_and_b64 s[8:9], vcc, exec
	s_or_b64 s[6:7], s[6:7], s[8:9]
.LBB187_11:
	s_and_saveexec_b64 s[8:9], s[6:7]
; %bb.12:
	v_mov_b32_e32 v6, 0
	v_mov_b32_e32 v7, v6
	;; [unrolled: 1-line block ×4, first 2 shown]
	ds_write_b128 v4, v[6:9]
; %bb.13:
	s_or_b64 exec, exec, s[8:9]
	s_waitcnt lgkmcnt(0)
	s_barrier
	s_and_saveexec_b64 s[6:7], s[2:3]
	s_cbranch_execz .LBB187_15
; %bb.14:
	v_lshlrev_b32_e32 v1, 4, v3
	ds_read_b128 v[4:7], v0 offset:4096
	ds_read_b128 v[8:11], v1
	ds_read_b128 v[12:15], v1 offset:16
	ds_read_b128 v[16:19], v1 offset:32
	;; [unrolled: 1-line block ×4, first 2 shown]
	s_waitcnt lgkmcnt(4)
	v_mul_f64 v[28:29], v[8:9], v[6:7]
	v_fmac_f64_e32 v[28:29], v[10:11], v[4:5]
	v_add_f64 v[36:37], v[28:29], 0
	ds_read_b128 v[28:31], v0 offset:4608
	ds_read_b128 v[32:35], v0 offset:4864
	s_waitcnt lgkmcnt(2)
	v_mul_f64 v[38:39], v[12:13], v[26:27]
	v_fmac_f64_e32 v[38:39], v[14:15], v[24:25]
	v_add_f64 v[36:37], v[36:37], v[38:39]
	s_waitcnt lgkmcnt(1)
	v_mul_f64 v[38:39], v[16:17], v[30:31]
	v_fmac_f64_e32 v[38:39], v[18:19], v[28:29]
	v_add_f64 v[52:53], v[36:37], v[38:39]
	ds_read_b128 v[36:39], v1 offset:64
	ds_read_b128 v[40:43], v0 offset:5120
	;; [unrolled: 1-line block ×4, first 2 shown]
	s_waitcnt lgkmcnt(4)
	v_mul_f64 v[54:55], v[20:21], v[34:35]
	v_fmac_f64_e32 v[54:55], v[22:23], v[32:33]
	v_add_f64 v[52:53], v[52:53], v[54:55]
	s_waitcnt lgkmcnt(2)
	v_mul_f64 v[54:55], v[36:37], v[42:43]
	v_fmac_f64_e32 v[54:55], v[38:39], v[40:41]
	v_add_f64 v[52:53], v[52:53], v[54:55]
	s_waitcnt lgkmcnt(0)
	v_mul_f64 v[54:55], v[44:45], v[50:51]
	v_fmac_f64_e32 v[54:55], v[46:47], v[48:49]
	v_mul_f64 v[6:7], v[10:11], v[6:7]
	v_add_f64 v[56:57], v[52:53], v[54:55]
	ds_read_b128 v[52:55], v1 offset:96
	v_fma_f64 v[58:59], v[8:9], v[4:5], -v[6:7]
	ds_read_b128 v[4:7], v0 offset:5632
	v_mul_f64 v[8:9], v[14:15], v[26:27]
	v_fma_f64 v[60:61], v[12:13], v[24:25], -v[8:9]
	ds_read_b128 v[8:11], v1 offset:112
	ds_read_b128 v[12:15], v0 offset:5888
	v_mul_f64 v[18:19], v[18:19], v[30:31]
	v_mul_f64 v[22:23], v[22:23], v[34:35]
	v_fma_f64 v[62:63], v[16:17], v[28:29], -v[18:19]
	ds_read_b128 v[16:19], v1 offset:128
	v_fma_f64 v[66:67], v[20:21], v[32:33], -v[22:23]
	ds_read_b128 v[20:23], v0 offset:6144
	s_waitcnt lgkmcnt(4)
	v_mul_f64 v[24:25], v[52:53], v[6:7]
	v_fmac_f64_e32 v[24:25], v[54:55], v[4:5]
	s_waitcnt lgkmcnt(2)
	v_mul_f64 v[64:65], v[8:9], v[14:15]
	v_add_f64 v[56:57], v[56:57], v[24:25]
	v_fmac_f64_e32 v[64:65], v[10:11], v[12:13]
	s_waitcnt lgkmcnt(0)
	v_mul_f64 v[34:35], v[16:17], v[22:23]
	v_mul_f64 v[24:25], v[38:39], v[42:43]
	v_add_f64 v[32:33], v[56:57], v[64:65]
	v_fmac_f64_e32 v[34:35], v[18:19], v[20:21]
	v_fma_f64 v[68:69], v[36:37], v[40:41], -v[24:25]
	ds_read_b128 v[24:27], v1 offset:144
	ds_read_b128 v[28:31], v0 offset:6400
	v_add_f64 v[40:41], v[32:33], v[34:35]
	v_mul_f64 v[32:33], v[46:47], v[50:51]
	v_fma_f64 v[56:57], v[44:45], v[48:49], -v[32:33]
	ds_read_b128 v[32:35], v0 offset:6656
	v_mul_f64 v[6:7], v[54:55], v[6:7]
	v_fma_f64 v[52:53], v[52:53], v[4:5], -v[6:7]
	ds_read_b128 v[4:7], v1 offset:160
	ds_read_b128 v[36:39], v1 offset:176
	s_waitcnt lgkmcnt(3)
	v_mul_f64 v[42:43], v[24:25], v[30:31]
	v_fmac_f64_e32 v[42:43], v[26:27], v[28:29]
	v_mul_f64 v[10:11], v[10:11], v[14:15]
	s_waitcnt lgkmcnt(1)
	v_mul_f64 v[14:15], v[4:5], v[34:35]
	v_fma_f64 v[54:55], v[8:9], v[12:13], -v[10:11]
	v_add_f64 v[12:13], v[40:41], v[42:43]
	v_fmac_f64_e32 v[14:15], v[6:7], v[32:33]
	v_add_f64 v[58:59], v[58:59], 0
	ds_read_b128 v[8:11], v0 offset:6912
	v_add_f64 v[40:41], v[12:13], v[14:15]
	v_mul_f64 v[12:13], v[18:19], v[22:23]
	v_add_f64 v[58:59], v[58:59], v[60:61]
	v_fma_f64 v[64:65], v[16:17], v[20:21], -v[12:13]
	ds_read_b128 v[12:15], v1 offset:192
	ds_read_b128 v[16:19], v0 offset:7168
	v_add_f64 v[58:59], v[58:59], v[62:63]
	v_add_f64 v[58:59], v[58:59], v[66:67]
	;; [unrolled: 1-line block ×4, first 2 shown]
	s_waitcnt lgkmcnt(2)
	v_mul_f64 v[42:43], v[36:37], v[10:11]
	v_mul_f64 v[20:21], v[26:27], v[30:31]
	v_add_f64 v[52:53], v[56:57], v[52:53]
	v_fmac_f64_e32 v[42:43], v[38:39], v[8:9]
	v_fma_f64 v[70:71], v[24:25], v[28:29], -v[20:21]
	ds_read_b128 v[20:23], v1 offset:208
	ds_read_b128 v[24:27], v0 offset:7424
	s_waitcnt lgkmcnt(2)
	v_mul_f64 v[30:31], v[12:13], v[18:19]
	v_add_f64 v[52:53], v[52:53], v[54:55]
	v_add_f64 v[28:29], v[40:41], v[42:43]
	v_fmac_f64_e32 v[30:31], v[14:15], v[16:17]
	v_add_f64 v[52:53], v[52:53], v[64:65]
	v_mul_f64 v[6:7], v[6:7], v[34:35]
	v_add_f64 v[72:73], v[28:29], v[30:31]
	ds_read_b128 v[28:31], v1 offset:224
	ds_read_b128 v[40:43], v0 offset:7680
	v_add_f64 v[52:53], v[52:53], v[70:71]
	v_fma_f64 v[4:5], v[4:5], v[32:33], -v[6:7]
	v_mul_f64 v[6:7], v[38:39], v[10:11]
	v_add_f64 v[4:5], v[52:53], v[4:5]
	v_fma_f64 v[6:7], v[36:37], v[8:9], -v[6:7]
	ds_read_b128 v[44:47], v1 offset:240
	ds_read_b128 v[48:51], v0 offset:7936
	s_load_dwordx2 s[0:1], s[0:1], 0x68
	v_add_f64 v[4:5], v[4:5], v[6:7]
	v_mul_f64 v[6:7], v[14:15], v[18:19]
	s_waitcnt lgkmcnt(0)
	v_mul_f64 v[74:75], v[20:21], v[26:27]
	v_fma_f64 v[6:7], v[12:13], v[16:17], -v[6:7]
	v_fmac_f64_e32 v[74:75], v[22:23], v[24:25]
	v_add_f64 v[4:5], v[4:5], v[6:7]
	v_mul_f64 v[6:7], v[22:23], v[26:27]
	v_add_f64 v[72:73], v[72:73], v[74:75]
	v_mul_f64 v[74:75], v[28:29], v[42:43]
	v_fma_f64 v[6:7], v[20:21], v[24:25], -v[6:7]
	v_fmac_f64_e32 v[74:75], v[30:31], v[40:41]
	v_add_f64 v[4:5], v[4:5], v[6:7]
	v_mul_f64 v[6:7], v[30:31], v[42:43]
	v_add_f64 v[72:73], v[72:73], v[74:75]
	v_mul_f64 v[74:75], v[44:45], v[50:51]
	s_lshl_b64 s[0:1], s[0:1], 4
	v_fma_f64 v[6:7], v[28:29], v[40:41], -v[6:7]
	v_fmac_f64_e32 v[74:75], v[46:47], v[48:49]
	s_add_u32 s2, s14, s0
	v_add_f64 v[4:5], v[4:5], v[6:7]
	v_mul_f64 v[6:7], v[46:47], v[50:51]
	v_add_f64 v[72:73], v[72:73], v[74:75]
	s_addc_u32 s3, s15, s1
	s_lshl_b64 s[0:1], s[4:5], 4
	v_fma_f64 v[6:7], v[44:45], v[48:49], -v[6:7]
	s_add_u32 s0, s2, s0
	v_add_f64 v[4:5], v[4:5], v[6:7]
	v_mul_f64 v[6:7], s[24:25], v[72:73]
	v_mul_f64 v[8:9], s[26:27], v[72:73]
	s_addc_u32 s1, s3, s1
	v_fmac_f64_e32 v[6:7], s[26:27], v[4:5]
	v_fma_f64 v[4:5], s[24:25], v[4:5], -v[8:9]
	v_mad_u64_u32 v[8:9], s[2:3], s22, v2, 0
	v_mov_b32_e32 v10, v9
	v_mad_u64_u32 v[2:3], s[2:3], s23, v2, v[10:11]
	v_mov_b32_e32 v9, v2
	v_lshl_add_u64 v[2:3], v[8:9], 4, s[0:1]
	v_mov_b32_e32 v1, 0
	v_lshl_add_u64 v[0:1], v[2:3], 0, v[0:1]
	flat_store_dwordx4 v[0:1], v[4:7]
.LBB187_15:
	s_endpgm
	.section	.rodata,"a",@progbits
	.p2align	6, 0x0
	.amdhsa_kernel _ZL23rocblas_trmm_rNx_kernelILi16E19rocblas_complex_numIdES1_KPKS1_KPS1_Ev13rocblas_fill_17rocblas_diagonal_iiT1_lPT2_llSB_llPT3_lli
		.amdhsa_group_segment_fixed_size 8192
		.amdhsa_private_segment_fixed_size 0
		.amdhsa_kernarg_size 116
		.amdhsa_user_sgpr_count 2
		.amdhsa_user_sgpr_dispatch_ptr 0
		.amdhsa_user_sgpr_queue_ptr 0
		.amdhsa_user_sgpr_kernarg_segment_ptr 1
		.amdhsa_user_sgpr_dispatch_id 0
		.amdhsa_user_sgpr_kernarg_preload_length 0
		.amdhsa_user_sgpr_kernarg_preload_offset 0
		.amdhsa_user_sgpr_private_segment_size 0
		.amdhsa_uses_dynamic_stack 0
		.amdhsa_enable_private_segment 0
		.amdhsa_system_sgpr_workgroup_id_x 1
		.amdhsa_system_sgpr_workgroup_id_y 0
		.amdhsa_system_sgpr_workgroup_id_z 1
		.amdhsa_system_sgpr_workgroup_info 0
		.amdhsa_system_vgpr_workitem_id 1
		.amdhsa_next_free_vgpr 76
		.amdhsa_next_free_sgpr 38
		.amdhsa_accum_offset 76
		.amdhsa_reserve_vcc 1
		.amdhsa_float_round_mode_32 0
		.amdhsa_float_round_mode_16_64 0
		.amdhsa_float_denorm_mode_32 3
		.amdhsa_float_denorm_mode_16_64 3
		.amdhsa_dx10_clamp 1
		.amdhsa_ieee_mode 1
		.amdhsa_fp16_overflow 0
		.amdhsa_tg_split 0
		.amdhsa_exception_fp_ieee_invalid_op 0
		.amdhsa_exception_fp_denorm_src 0
		.amdhsa_exception_fp_ieee_div_zero 0
		.amdhsa_exception_fp_ieee_overflow 0
		.amdhsa_exception_fp_ieee_underflow 0
		.amdhsa_exception_fp_ieee_inexact 0
		.amdhsa_exception_int_div_zero 0
	.end_amdhsa_kernel
	.section	.text._ZL23rocblas_trmm_rNx_kernelILi16E19rocblas_complex_numIdES1_KPKS1_KPS1_Ev13rocblas_fill_17rocblas_diagonal_iiT1_lPT2_llSB_llPT3_lli,"axG",@progbits,_ZL23rocblas_trmm_rNx_kernelILi16E19rocblas_complex_numIdES1_KPKS1_KPS1_Ev13rocblas_fill_17rocblas_diagonal_iiT1_lPT2_llSB_llPT3_lli,comdat
.Lfunc_end187:
	.size	_ZL23rocblas_trmm_rNx_kernelILi16E19rocblas_complex_numIdES1_KPKS1_KPS1_Ev13rocblas_fill_17rocblas_diagonal_iiT1_lPT2_llSB_llPT3_lli, .Lfunc_end187-_ZL23rocblas_trmm_rNx_kernelILi16E19rocblas_complex_numIdES1_KPKS1_KPS1_Ev13rocblas_fill_17rocblas_diagonal_iiT1_lPT2_llSB_llPT3_lli
                                        ; -- End function
	.set _ZL23rocblas_trmm_rNx_kernelILi16E19rocblas_complex_numIdES1_KPKS1_KPS1_Ev13rocblas_fill_17rocblas_diagonal_iiT1_lPT2_llSB_llPT3_lli.num_vgpr, 76
	.set _ZL23rocblas_trmm_rNx_kernelILi16E19rocblas_complex_numIdES1_KPKS1_KPS1_Ev13rocblas_fill_17rocblas_diagonal_iiT1_lPT2_llSB_llPT3_lli.num_agpr, 0
	.set _ZL23rocblas_trmm_rNx_kernelILi16E19rocblas_complex_numIdES1_KPKS1_KPS1_Ev13rocblas_fill_17rocblas_diagonal_iiT1_lPT2_llSB_llPT3_lli.numbered_sgpr, 38
	.set _ZL23rocblas_trmm_rNx_kernelILi16E19rocblas_complex_numIdES1_KPKS1_KPS1_Ev13rocblas_fill_17rocblas_diagonal_iiT1_lPT2_llSB_llPT3_lli.num_named_barrier, 0
	.set _ZL23rocblas_trmm_rNx_kernelILi16E19rocblas_complex_numIdES1_KPKS1_KPS1_Ev13rocblas_fill_17rocblas_diagonal_iiT1_lPT2_llSB_llPT3_lli.private_seg_size, 0
	.set _ZL23rocblas_trmm_rNx_kernelILi16E19rocblas_complex_numIdES1_KPKS1_KPS1_Ev13rocblas_fill_17rocblas_diagonal_iiT1_lPT2_llSB_llPT3_lli.uses_vcc, 1
	.set _ZL23rocblas_trmm_rNx_kernelILi16E19rocblas_complex_numIdES1_KPKS1_KPS1_Ev13rocblas_fill_17rocblas_diagonal_iiT1_lPT2_llSB_llPT3_lli.uses_flat_scratch, 0
	.set _ZL23rocblas_trmm_rNx_kernelILi16E19rocblas_complex_numIdES1_KPKS1_KPS1_Ev13rocblas_fill_17rocblas_diagonal_iiT1_lPT2_llSB_llPT3_lli.has_dyn_sized_stack, 0
	.set _ZL23rocblas_trmm_rNx_kernelILi16E19rocblas_complex_numIdES1_KPKS1_KPS1_Ev13rocblas_fill_17rocblas_diagonal_iiT1_lPT2_llSB_llPT3_lli.has_recursion, 0
	.set _ZL23rocblas_trmm_rNx_kernelILi16E19rocblas_complex_numIdES1_KPKS1_KPS1_Ev13rocblas_fill_17rocblas_diagonal_iiT1_lPT2_llSB_llPT3_lli.has_indirect_call, 0
	.section	.AMDGPU.csdata,"",@progbits
; Kernel info:
; codeLenInByte = 1744
; TotalNumSgprs: 44
; NumVgprs: 76
; NumAgprs: 0
; TotalNumVgprs: 76
; ScratchSize: 0
; MemoryBound: 0
; FloatMode: 240
; IeeeMode: 1
; LDSByteSize: 8192 bytes/workgroup (compile time only)
; SGPRBlocks: 5
; VGPRBlocks: 9
; NumSGPRsForWavesPerEU: 44
; NumVGPRsForWavesPerEU: 76
; AccumOffset: 76
; Occupancy: 6
; WaveLimiterHint : 1
; COMPUTE_PGM_RSRC2:SCRATCH_EN: 0
; COMPUTE_PGM_RSRC2:USER_SGPR: 2
; COMPUTE_PGM_RSRC2:TRAP_HANDLER: 0
; COMPUTE_PGM_RSRC2:TGID_X_EN: 1
; COMPUTE_PGM_RSRC2:TGID_Y_EN: 0
; COMPUTE_PGM_RSRC2:TGID_Z_EN: 1
; COMPUTE_PGM_RSRC2:TIDIG_COMP_CNT: 1
; COMPUTE_PGM_RSRC3_GFX90A:ACCUM_OFFSET: 18
; COMPUTE_PGM_RSRC3_GFX90A:TG_SPLIT: 0
	.section	.text._ZL23rocblas_trmm_rTx_kernelILi16ELb0E19rocblas_complex_numIdEPKS1_KS3_KPS1_Ev13rocblas_fill_17rocblas_diagonal_iiT2_lPT3_llSB_llPT4_lli,"axG",@progbits,_ZL23rocblas_trmm_rTx_kernelILi16ELb0E19rocblas_complex_numIdEPKS1_KS3_KPS1_Ev13rocblas_fill_17rocblas_diagonal_iiT2_lPT3_llSB_llPT4_lli,comdat
	.globl	_ZL23rocblas_trmm_rTx_kernelILi16ELb0E19rocblas_complex_numIdEPKS1_KS3_KPS1_Ev13rocblas_fill_17rocblas_diagonal_iiT2_lPT3_llSB_llPT4_lli ; -- Begin function _ZL23rocblas_trmm_rTx_kernelILi16ELb0E19rocblas_complex_numIdEPKS1_KS3_KPS1_Ev13rocblas_fill_17rocblas_diagonal_iiT2_lPT3_llSB_llPT4_lli
	.p2align	8
	.type	_ZL23rocblas_trmm_rTx_kernelILi16ELb0E19rocblas_complex_numIdEPKS1_KS3_KPS1_Ev13rocblas_fill_17rocblas_diagonal_iiT2_lPT3_llSB_llPT4_lli,@function
_ZL23rocblas_trmm_rTx_kernelILi16ELb0E19rocblas_complex_numIdEPKS1_KS3_KPS1_Ev13rocblas_fill_17rocblas_diagonal_iiT2_lPT3_llSB_llPT4_lli: ; @_ZL23rocblas_trmm_rTx_kernelILi16ELb0E19rocblas_complex_numIdEPKS1_KS3_KPS1_Ev13rocblas_fill_17rocblas_diagonal_iiT2_lPT3_llSB_llPT4_lli
; %bb.0:
	s_load_dwordx16 s[4:19], s[0:1], 0x10
	s_mov_b32 s28, s3
	s_waitcnt lgkmcnt(0)
	s_mul_i32 s3, s7, s3
	s_mul_hi_u32 s7, s6, s28
	s_add_i32 s7, s7, s3
	s_mul_i32 s6, s6, s28
	s_lshl_b64 s[6:7], s[6:7], 4
	s_add_u32 s4, s4, s6
	s_addc_u32 s5, s5, s7
	s_load_dwordx4 s[20:23], s[4:5], 0x0
	s_waitcnt lgkmcnt(0)
	v_cmp_neq_f64_e64 s[4:5], s[20:21], 0
	v_cmp_neq_f64_e64 s[6:7], s[22:23], 0
	s_or_b64 s[4:5], s[4:5], s[6:7]
	s_andn2_b64 vcc, exec, s[4:5]
	s_cbranch_vccnz .LBB188_15
; %bb.1:
	s_load_dwordx4 s[24:27], s[0:1], 0x0
	s_load_dwordx4 s[4:7], s[0:1], 0x50
	s_mov_b32 s29, 0
	s_lshl_b64 s[36:37], s[28:29], 3
	s_add_u32 s14, s14, s36
	s_addc_u32 s15, s15, s37
	s_waitcnt lgkmcnt(0)
	s_add_u32 s4, s4, s36
	s_addc_u32 s5, s5, s37
	s_load_dwordx2 s[34:35], s[14:15], 0x0
	v_and_b32_e32 v5, 0x3ff, v0
	s_load_dwordx2 s[14:15], s[4:5], 0x0
	v_bfe_u32 v2, v0, 10, 10
	s_mov_b32 s28, s29
	v_lshlrev_b32_e32 v3, 4, v2
	s_mov_b32 s30, s29
	s_mov_b32 s31, s29
	v_mov_b64_e32 v[6:7], s[28:29]
	v_cmp_gt_i32_e32 vcc, s27, v2
	v_cmp_gt_i32_e64 s[4:5], s27, v5
	v_add_lshl_u32 v4, v3, v5, 4
	v_mov_b64_e32 v[8:9], s[30:31]
	s_and_b64 s[28:29], vcc, s[4:5]
	v_lshlrev_b32_e32 v0, 4, v5
	ds_write_b128 v4, v[6:9]
	ds_write_b128 v4, v[6:9] offset:4096
	s_and_saveexec_b64 s[4:5], s[28:29]
	s_cbranch_execz .LBB188_3
; %bb.2:
	s_add_u32 s8, s8, s36
	s_addc_u32 s9, s9, s37
	s_load_dwordx2 s[8:9], s[8:9], 0x0
	v_mad_u64_u32 v[6:7], s[28:29], s10, v2, 0
	s_lshl_b64 s[12:13], s[12:13], 4
	v_mov_b32_e32 v8, v7
	s_waitcnt lgkmcnt(0)
	s_add_u32 s8, s8, s12
	v_mad_u64_u32 v[8:9], s[10:11], s11, v2, v[8:9]
	s_addc_u32 s9, s9, s13
	v_mov_b32_e32 v7, v8
	v_lshl_add_u64 v[6:7], v[6:7], 4, s[8:9]
	v_mov_b32_e32 v1, 0
	v_lshl_add_u64 v[6:7], v[6:7], 0, v[0:1]
	flat_load_dwordx4 v[6:9], v[6:7]
	s_waitcnt vmcnt(0) lgkmcnt(0)
	ds_write2_b64 v4, v[6:7], v[8:9] offset1:1
.LBB188_3:
	s_or_b64 exec, exec, s[4:5]
	s_add_i32 s3, s26, -1
	s_ashr_i32 s4, s3, 31
	s_lshr_b32 s4, s4, 28
	s_add_i32 s3, s3, s4
	s_ashr_i32 s4, s3, 4
	s_and_b32 s3, s3, -16
	s_sub_i32 s3, s26, s3
	s_cmp_ge_i32 s2, s4
	s_cselect_b32 s3, s3, 16
	s_lshl_b32 s4, s2, 4
	v_cmp_gt_i32_e64 s[2:3], s3, v5
	s_ashr_i32 s5, s4, 31
	s_and_b64 s[2:3], vcc, s[2:3]
	s_and_saveexec_b64 s[8:9], s[2:3]
	s_cbranch_execz .LBB188_5
; %bb.4:
	s_lshl_b64 s[10:11], s[18:19], 4
	s_waitcnt lgkmcnt(0)
	s_add_u32 s12, s34, s10
	s_addc_u32 s13, s35, s11
	s_lshl_b64 s[10:11], s[4:5], 4
	s_add_u32 s10, s12, s10
	s_addc_u32 s11, s13, s11
	v_mad_u64_u32 v[6:7], s[12:13], s16, v2, 0
	v_mov_b32_e32 v8, v7
	v_mad_u64_u32 v[8:9], s[12:13], s17, v2, v[8:9]
	v_mov_b32_e32 v7, v8
	v_lshl_add_u64 v[6:7], v[6:7], 4, s[10:11]
	v_mov_b32_e32 v1, 0
	v_lshl_add_u64 v[6:7], v[6:7], 0, v[0:1]
	flat_load_dwordx4 v[6:9], v[6:7]
	v_add_u32_e32 v1, 0x1000, v4
	s_waitcnt vmcnt(0) lgkmcnt(0)
	ds_write2_b64 v1, v[6:7], v[8:9] offset1:1
.LBB188_5:
	s_or_b64 exec, exec, s[8:9]
	s_cmpk_eq_i32 s25, 0x84
	s_cselect_b64 s[8:9], -1, 0
	v_cmp_eq_u32_e32 vcc, v2, v5
	s_and_b64 s[10:11], vcc, s[8:9]
	s_and_saveexec_b64 s[8:9], s[10:11]
; %bb.6:
	v_mov_b32_e32 v6, 0
	v_mov_b32_e32 v7, 0x3ff00000
	;; [unrolled: 1-line block ×4, first 2 shown]
	ds_write_b128 v4, v[6:9]
; %bb.7:
	s_or_b64 exec, exec, s[8:9]
	s_cmpk_lg_i32 s24, 0x79
	s_cbranch_scc0 .LBB188_9
; %bb.8:
	v_cmp_lt_u32_e32 vcc, v5, v2
	s_and_b64 s[8:9], vcc, exec
	s_cbranch_execz .LBB188_10
	s_branch .LBB188_11
.LBB188_9:
	s_mov_b64 s[8:9], 0
.LBB188_10:
	v_cmp_gt_u32_e32 vcc, v5, v2
	s_andn2_b64 s[8:9], s[8:9], exec
	s_and_b64 s[10:11], vcc, exec
	s_or_b64 s[8:9], s[8:9], s[10:11]
.LBB188_11:
	s_and_saveexec_b64 s[10:11], s[8:9]
; %bb.12:
	v_mov_b32_e32 v6, 0
	v_mov_b32_e32 v7, v6
	;; [unrolled: 1-line block ×4, first 2 shown]
	ds_write_b128 v4, v[6:9]
; %bb.13:
	s_or_b64 exec, exec, s[10:11]
	s_waitcnt lgkmcnt(0)
	s_barrier
	s_and_saveexec_b64 s[8:9], s[2:3]
	s_cbranch_execz .LBB188_15
; %bb.14:
	ds_read_b128 v[4:7], v3
	ds_read_b128 v[8:11], v3 offset:256
	ds_read_b128 v[12:15], v0 offset:4096
	;; [unrolled: 1-line block ×3, first 2 shown]
	s_load_dwordx2 s[0:1], s[0:1], 0x60
	v_mov_b32_e32 v1, 0
	s_waitcnt lgkmcnt(0)
	v_mul_f64 v[20:21], v[4:5], v[14:15]
	v_fmac_f64_e32 v[20:21], v[6:7], v[12:13]
	v_add_f64 v[38:39], v[20:21], 0
	ds_read_b128 v[20:23], v3 offset:512
	ds_read_b128 v[24:27], v0 offset:4608
	v_mul_f64 v[36:37], v[8:9], v[18:19]
	v_fmac_f64_e32 v[36:37], v[10:11], v[16:17]
	ds_read_b128 v[28:31], v3 offset:768
	ds_read_b128 v[32:35], v0 offset:4864
	v_add_f64 v[36:37], v[38:39], v[36:37]
	s_waitcnt lgkmcnt(2)
	v_mul_f64 v[38:39], v[20:21], v[26:27]
	v_fmac_f64_e32 v[38:39], v[22:23], v[24:25]
	v_add_f64 v[52:53], v[36:37], v[38:39]
	ds_read_b128 v[36:39], v3 offset:1024
	ds_read_b128 v[40:43], v0 offset:5120
	;; [unrolled: 1-line block ×4, first 2 shown]
	s_waitcnt lgkmcnt(4)
	v_mul_f64 v[54:55], v[28:29], v[34:35]
	v_fmac_f64_e32 v[54:55], v[30:31], v[32:33]
	v_add_f64 v[52:53], v[52:53], v[54:55]
	s_waitcnt lgkmcnt(2)
	v_mul_f64 v[54:55], v[36:37], v[42:43]
	v_fmac_f64_e32 v[54:55], v[38:39], v[40:41]
	v_add_f64 v[52:53], v[52:53], v[54:55]
	s_waitcnt lgkmcnt(0)
	v_mul_f64 v[54:55], v[44:45], v[50:51]
	v_fmac_f64_e32 v[54:55], v[46:47], v[48:49]
	v_mul_f64 v[6:7], v[6:7], v[14:15]
	v_add_f64 v[56:57], v[52:53], v[54:55]
	ds_read_b128 v[52:55], v3 offset:1536
	v_fma_f64 v[58:59], v[4:5], v[12:13], -v[6:7]
	ds_read_b128 v[4:7], v0 offset:5632
	v_mul_f64 v[10:11], v[10:11], v[18:19]
	v_fma_f64 v[60:61], v[8:9], v[16:17], -v[10:11]
	ds_read_b128 v[8:11], v3 offset:1792
	ds_read_b128 v[12:15], v0 offset:5888
	v_add_f64 v[58:59], v[58:59], 0
	s_waitcnt lgkmcnt(2)
	v_mul_f64 v[16:17], v[52:53], v[6:7]
	v_fmac_f64_e32 v[16:17], v[54:55], v[4:5]
	v_add_f64 v[56:57], v[56:57], v[16:17]
	v_mul_f64 v[16:17], v[22:23], v[26:27]
	v_fma_f64 v[62:63], v[20:21], v[24:25], -v[16:17]
	v_mul_f64 v[20:21], v[30:31], v[34:35]
	ds_read_b128 v[16:19], v3 offset:2048
	v_fma_f64 v[66:67], v[28:29], v[32:33], -v[20:21]
	ds_read_b128 v[20:23], v0 offset:6144
	s_waitcnt lgkmcnt(2)
	v_mul_f64 v[64:65], v[8:9], v[14:15]
	v_fmac_f64_e32 v[64:65], v[10:11], v[12:13]
	v_mul_f64 v[24:25], v[38:39], v[42:43]
	v_add_f64 v[32:33], v[56:57], v[64:65]
	s_waitcnt lgkmcnt(0)
	v_mul_f64 v[34:35], v[16:17], v[22:23]
	v_fmac_f64_e32 v[34:35], v[18:19], v[20:21]
	v_fma_f64 v[68:69], v[36:37], v[40:41], -v[24:25]
	ds_read_b128 v[24:27], v3 offset:2304
	ds_read_b128 v[28:31], v0 offset:6400
	v_add_f64 v[40:41], v[32:33], v[34:35]
	v_mul_f64 v[32:33], v[46:47], v[50:51]
	v_fma_f64 v[56:57], v[44:45], v[48:49], -v[32:33]
	ds_read_b128 v[32:35], v0 offset:6656
	v_mul_f64 v[6:7], v[54:55], v[6:7]
	v_fma_f64 v[52:53], v[52:53], v[4:5], -v[6:7]
	ds_read_b128 v[4:7], v3 offset:2560
	ds_read_b128 v[36:39], v3 offset:2816
	s_waitcnt lgkmcnt(3)
	v_mul_f64 v[42:43], v[24:25], v[30:31]
	v_fmac_f64_e32 v[42:43], v[26:27], v[28:29]
	v_mul_f64 v[10:11], v[10:11], v[14:15]
	s_waitcnt lgkmcnt(1)
	v_mul_f64 v[14:15], v[4:5], v[34:35]
	v_fma_f64 v[54:55], v[8:9], v[12:13], -v[10:11]
	v_add_f64 v[12:13], v[40:41], v[42:43]
	v_fmac_f64_e32 v[14:15], v[6:7], v[32:33]
	ds_read_b128 v[8:11], v0 offset:6912
	v_add_f64 v[40:41], v[12:13], v[14:15]
	v_mul_f64 v[12:13], v[18:19], v[22:23]
	v_add_f64 v[58:59], v[58:59], v[60:61]
	v_fma_f64 v[64:65], v[16:17], v[20:21], -v[12:13]
	ds_read_b128 v[12:15], v3 offset:3072
	ds_read_b128 v[16:19], v0 offset:7168
	v_add_f64 v[58:59], v[58:59], v[62:63]
	v_add_f64 v[58:59], v[58:59], v[66:67]
	;; [unrolled: 1-line block ×4, first 2 shown]
	s_waitcnt lgkmcnt(2)
	v_mul_f64 v[42:43], v[36:37], v[10:11]
	v_mul_f64 v[20:21], v[26:27], v[30:31]
	v_add_f64 v[52:53], v[56:57], v[52:53]
	v_fmac_f64_e32 v[42:43], v[38:39], v[8:9]
	v_fma_f64 v[70:71], v[24:25], v[28:29], -v[20:21]
	ds_read_b128 v[20:23], v3 offset:3328
	ds_read_b128 v[24:27], v0 offset:7424
	s_waitcnt lgkmcnt(2)
	v_mul_f64 v[30:31], v[12:13], v[18:19]
	v_add_f64 v[52:53], v[52:53], v[54:55]
	v_add_f64 v[28:29], v[40:41], v[42:43]
	v_fmac_f64_e32 v[30:31], v[14:15], v[16:17]
	v_add_f64 v[52:53], v[52:53], v[64:65]
	v_mul_f64 v[6:7], v[6:7], v[34:35]
	v_add_f64 v[72:73], v[28:29], v[30:31]
	ds_read_b128 v[28:31], v3 offset:3584
	ds_read_b128 v[40:43], v0 offset:7680
	v_add_f64 v[52:53], v[52:53], v[70:71]
	v_fma_f64 v[4:5], v[4:5], v[32:33], -v[6:7]
	v_mul_f64 v[6:7], v[38:39], v[10:11]
	v_add_f64 v[4:5], v[52:53], v[4:5]
	v_fma_f64 v[6:7], v[36:37], v[8:9], -v[6:7]
	ds_read_b128 v[44:47], v3 offset:3840
	ds_read_b128 v[48:51], v0 offset:7936
	v_add_f64 v[4:5], v[4:5], v[6:7]
	v_mul_f64 v[6:7], v[14:15], v[18:19]
	s_waitcnt lgkmcnt(4)
	v_mul_f64 v[74:75], v[20:21], v[26:27]
	v_fma_f64 v[6:7], v[12:13], v[16:17], -v[6:7]
	v_fmac_f64_e32 v[74:75], v[22:23], v[24:25]
	v_add_f64 v[4:5], v[4:5], v[6:7]
	v_mul_f64 v[6:7], v[22:23], v[26:27]
	v_add_f64 v[72:73], v[72:73], v[74:75]
	s_waitcnt lgkmcnt(2)
	v_mul_f64 v[74:75], v[28:29], v[42:43]
	v_fma_f64 v[6:7], v[20:21], v[24:25], -v[6:7]
	v_fmac_f64_e32 v[74:75], v[30:31], v[40:41]
	v_add_f64 v[4:5], v[4:5], v[6:7]
	v_mul_f64 v[6:7], v[30:31], v[42:43]
	v_add_f64 v[72:73], v[72:73], v[74:75]
	s_waitcnt lgkmcnt(0)
	v_mul_f64 v[74:75], v[44:45], v[50:51]
	s_lshl_b64 s[0:1], s[0:1], 4
	v_fma_f64 v[6:7], v[28:29], v[40:41], -v[6:7]
	v_fmac_f64_e32 v[74:75], v[46:47], v[48:49]
	s_add_u32 s2, s14, s0
	v_add_f64 v[4:5], v[4:5], v[6:7]
	v_mul_f64 v[6:7], v[46:47], v[50:51]
	v_add_f64 v[72:73], v[72:73], v[74:75]
	s_addc_u32 s3, s15, s1
	s_lshl_b64 s[0:1], s[4:5], 4
	v_fma_f64 v[6:7], v[44:45], v[48:49], -v[6:7]
	s_add_u32 s0, s2, s0
	v_add_f64 v[4:5], v[4:5], v[6:7]
	v_mul_f64 v[6:7], s[20:21], v[72:73]
	v_mul_f64 v[8:9], s[22:23], v[72:73]
	s_addc_u32 s1, s3, s1
	v_fmac_f64_e32 v[6:7], s[22:23], v[4:5]
	v_fma_f64 v[4:5], s[20:21], v[4:5], -v[8:9]
	v_mad_u64_u32 v[8:9], s[2:3], s6, v2, 0
	v_mov_b32_e32 v10, v9
	v_mad_u64_u32 v[2:3], s[2:3], s7, v2, v[10:11]
	v_mov_b32_e32 v9, v2
	v_lshl_add_u64 v[2:3], v[8:9], 4, s[0:1]
	v_lshl_add_u64 v[0:1], v[2:3], 0, v[0:1]
	flat_store_dwordx4 v[0:1], v[4:7]
.LBB188_15:
	s_endpgm
	.section	.rodata,"a",@progbits
	.p2align	6, 0x0
	.amdhsa_kernel _ZL23rocblas_trmm_rTx_kernelILi16ELb0E19rocblas_complex_numIdEPKS1_KS3_KPS1_Ev13rocblas_fill_17rocblas_diagonal_iiT2_lPT3_llSB_llPT4_lli
		.amdhsa_group_segment_fixed_size 8192
		.amdhsa_private_segment_fixed_size 0
		.amdhsa_kernarg_size 108
		.amdhsa_user_sgpr_count 2
		.amdhsa_user_sgpr_dispatch_ptr 0
		.amdhsa_user_sgpr_queue_ptr 0
		.amdhsa_user_sgpr_kernarg_segment_ptr 1
		.amdhsa_user_sgpr_dispatch_id 0
		.amdhsa_user_sgpr_kernarg_preload_length 0
		.amdhsa_user_sgpr_kernarg_preload_offset 0
		.amdhsa_user_sgpr_private_segment_size 0
		.amdhsa_uses_dynamic_stack 0
		.amdhsa_enable_private_segment 0
		.amdhsa_system_sgpr_workgroup_id_x 1
		.amdhsa_system_sgpr_workgroup_id_y 0
		.amdhsa_system_sgpr_workgroup_id_z 1
		.amdhsa_system_sgpr_workgroup_info 0
		.amdhsa_system_vgpr_workitem_id 1
		.amdhsa_next_free_vgpr 76
		.amdhsa_next_free_sgpr 38
		.amdhsa_accum_offset 76
		.amdhsa_reserve_vcc 1
		.amdhsa_float_round_mode_32 0
		.amdhsa_float_round_mode_16_64 0
		.amdhsa_float_denorm_mode_32 3
		.amdhsa_float_denorm_mode_16_64 3
		.amdhsa_dx10_clamp 1
		.amdhsa_ieee_mode 1
		.amdhsa_fp16_overflow 0
		.amdhsa_tg_split 0
		.amdhsa_exception_fp_ieee_invalid_op 0
		.amdhsa_exception_fp_denorm_src 0
		.amdhsa_exception_fp_ieee_div_zero 0
		.amdhsa_exception_fp_ieee_overflow 0
		.amdhsa_exception_fp_ieee_underflow 0
		.amdhsa_exception_fp_ieee_inexact 0
		.amdhsa_exception_int_div_zero 0
	.end_amdhsa_kernel
	.section	.text._ZL23rocblas_trmm_rTx_kernelILi16ELb0E19rocblas_complex_numIdEPKS1_KS3_KPS1_Ev13rocblas_fill_17rocblas_diagonal_iiT2_lPT3_llSB_llPT4_lli,"axG",@progbits,_ZL23rocblas_trmm_rTx_kernelILi16ELb0E19rocblas_complex_numIdEPKS1_KS3_KPS1_Ev13rocblas_fill_17rocblas_diagonal_iiT2_lPT3_llSB_llPT4_lli,comdat
.Lfunc_end188:
	.size	_ZL23rocblas_trmm_rTx_kernelILi16ELb0E19rocblas_complex_numIdEPKS1_KS3_KPS1_Ev13rocblas_fill_17rocblas_diagonal_iiT2_lPT3_llSB_llPT4_lli, .Lfunc_end188-_ZL23rocblas_trmm_rTx_kernelILi16ELb0E19rocblas_complex_numIdEPKS1_KS3_KPS1_Ev13rocblas_fill_17rocblas_diagonal_iiT2_lPT3_llSB_llPT4_lli
                                        ; -- End function
	.set _ZL23rocblas_trmm_rTx_kernelILi16ELb0E19rocblas_complex_numIdEPKS1_KS3_KPS1_Ev13rocblas_fill_17rocblas_diagonal_iiT2_lPT3_llSB_llPT4_lli.num_vgpr, 76
	.set _ZL23rocblas_trmm_rTx_kernelILi16ELb0E19rocblas_complex_numIdEPKS1_KS3_KPS1_Ev13rocblas_fill_17rocblas_diagonal_iiT2_lPT3_llSB_llPT4_lli.num_agpr, 0
	.set _ZL23rocblas_trmm_rTx_kernelILi16ELb0E19rocblas_complex_numIdEPKS1_KS3_KPS1_Ev13rocblas_fill_17rocblas_diagonal_iiT2_lPT3_llSB_llPT4_lli.numbered_sgpr, 38
	.set _ZL23rocblas_trmm_rTx_kernelILi16ELb0E19rocblas_complex_numIdEPKS1_KS3_KPS1_Ev13rocblas_fill_17rocblas_diagonal_iiT2_lPT3_llSB_llPT4_lli.num_named_barrier, 0
	.set _ZL23rocblas_trmm_rTx_kernelILi16ELb0E19rocblas_complex_numIdEPKS1_KS3_KPS1_Ev13rocblas_fill_17rocblas_diagonal_iiT2_lPT3_llSB_llPT4_lli.private_seg_size, 0
	.set _ZL23rocblas_trmm_rTx_kernelILi16ELb0E19rocblas_complex_numIdEPKS1_KS3_KPS1_Ev13rocblas_fill_17rocblas_diagonal_iiT2_lPT3_llSB_llPT4_lli.uses_vcc, 1
	.set _ZL23rocblas_trmm_rTx_kernelILi16ELb0E19rocblas_complex_numIdEPKS1_KS3_KPS1_Ev13rocblas_fill_17rocblas_diagonal_iiT2_lPT3_llSB_llPT4_lli.uses_flat_scratch, 0
	.set _ZL23rocblas_trmm_rTx_kernelILi16ELb0E19rocblas_complex_numIdEPKS1_KS3_KPS1_Ev13rocblas_fill_17rocblas_diagonal_iiT2_lPT3_llSB_llPT4_lli.has_dyn_sized_stack, 0
	.set _ZL23rocblas_trmm_rTx_kernelILi16ELb0E19rocblas_complex_numIdEPKS1_KS3_KPS1_Ev13rocblas_fill_17rocblas_diagonal_iiT2_lPT3_llSB_llPT4_lli.has_recursion, 0
	.set _ZL23rocblas_trmm_rTx_kernelILi16ELb0E19rocblas_complex_numIdEPKS1_KS3_KPS1_Ev13rocblas_fill_17rocblas_diagonal_iiT2_lPT3_llSB_llPT4_lli.has_indirect_call, 0
	.section	.AMDGPU.csdata,"",@progbits
; Kernel info:
; codeLenInByte = 1784
; TotalNumSgprs: 44
; NumVgprs: 76
; NumAgprs: 0
; TotalNumVgprs: 76
; ScratchSize: 0
; MemoryBound: 0
; FloatMode: 240
; IeeeMode: 1
; LDSByteSize: 8192 bytes/workgroup (compile time only)
; SGPRBlocks: 5
; VGPRBlocks: 9
; NumSGPRsForWavesPerEU: 44
; NumVGPRsForWavesPerEU: 76
; AccumOffset: 76
; Occupancy: 6
; WaveLimiterHint : 1
; COMPUTE_PGM_RSRC2:SCRATCH_EN: 0
; COMPUTE_PGM_RSRC2:USER_SGPR: 2
; COMPUTE_PGM_RSRC2:TRAP_HANDLER: 0
; COMPUTE_PGM_RSRC2:TGID_X_EN: 1
; COMPUTE_PGM_RSRC2:TGID_Y_EN: 0
; COMPUTE_PGM_RSRC2:TGID_Z_EN: 1
; COMPUTE_PGM_RSRC2:TIDIG_COMP_CNT: 1
; COMPUTE_PGM_RSRC3_GFX90A:ACCUM_OFFSET: 18
; COMPUTE_PGM_RSRC3_GFX90A:TG_SPLIT: 0
	.section	.text._ZL23rocblas_trmm_rTx_kernelILi16ELb0E19rocblas_complex_numIdES1_KPKS1_KPS1_Ev13rocblas_fill_17rocblas_diagonal_iiT2_lPT3_llSB_llPT4_lli,"axG",@progbits,_ZL23rocblas_trmm_rTx_kernelILi16ELb0E19rocblas_complex_numIdES1_KPKS1_KPS1_Ev13rocblas_fill_17rocblas_diagonal_iiT2_lPT3_llSB_llPT4_lli,comdat
	.globl	_ZL23rocblas_trmm_rTx_kernelILi16ELb0E19rocblas_complex_numIdES1_KPKS1_KPS1_Ev13rocblas_fill_17rocblas_diagonal_iiT2_lPT3_llSB_llPT4_lli ; -- Begin function _ZL23rocblas_trmm_rTx_kernelILi16ELb0E19rocblas_complex_numIdES1_KPKS1_KPS1_Ev13rocblas_fill_17rocblas_diagonal_iiT2_lPT3_llSB_llPT4_lli
	.p2align	8
	.type	_ZL23rocblas_trmm_rTx_kernelILi16ELb0E19rocblas_complex_numIdES1_KPKS1_KPS1_Ev13rocblas_fill_17rocblas_diagonal_iiT2_lPT3_llSB_llPT4_lli,@function
_ZL23rocblas_trmm_rTx_kernelILi16ELb0E19rocblas_complex_numIdES1_KPKS1_KPS1_Ev13rocblas_fill_17rocblas_diagonal_iiT2_lPT3_llSB_llPT4_lli: ; @_ZL23rocblas_trmm_rTx_kernelILi16ELb0E19rocblas_complex_numIdES1_KPKS1_KPS1_Ev13rocblas_fill_17rocblas_diagonal_iiT2_lPT3_llSB_llPT4_lli
; %bb.0:
	s_load_dwordx4 s[24:27], s[0:1], 0x10
	s_waitcnt lgkmcnt(0)
	v_cmp_neq_f64_e64 s[6:7], s[24:25], 0
	v_cmp_neq_f64_e64 s[8:9], s[26:27], 0
	s_or_b64 s[6:7], s[6:7], s[8:9]
	s_andn2_b64 vcc, exec, s[6:7]
	s_cbranch_vccnz .LBB189_15
; %bb.1:
	s_load_dwordx4 s[28:31], s[0:1], 0x0
	s_load_dwordx16 s[8:23], s[0:1], 0x28
	s_mov_b32 s4, s3
	s_mov_b32 s5, 0
	s_lshl_b64 s[36:37], s[4:5], 3
	v_and_b32_e32 v5, 0x3ff, v0
	s_waitcnt lgkmcnt(0)
	s_add_u32 s6, s14, s36
	s_addc_u32 s7, s15, s37
	s_load_dwordx2 s[34:35], s[6:7], 0x0
	s_add_u32 s6, s20, s36
	s_addc_u32 s7, s21, s37
	s_load_dwordx2 s[14:15], s[6:7], 0x0
	s_mov_b32 s6, s5
	s_mov_b32 s7, s5
	v_bfe_u32 v2, v0, 10, 10
	s_mov_b32 s4, s5
	v_mov_b64_e32 v[8:9], s[6:7]
	v_lshlrev_b32_e32 v3, 4, v2
	v_mov_b64_e32 v[6:7], s[4:5]
	v_cmp_gt_i32_e32 vcc, s31, v2
	v_cmp_gt_i32_e64 s[4:5], s31, v5
	v_add_lshl_u32 v4, v3, v5, 4
	s_and_b64 s[6:7], vcc, s[4:5]
	v_lshlrev_b32_e32 v0, 4, v5
	ds_write_b128 v4, v[6:9]
	ds_write_b128 v4, v[6:9] offset:4096
	s_and_saveexec_b64 s[4:5], s[6:7]
	s_cbranch_execz .LBB189_3
; %bb.2:
	s_add_u32 s6, s8, s36
	s_addc_u32 s7, s9, s37
	s_load_dwordx2 s[6:7], s[6:7], 0x0
	v_mad_u64_u32 v[6:7], s[8:9], s10, v2, 0
	s_lshl_b64 s[8:9], s[12:13], 4
	v_mov_b32_e32 v8, v7
	s_waitcnt lgkmcnt(0)
	s_add_u32 s6, s6, s8
	s_addc_u32 s7, s7, s9
	v_mad_u64_u32 v[8:9], s[8:9], s11, v2, v[8:9]
	v_mov_b32_e32 v7, v8
	v_lshl_add_u64 v[6:7], v[6:7], 4, s[6:7]
	v_mov_b32_e32 v1, 0
	v_lshl_add_u64 v[6:7], v[6:7], 0, v[0:1]
	flat_load_dwordx4 v[6:9], v[6:7]
	s_waitcnt vmcnt(0) lgkmcnt(0)
	ds_write2_b64 v4, v[6:7], v[8:9] offset1:1
.LBB189_3:
	s_or_b64 exec, exec, s[4:5]
	s_add_i32 s3, s30, -1
	s_ashr_i32 s4, s3, 31
	s_lshr_b32 s4, s4, 28
	s_add_i32 s3, s3, s4
	s_ashr_i32 s4, s3, 4
	s_and_b32 s3, s3, -16
	s_sub_i32 s3, s30, s3
	s_cmp_ge_i32 s2, s4
	s_cselect_b32 s3, s3, 16
	s_lshl_b32 s4, s2, 4
	v_cmp_gt_i32_e64 s[2:3], s3, v5
	s_ashr_i32 s5, s4, 31
	s_and_b64 s[2:3], vcc, s[2:3]
	s_and_saveexec_b64 s[6:7], s[2:3]
	s_cbranch_execz .LBB189_5
; %bb.4:
	s_lshl_b64 s[8:9], s[18:19], 4
	s_waitcnt lgkmcnt(0)
	s_add_u32 s10, s34, s8
	s_addc_u32 s11, s35, s9
	s_lshl_b64 s[8:9], s[4:5], 4
	s_add_u32 s8, s10, s8
	s_addc_u32 s9, s11, s9
	v_mad_u64_u32 v[6:7], s[10:11], s16, v2, 0
	v_mov_b32_e32 v8, v7
	v_mad_u64_u32 v[8:9], s[10:11], s17, v2, v[8:9]
	v_mov_b32_e32 v7, v8
	v_lshl_add_u64 v[6:7], v[6:7], 4, s[8:9]
	v_mov_b32_e32 v1, 0
	v_lshl_add_u64 v[6:7], v[6:7], 0, v[0:1]
	flat_load_dwordx4 v[6:9], v[6:7]
	v_add_u32_e32 v1, 0x1000, v4
	s_waitcnt vmcnt(0) lgkmcnt(0)
	ds_write2_b64 v1, v[6:7], v[8:9] offset1:1
.LBB189_5:
	s_or_b64 exec, exec, s[6:7]
	s_cmpk_eq_i32 s29, 0x84
	s_cselect_b64 s[6:7], -1, 0
	v_cmp_eq_u32_e32 vcc, v2, v5
	s_and_b64 s[8:9], vcc, s[6:7]
	s_and_saveexec_b64 s[6:7], s[8:9]
; %bb.6:
	v_mov_b32_e32 v6, 0
	v_mov_b32_e32 v7, 0x3ff00000
	;; [unrolled: 1-line block ×4, first 2 shown]
	ds_write_b128 v4, v[6:9]
; %bb.7:
	s_or_b64 exec, exec, s[6:7]
	s_cmpk_lg_i32 s28, 0x79
	s_cbranch_scc0 .LBB189_9
; %bb.8:
	v_cmp_lt_u32_e32 vcc, v5, v2
	s_and_b64 s[6:7], vcc, exec
	s_cbranch_execz .LBB189_10
	s_branch .LBB189_11
.LBB189_9:
	s_mov_b64 s[6:7], 0
.LBB189_10:
	v_cmp_gt_u32_e32 vcc, v5, v2
	s_andn2_b64 s[6:7], s[6:7], exec
	s_and_b64 s[8:9], vcc, exec
	s_or_b64 s[6:7], s[6:7], s[8:9]
.LBB189_11:
	s_and_saveexec_b64 s[8:9], s[6:7]
; %bb.12:
	v_mov_b32_e32 v6, 0
	v_mov_b32_e32 v7, v6
	;; [unrolled: 1-line block ×4, first 2 shown]
	ds_write_b128 v4, v[6:9]
; %bb.13:
	s_or_b64 exec, exec, s[8:9]
	s_waitcnt lgkmcnt(0)
	s_barrier
	s_and_saveexec_b64 s[6:7], s[2:3]
	s_cbranch_execz .LBB189_15
; %bb.14:
	ds_read_b128 v[4:7], v3
	ds_read_b128 v[8:11], v3 offset:256
	ds_read_b128 v[12:15], v0 offset:4096
	;; [unrolled: 1-line block ×3, first 2 shown]
	s_load_dwordx2 s[0:1], s[0:1], 0x68
	v_mov_b32_e32 v1, 0
	s_waitcnt lgkmcnt(0)
	v_mul_f64 v[20:21], v[4:5], v[14:15]
	v_fmac_f64_e32 v[20:21], v[6:7], v[12:13]
	v_add_f64 v[38:39], v[20:21], 0
	ds_read_b128 v[20:23], v3 offset:512
	ds_read_b128 v[24:27], v0 offset:4608
	v_mul_f64 v[36:37], v[8:9], v[18:19]
	v_fmac_f64_e32 v[36:37], v[10:11], v[16:17]
	ds_read_b128 v[28:31], v3 offset:768
	ds_read_b128 v[32:35], v0 offset:4864
	v_add_f64 v[36:37], v[38:39], v[36:37]
	s_waitcnt lgkmcnt(2)
	v_mul_f64 v[38:39], v[20:21], v[26:27]
	v_fmac_f64_e32 v[38:39], v[22:23], v[24:25]
	v_add_f64 v[52:53], v[36:37], v[38:39]
	ds_read_b128 v[36:39], v3 offset:1024
	ds_read_b128 v[40:43], v0 offset:5120
	ds_read_b128 v[44:47], v3 offset:1280
	ds_read_b128 v[48:51], v0 offset:5376
	s_waitcnt lgkmcnt(4)
	v_mul_f64 v[54:55], v[28:29], v[34:35]
	v_fmac_f64_e32 v[54:55], v[30:31], v[32:33]
	v_add_f64 v[52:53], v[52:53], v[54:55]
	s_waitcnt lgkmcnt(2)
	v_mul_f64 v[54:55], v[36:37], v[42:43]
	v_fmac_f64_e32 v[54:55], v[38:39], v[40:41]
	v_add_f64 v[52:53], v[52:53], v[54:55]
	s_waitcnt lgkmcnt(0)
	v_mul_f64 v[54:55], v[44:45], v[50:51]
	v_fmac_f64_e32 v[54:55], v[46:47], v[48:49]
	v_mul_f64 v[6:7], v[6:7], v[14:15]
	v_add_f64 v[56:57], v[52:53], v[54:55]
	ds_read_b128 v[52:55], v3 offset:1536
	v_fma_f64 v[58:59], v[4:5], v[12:13], -v[6:7]
	ds_read_b128 v[4:7], v0 offset:5632
	v_mul_f64 v[10:11], v[10:11], v[18:19]
	v_fma_f64 v[60:61], v[8:9], v[16:17], -v[10:11]
	ds_read_b128 v[8:11], v3 offset:1792
	ds_read_b128 v[12:15], v0 offset:5888
	v_add_f64 v[58:59], v[58:59], 0
	s_waitcnt lgkmcnt(2)
	v_mul_f64 v[16:17], v[52:53], v[6:7]
	v_fmac_f64_e32 v[16:17], v[54:55], v[4:5]
	v_add_f64 v[56:57], v[56:57], v[16:17]
	v_mul_f64 v[16:17], v[22:23], v[26:27]
	v_fma_f64 v[62:63], v[20:21], v[24:25], -v[16:17]
	v_mul_f64 v[20:21], v[30:31], v[34:35]
	ds_read_b128 v[16:19], v3 offset:2048
	v_fma_f64 v[66:67], v[28:29], v[32:33], -v[20:21]
	ds_read_b128 v[20:23], v0 offset:6144
	s_waitcnt lgkmcnt(2)
	v_mul_f64 v[64:65], v[8:9], v[14:15]
	v_fmac_f64_e32 v[64:65], v[10:11], v[12:13]
	v_mul_f64 v[24:25], v[38:39], v[42:43]
	v_add_f64 v[32:33], v[56:57], v[64:65]
	s_waitcnt lgkmcnt(0)
	v_mul_f64 v[34:35], v[16:17], v[22:23]
	v_fmac_f64_e32 v[34:35], v[18:19], v[20:21]
	v_fma_f64 v[68:69], v[36:37], v[40:41], -v[24:25]
	ds_read_b128 v[24:27], v3 offset:2304
	ds_read_b128 v[28:31], v0 offset:6400
	v_add_f64 v[40:41], v[32:33], v[34:35]
	v_mul_f64 v[32:33], v[46:47], v[50:51]
	v_fma_f64 v[56:57], v[44:45], v[48:49], -v[32:33]
	ds_read_b128 v[32:35], v0 offset:6656
	v_mul_f64 v[6:7], v[54:55], v[6:7]
	v_fma_f64 v[52:53], v[52:53], v[4:5], -v[6:7]
	ds_read_b128 v[4:7], v3 offset:2560
	ds_read_b128 v[36:39], v3 offset:2816
	s_waitcnt lgkmcnt(3)
	v_mul_f64 v[42:43], v[24:25], v[30:31]
	v_fmac_f64_e32 v[42:43], v[26:27], v[28:29]
	v_mul_f64 v[10:11], v[10:11], v[14:15]
	s_waitcnt lgkmcnt(1)
	v_mul_f64 v[14:15], v[4:5], v[34:35]
	v_fma_f64 v[54:55], v[8:9], v[12:13], -v[10:11]
	v_add_f64 v[12:13], v[40:41], v[42:43]
	v_fmac_f64_e32 v[14:15], v[6:7], v[32:33]
	ds_read_b128 v[8:11], v0 offset:6912
	v_add_f64 v[40:41], v[12:13], v[14:15]
	v_mul_f64 v[12:13], v[18:19], v[22:23]
	v_add_f64 v[58:59], v[58:59], v[60:61]
	v_fma_f64 v[64:65], v[16:17], v[20:21], -v[12:13]
	ds_read_b128 v[12:15], v3 offset:3072
	ds_read_b128 v[16:19], v0 offset:7168
	v_add_f64 v[58:59], v[58:59], v[62:63]
	v_add_f64 v[58:59], v[58:59], v[66:67]
	;; [unrolled: 1-line block ×4, first 2 shown]
	s_waitcnt lgkmcnt(2)
	v_mul_f64 v[42:43], v[36:37], v[10:11]
	v_mul_f64 v[20:21], v[26:27], v[30:31]
	v_add_f64 v[52:53], v[56:57], v[52:53]
	v_fmac_f64_e32 v[42:43], v[38:39], v[8:9]
	v_fma_f64 v[70:71], v[24:25], v[28:29], -v[20:21]
	ds_read_b128 v[20:23], v3 offset:3328
	ds_read_b128 v[24:27], v0 offset:7424
	s_waitcnt lgkmcnt(2)
	v_mul_f64 v[30:31], v[12:13], v[18:19]
	v_add_f64 v[52:53], v[52:53], v[54:55]
	v_add_f64 v[28:29], v[40:41], v[42:43]
	v_fmac_f64_e32 v[30:31], v[14:15], v[16:17]
	v_add_f64 v[52:53], v[52:53], v[64:65]
	v_mul_f64 v[6:7], v[6:7], v[34:35]
	v_add_f64 v[72:73], v[28:29], v[30:31]
	ds_read_b128 v[28:31], v3 offset:3584
	ds_read_b128 v[40:43], v0 offset:7680
	v_add_f64 v[52:53], v[52:53], v[70:71]
	v_fma_f64 v[4:5], v[4:5], v[32:33], -v[6:7]
	v_mul_f64 v[6:7], v[38:39], v[10:11]
	v_add_f64 v[4:5], v[52:53], v[4:5]
	v_fma_f64 v[6:7], v[36:37], v[8:9], -v[6:7]
	ds_read_b128 v[44:47], v3 offset:3840
	ds_read_b128 v[48:51], v0 offset:7936
	v_add_f64 v[4:5], v[4:5], v[6:7]
	v_mul_f64 v[6:7], v[14:15], v[18:19]
	s_waitcnt lgkmcnt(4)
	v_mul_f64 v[74:75], v[20:21], v[26:27]
	v_fma_f64 v[6:7], v[12:13], v[16:17], -v[6:7]
	v_fmac_f64_e32 v[74:75], v[22:23], v[24:25]
	v_add_f64 v[4:5], v[4:5], v[6:7]
	v_mul_f64 v[6:7], v[22:23], v[26:27]
	v_add_f64 v[72:73], v[72:73], v[74:75]
	s_waitcnt lgkmcnt(2)
	v_mul_f64 v[74:75], v[28:29], v[42:43]
	v_fma_f64 v[6:7], v[20:21], v[24:25], -v[6:7]
	v_fmac_f64_e32 v[74:75], v[30:31], v[40:41]
	v_add_f64 v[4:5], v[4:5], v[6:7]
	v_mul_f64 v[6:7], v[30:31], v[42:43]
	v_add_f64 v[72:73], v[72:73], v[74:75]
	s_waitcnt lgkmcnt(0)
	v_mul_f64 v[74:75], v[44:45], v[50:51]
	s_lshl_b64 s[0:1], s[0:1], 4
	v_fma_f64 v[6:7], v[28:29], v[40:41], -v[6:7]
	v_fmac_f64_e32 v[74:75], v[46:47], v[48:49]
	s_add_u32 s2, s14, s0
	v_add_f64 v[4:5], v[4:5], v[6:7]
	v_mul_f64 v[6:7], v[46:47], v[50:51]
	v_add_f64 v[72:73], v[72:73], v[74:75]
	s_addc_u32 s3, s15, s1
	s_lshl_b64 s[0:1], s[4:5], 4
	v_fma_f64 v[6:7], v[44:45], v[48:49], -v[6:7]
	s_add_u32 s0, s2, s0
	v_add_f64 v[4:5], v[4:5], v[6:7]
	v_mul_f64 v[6:7], s[24:25], v[72:73]
	v_mul_f64 v[8:9], s[26:27], v[72:73]
	s_addc_u32 s1, s3, s1
	v_fmac_f64_e32 v[6:7], s[26:27], v[4:5]
	v_fma_f64 v[4:5], s[24:25], v[4:5], -v[8:9]
	v_mad_u64_u32 v[8:9], s[2:3], s22, v2, 0
	v_mov_b32_e32 v10, v9
	v_mad_u64_u32 v[2:3], s[2:3], s23, v2, v[10:11]
	v_mov_b32_e32 v9, v2
	v_lshl_add_u64 v[2:3], v[8:9], 4, s[0:1]
	v_lshl_add_u64 v[0:1], v[2:3], 0, v[0:1]
	flat_store_dwordx4 v[0:1], v[4:7]
.LBB189_15:
	s_endpgm
	.section	.rodata,"a",@progbits
	.p2align	6, 0x0
	.amdhsa_kernel _ZL23rocblas_trmm_rTx_kernelILi16ELb0E19rocblas_complex_numIdES1_KPKS1_KPS1_Ev13rocblas_fill_17rocblas_diagonal_iiT2_lPT3_llSB_llPT4_lli
		.amdhsa_group_segment_fixed_size 8192
		.amdhsa_private_segment_fixed_size 0
		.amdhsa_kernarg_size 116
		.amdhsa_user_sgpr_count 2
		.amdhsa_user_sgpr_dispatch_ptr 0
		.amdhsa_user_sgpr_queue_ptr 0
		.amdhsa_user_sgpr_kernarg_segment_ptr 1
		.amdhsa_user_sgpr_dispatch_id 0
		.amdhsa_user_sgpr_kernarg_preload_length 0
		.amdhsa_user_sgpr_kernarg_preload_offset 0
		.amdhsa_user_sgpr_private_segment_size 0
		.amdhsa_uses_dynamic_stack 0
		.amdhsa_enable_private_segment 0
		.amdhsa_system_sgpr_workgroup_id_x 1
		.amdhsa_system_sgpr_workgroup_id_y 0
		.amdhsa_system_sgpr_workgroup_id_z 1
		.amdhsa_system_sgpr_workgroup_info 0
		.amdhsa_system_vgpr_workitem_id 1
		.amdhsa_next_free_vgpr 76
		.amdhsa_next_free_sgpr 38
		.amdhsa_accum_offset 76
		.amdhsa_reserve_vcc 1
		.amdhsa_float_round_mode_32 0
		.amdhsa_float_round_mode_16_64 0
		.amdhsa_float_denorm_mode_32 3
		.amdhsa_float_denorm_mode_16_64 3
		.amdhsa_dx10_clamp 1
		.amdhsa_ieee_mode 1
		.amdhsa_fp16_overflow 0
		.amdhsa_tg_split 0
		.amdhsa_exception_fp_ieee_invalid_op 0
		.amdhsa_exception_fp_denorm_src 0
		.amdhsa_exception_fp_ieee_div_zero 0
		.amdhsa_exception_fp_ieee_overflow 0
		.amdhsa_exception_fp_ieee_underflow 0
		.amdhsa_exception_fp_ieee_inexact 0
		.amdhsa_exception_int_div_zero 0
	.end_amdhsa_kernel
	.section	.text._ZL23rocblas_trmm_rTx_kernelILi16ELb0E19rocblas_complex_numIdES1_KPKS1_KPS1_Ev13rocblas_fill_17rocblas_diagonal_iiT2_lPT3_llSB_llPT4_lli,"axG",@progbits,_ZL23rocblas_trmm_rTx_kernelILi16ELb0E19rocblas_complex_numIdES1_KPKS1_KPS1_Ev13rocblas_fill_17rocblas_diagonal_iiT2_lPT3_llSB_llPT4_lli,comdat
.Lfunc_end189:
	.size	_ZL23rocblas_trmm_rTx_kernelILi16ELb0E19rocblas_complex_numIdES1_KPKS1_KPS1_Ev13rocblas_fill_17rocblas_diagonal_iiT2_lPT3_llSB_llPT4_lli, .Lfunc_end189-_ZL23rocblas_trmm_rTx_kernelILi16ELb0E19rocblas_complex_numIdES1_KPKS1_KPS1_Ev13rocblas_fill_17rocblas_diagonal_iiT2_lPT3_llSB_llPT4_lli
                                        ; -- End function
	.set _ZL23rocblas_trmm_rTx_kernelILi16ELb0E19rocblas_complex_numIdES1_KPKS1_KPS1_Ev13rocblas_fill_17rocblas_diagonal_iiT2_lPT3_llSB_llPT4_lli.num_vgpr, 76
	.set _ZL23rocblas_trmm_rTx_kernelILi16ELb0E19rocblas_complex_numIdES1_KPKS1_KPS1_Ev13rocblas_fill_17rocblas_diagonal_iiT2_lPT3_llSB_llPT4_lli.num_agpr, 0
	.set _ZL23rocblas_trmm_rTx_kernelILi16ELb0E19rocblas_complex_numIdES1_KPKS1_KPS1_Ev13rocblas_fill_17rocblas_diagonal_iiT2_lPT3_llSB_llPT4_lli.numbered_sgpr, 38
	.set _ZL23rocblas_trmm_rTx_kernelILi16ELb0E19rocblas_complex_numIdES1_KPKS1_KPS1_Ev13rocblas_fill_17rocblas_diagonal_iiT2_lPT3_llSB_llPT4_lli.num_named_barrier, 0
	.set _ZL23rocblas_trmm_rTx_kernelILi16ELb0E19rocblas_complex_numIdES1_KPKS1_KPS1_Ev13rocblas_fill_17rocblas_diagonal_iiT2_lPT3_llSB_llPT4_lli.private_seg_size, 0
	.set _ZL23rocblas_trmm_rTx_kernelILi16ELb0E19rocblas_complex_numIdES1_KPKS1_KPS1_Ev13rocblas_fill_17rocblas_diagonal_iiT2_lPT3_llSB_llPT4_lli.uses_vcc, 1
	.set _ZL23rocblas_trmm_rTx_kernelILi16ELb0E19rocblas_complex_numIdES1_KPKS1_KPS1_Ev13rocblas_fill_17rocblas_diagonal_iiT2_lPT3_llSB_llPT4_lli.uses_flat_scratch, 0
	.set _ZL23rocblas_trmm_rTx_kernelILi16ELb0E19rocblas_complex_numIdES1_KPKS1_KPS1_Ev13rocblas_fill_17rocblas_diagonal_iiT2_lPT3_llSB_llPT4_lli.has_dyn_sized_stack, 0
	.set _ZL23rocblas_trmm_rTx_kernelILi16ELb0E19rocblas_complex_numIdES1_KPKS1_KPS1_Ev13rocblas_fill_17rocblas_diagonal_iiT2_lPT3_llSB_llPT4_lli.has_recursion, 0
	.set _ZL23rocblas_trmm_rTx_kernelILi16ELb0E19rocblas_complex_numIdES1_KPKS1_KPS1_Ev13rocblas_fill_17rocblas_diagonal_iiT2_lPT3_llSB_llPT4_lli.has_indirect_call, 0
	.section	.AMDGPU.csdata,"",@progbits
; Kernel info:
; codeLenInByte = 1744
; TotalNumSgprs: 44
; NumVgprs: 76
; NumAgprs: 0
; TotalNumVgprs: 76
; ScratchSize: 0
; MemoryBound: 0
; FloatMode: 240
; IeeeMode: 1
; LDSByteSize: 8192 bytes/workgroup (compile time only)
; SGPRBlocks: 5
; VGPRBlocks: 9
; NumSGPRsForWavesPerEU: 44
; NumVGPRsForWavesPerEU: 76
; AccumOffset: 76
; Occupancy: 6
; WaveLimiterHint : 1
; COMPUTE_PGM_RSRC2:SCRATCH_EN: 0
; COMPUTE_PGM_RSRC2:USER_SGPR: 2
; COMPUTE_PGM_RSRC2:TRAP_HANDLER: 0
; COMPUTE_PGM_RSRC2:TGID_X_EN: 1
; COMPUTE_PGM_RSRC2:TGID_Y_EN: 0
; COMPUTE_PGM_RSRC2:TGID_Z_EN: 1
; COMPUTE_PGM_RSRC2:TIDIG_COMP_CNT: 1
; COMPUTE_PGM_RSRC3_GFX90A:ACCUM_OFFSET: 18
; COMPUTE_PGM_RSRC3_GFX90A:TG_SPLIT: 0
	.section	.text._ZL23rocblas_trmm_rTx_kernelILi16ELb1E19rocblas_complex_numIdEPKS1_KS3_KPS1_Ev13rocblas_fill_17rocblas_diagonal_iiT2_lPT3_llSB_llPT4_lli,"axG",@progbits,_ZL23rocblas_trmm_rTx_kernelILi16ELb1E19rocblas_complex_numIdEPKS1_KS3_KPS1_Ev13rocblas_fill_17rocblas_diagonal_iiT2_lPT3_llSB_llPT4_lli,comdat
	.globl	_ZL23rocblas_trmm_rTx_kernelILi16ELb1E19rocblas_complex_numIdEPKS1_KS3_KPS1_Ev13rocblas_fill_17rocblas_diagonal_iiT2_lPT3_llSB_llPT4_lli ; -- Begin function _ZL23rocblas_trmm_rTx_kernelILi16ELb1E19rocblas_complex_numIdEPKS1_KS3_KPS1_Ev13rocblas_fill_17rocblas_diagonal_iiT2_lPT3_llSB_llPT4_lli
	.p2align	8
	.type	_ZL23rocblas_trmm_rTx_kernelILi16ELb1E19rocblas_complex_numIdEPKS1_KS3_KPS1_Ev13rocblas_fill_17rocblas_diagonal_iiT2_lPT3_llSB_llPT4_lli,@function
_ZL23rocblas_trmm_rTx_kernelILi16ELb1E19rocblas_complex_numIdEPKS1_KS3_KPS1_Ev13rocblas_fill_17rocblas_diagonal_iiT2_lPT3_llSB_llPT4_lli: ; @_ZL23rocblas_trmm_rTx_kernelILi16ELb1E19rocblas_complex_numIdEPKS1_KS3_KPS1_Ev13rocblas_fill_17rocblas_diagonal_iiT2_lPT3_llSB_llPT4_lli
; %bb.0:
	s_load_dwordx16 s[4:19], s[0:1], 0x10
	s_mov_b32 s28, s3
	s_waitcnt lgkmcnt(0)
	s_mul_i32 s3, s7, s3
	s_mul_hi_u32 s7, s6, s28
	s_add_i32 s7, s7, s3
	s_mul_i32 s6, s6, s28
	s_lshl_b64 s[6:7], s[6:7], 4
	s_add_u32 s4, s4, s6
	s_addc_u32 s5, s5, s7
	s_load_dwordx4 s[20:23], s[4:5], 0x0
	s_waitcnt lgkmcnt(0)
	v_cmp_neq_f64_e64 s[4:5], s[20:21], 0
	v_cmp_neq_f64_e64 s[6:7], s[22:23], 0
	s_or_b64 s[4:5], s[4:5], s[6:7]
	s_andn2_b64 vcc, exec, s[4:5]
	s_cbranch_vccnz .LBB190_15
; %bb.1:
	s_load_dwordx4 s[24:27], s[0:1], 0x0
	s_load_dwordx4 s[4:7], s[0:1], 0x50
	s_mov_b32 s29, 0
	s_lshl_b64 s[36:37], s[28:29], 3
	s_add_u32 s14, s14, s36
	s_addc_u32 s15, s15, s37
	s_waitcnt lgkmcnt(0)
	s_add_u32 s4, s4, s36
	s_addc_u32 s5, s5, s37
	s_load_dwordx2 s[34:35], s[14:15], 0x0
	v_and_b32_e32 v5, 0x3ff, v0
	s_load_dwordx2 s[14:15], s[4:5], 0x0
	v_bfe_u32 v2, v0, 10, 10
	s_mov_b32 s28, s29
	v_lshlrev_b32_e32 v3, 4, v2
	s_mov_b32 s30, s29
	s_mov_b32 s31, s29
	v_mov_b64_e32 v[6:7], s[28:29]
	v_cmp_gt_i32_e32 vcc, s27, v2
	v_cmp_gt_i32_e64 s[4:5], s27, v5
	v_add_lshl_u32 v4, v3, v5, 4
	v_mov_b64_e32 v[8:9], s[30:31]
	s_and_b64 s[28:29], vcc, s[4:5]
	v_lshlrev_b32_e32 v0, 4, v5
	ds_write_b128 v4, v[6:9]
	ds_write_b128 v4, v[6:9] offset:4096
	s_and_saveexec_b64 s[4:5], s[28:29]
	s_cbranch_execz .LBB190_3
; %bb.2:
	s_add_u32 s8, s8, s36
	s_addc_u32 s9, s9, s37
	s_load_dwordx2 s[8:9], s[8:9], 0x0
	v_mad_u64_u32 v[6:7], s[28:29], s10, v2, 0
	s_lshl_b64 s[12:13], s[12:13], 4
	v_mov_b32_e32 v8, v7
	s_waitcnt lgkmcnt(0)
	s_add_u32 s8, s8, s12
	v_mad_u64_u32 v[8:9], s[10:11], s11, v2, v[8:9]
	s_addc_u32 s9, s9, s13
	v_mov_b32_e32 v7, v8
	v_lshl_add_u64 v[6:7], v[6:7], 4, s[8:9]
	v_mov_b32_e32 v1, 0
	v_lshl_add_u64 v[6:7], v[6:7], 0, v[0:1]
	flat_load_dwordx4 v[6:9], v[6:7]
	s_waitcnt vmcnt(0) lgkmcnt(0)
	v_xor_b32_e32 v9, 0x80000000, v9
	ds_write_b128 v4, v[6:9]
.LBB190_3:
	s_or_b64 exec, exec, s[4:5]
	s_add_i32 s3, s26, -1
	s_ashr_i32 s4, s3, 31
	s_lshr_b32 s4, s4, 28
	s_add_i32 s3, s3, s4
	s_ashr_i32 s4, s3, 4
	s_and_b32 s3, s3, -16
	s_sub_i32 s3, s26, s3
	s_cmp_ge_i32 s2, s4
	s_cselect_b32 s3, s3, 16
	s_lshl_b32 s4, s2, 4
	v_cmp_gt_i32_e64 s[2:3], s3, v5
	s_ashr_i32 s5, s4, 31
	s_and_b64 s[2:3], vcc, s[2:3]
	s_and_saveexec_b64 s[8:9], s[2:3]
	s_cbranch_execz .LBB190_5
; %bb.4:
	s_lshl_b64 s[10:11], s[18:19], 4
	s_waitcnt lgkmcnt(0)
	s_add_u32 s12, s34, s10
	s_addc_u32 s13, s35, s11
	s_lshl_b64 s[10:11], s[4:5], 4
	s_add_u32 s10, s12, s10
	s_addc_u32 s11, s13, s11
	v_mad_u64_u32 v[6:7], s[12:13], s16, v2, 0
	v_mov_b32_e32 v8, v7
	v_mad_u64_u32 v[8:9], s[12:13], s17, v2, v[8:9]
	v_mov_b32_e32 v7, v8
	v_lshl_add_u64 v[6:7], v[6:7], 4, s[10:11]
	v_mov_b32_e32 v1, 0
	v_lshl_add_u64 v[6:7], v[6:7], 0, v[0:1]
	flat_load_dwordx4 v[6:9], v[6:7]
	v_add_u32_e32 v1, 0x1000, v4
	s_waitcnt vmcnt(0) lgkmcnt(0)
	ds_write2_b64 v1, v[6:7], v[8:9] offset1:1
.LBB190_5:
	s_or_b64 exec, exec, s[8:9]
	s_cmpk_eq_i32 s25, 0x84
	s_cselect_b64 s[8:9], -1, 0
	v_cmp_eq_u32_e32 vcc, v2, v5
	s_and_b64 s[10:11], vcc, s[8:9]
	s_and_saveexec_b64 s[8:9], s[10:11]
; %bb.6:
	v_mov_b32_e32 v6, 0
	v_mov_b32_e32 v7, 0x3ff00000
	;; [unrolled: 1-line block ×4, first 2 shown]
	ds_write_b128 v4, v[6:9]
; %bb.7:
	s_or_b64 exec, exec, s[8:9]
	s_cmpk_lg_i32 s24, 0x79
	s_cbranch_scc0 .LBB190_9
; %bb.8:
	v_cmp_lt_u32_e32 vcc, v5, v2
	s_and_b64 s[8:9], vcc, exec
	s_cbranch_execz .LBB190_10
	s_branch .LBB190_11
.LBB190_9:
	s_mov_b64 s[8:9], 0
.LBB190_10:
	v_cmp_gt_u32_e32 vcc, v5, v2
	s_andn2_b64 s[8:9], s[8:9], exec
	s_and_b64 s[10:11], vcc, exec
	s_or_b64 s[8:9], s[8:9], s[10:11]
.LBB190_11:
	s_and_saveexec_b64 s[10:11], s[8:9]
; %bb.12:
	v_mov_b32_e32 v6, 0
	v_mov_b32_e32 v7, v6
	;; [unrolled: 1-line block ×4, first 2 shown]
	ds_write_b128 v4, v[6:9]
; %bb.13:
	s_or_b64 exec, exec, s[10:11]
	s_waitcnt lgkmcnt(0)
	s_barrier
	s_and_saveexec_b64 s[8:9], s[2:3]
	s_cbranch_execz .LBB190_15
; %bb.14:
	ds_read_b128 v[4:7], v3
	ds_read_b128 v[8:11], v3 offset:256
	ds_read_b128 v[12:15], v0 offset:4096
	ds_read_b128 v[16:19], v0 offset:4352
	s_load_dwordx2 s[0:1], s[0:1], 0x60
	v_mov_b32_e32 v1, 0
	s_waitcnt lgkmcnt(0)
	v_mul_f64 v[20:21], v[4:5], v[14:15]
	v_fmac_f64_e32 v[20:21], v[6:7], v[12:13]
	v_add_f64 v[38:39], v[20:21], 0
	ds_read_b128 v[20:23], v3 offset:512
	ds_read_b128 v[24:27], v0 offset:4608
	v_mul_f64 v[36:37], v[8:9], v[18:19]
	v_fmac_f64_e32 v[36:37], v[10:11], v[16:17]
	ds_read_b128 v[28:31], v3 offset:768
	ds_read_b128 v[32:35], v0 offset:4864
	v_add_f64 v[36:37], v[38:39], v[36:37]
	s_waitcnt lgkmcnt(2)
	v_mul_f64 v[38:39], v[20:21], v[26:27]
	v_fmac_f64_e32 v[38:39], v[22:23], v[24:25]
	v_add_f64 v[52:53], v[36:37], v[38:39]
	ds_read_b128 v[36:39], v3 offset:1024
	ds_read_b128 v[40:43], v0 offset:5120
	;; [unrolled: 1-line block ×4, first 2 shown]
	s_waitcnt lgkmcnt(4)
	v_mul_f64 v[54:55], v[28:29], v[34:35]
	v_fmac_f64_e32 v[54:55], v[30:31], v[32:33]
	v_add_f64 v[52:53], v[52:53], v[54:55]
	s_waitcnt lgkmcnt(2)
	v_mul_f64 v[54:55], v[36:37], v[42:43]
	v_fmac_f64_e32 v[54:55], v[38:39], v[40:41]
	v_add_f64 v[52:53], v[52:53], v[54:55]
	s_waitcnt lgkmcnt(0)
	v_mul_f64 v[54:55], v[44:45], v[50:51]
	v_fmac_f64_e32 v[54:55], v[46:47], v[48:49]
	v_mul_f64 v[6:7], v[6:7], v[14:15]
	v_add_f64 v[56:57], v[52:53], v[54:55]
	ds_read_b128 v[52:55], v3 offset:1536
	v_fma_f64 v[58:59], v[4:5], v[12:13], -v[6:7]
	ds_read_b128 v[4:7], v0 offset:5632
	v_mul_f64 v[10:11], v[10:11], v[18:19]
	v_fma_f64 v[60:61], v[8:9], v[16:17], -v[10:11]
	ds_read_b128 v[8:11], v3 offset:1792
	ds_read_b128 v[12:15], v0 offset:5888
	v_add_f64 v[58:59], v[58:59], 0
	s_waitcnt lgkmcnt(2)
	v_mul_f64 v[16:17], v[52:53], v[6:7]
	v_fmac_f64_e32 v[16:17], v[54:55], v[4:5]
	v_add_f64 v[56:57], v[56:57], v[16:17]
	v_mul_f64 v[16:17], v[22:23], v[26:27]
	v_fma_f64 v[62:63], v[20:21], v[24:25], -v[16:17]
	v_mul_f64 v[20:21], v[30:31], v[34:35]
	ds_read_b128 v[16:19], v3 offset:2048
	v_fma_f64 v[66:67], v[28:29], v[32:33], -v[20:21]
	ds_read_b128 v[20:23], v0 offset:6144
	s_waitcnt lgkmcnt(2)
	v_mul_f64 v[64:65], v[8:9], v[14:15]
	v_fmac_f64_e32 v[64:65], v[10:11], v[12:13]
	v_mul_f64 v[24:25], v[38:39], v[42:43]
	v_add_f64 v[32:33], v[56:57], v[64:65]
	s_waitcnt lgkmcnt(0)
	v_mul_f64 v[34:35], v[16:17], v[22:23]
	v_fmac_f64_e32 v[34:35], v[18:19], v[20:21]
	v_fma_f64 v[68:69], v[36:37], v[40:41], -v[24:25]
	ds_read_b128 v[24:27], v3 offset:2304
	ds_read_b128 v[28:31], v0 offset:6400
	v_add_f64 v[40:41], v[32:33], v[34:35]
	v_mul_f64 v[32:33], v[46:47], v[50:51]
	v_fma_f64 v[56:57], v[44:45], v[48:49], -v[32:33]
	ds_read_b128 v[32:35], v0 offset:6656
	v_mul_f64 v[6:7], v[54:55], v[6:7]
	v_fma_f64 v[52:53], v[52:53], v[4:5], -v[6:7]
	ds_read_b128 v[4:7], v3 offset:2560
	ds_read_b128 v[36:39], v3 offset:2816
	s_waitcnt lgkmcnt(3)
	v_mul_f64 v[42:43], v[24:25], v[30:31]
	v_fmac_f64_e32 v[42:43], v[26:27], v[28:29]
	v_mul_f64 v[10:11], v[10:11], v[14:15]
	s_waitcnt lgkmcnt(1)
	v_mul_f64 v[14:15], v[4:5], v[34:35]
	v_fma_f64 v[54:55], v[8:9], v[12:13], -v[10:11]
	v_add_f64 v[12:13], v[40:41], v[42:43]
	v_fmac_f64_e32 v[14:15], v[6:7], v[32:33]
	ds_read_b128 v[8:11], v0 offset:6912
	v_add_f64 v[40:41], v[12:13], v[14:15]
	v_mul_f64 v[12:13], v[18:19], v[22:23]
	v_add_f64 v[58:59], v[58:59], v[60:61]
	v_fma_f64 v[64:65], v[16:17], v[20:21], -v[12:13]
	ds_read_b128 v[12:15], v3 offset:3072
	ds_read_b128 v[16:19], v0 offset:7168
	v_add_f64 v[58:59], v[58:59], v[62:63]
	v_add_f64 v[58:59], v[58:59], v[66:67]
	;; [unrolled: 1-line block ×4, first 2 shown]
	s_waitcnt lgkmcnt(2)
	v_mul_f64 v[42:43], v[36:37], v[10:11]
	v_mul_f64 v[20:21], v[26:27], v[30:31]
	v_add_f64 v[52:53], v[56:57], v[52:53]
	v_fmac_f64_e32 v[42:43], v[38:39], v[8:9]
	v_fma_f64 v[70:71], v[24:25], v[28:29], -v[20:21]
	ds_read_b128 v[20:23], v3 offset:3328
	ds_read_b128 v[24:27], v0 offset:7424
	s_waitcnt lgkmcnt(2)
	v_mul_f64 v[30:31], v[12:13], v[18:19]
	v_add_f64 v[52:53], v[52:53], v[54:55]
	v_add_f64 v[28:29], v[40:41], v[42:43]
	v_fmac_f64_e32 v[30:31], v[14:15], v[16:17]
	v_add_f64 v[52:53], v[52:53], v[64:65]
	v_mul_f64 v[6:7], v[6:7], v[34:35]
	v_add_f64 v[72:73], v[28:29], v[30:31]
	ds_read_b128 v[28:31], v3 offset:3584
	ds_read_b128 v[40:43], v0 offset:7680
	v_add_f64 v[52:53], v[52:53], v[70:71]
	v_fma_f64 v[4:5], v[4:5], v[32:33], -v[6:7]
	v_mul_f64 v[6:7], v[38:39], v[10:11]
	v_add_f64 v[4:5], v[52:53], v[4:5]
	v_fma_f64 v[6:7], v[36:37], v[8:9], -v[6:7]
	ds_read_b128 v[44:47], v3 offset:3840
	ds_read_b128 v[48:51], v0 offset:7936
	v_add_f64 v[4:5], v[4:5], v[6:7]
	v_mul_f64 v[6:7], v[14:15], v[18:19]
	s_waitcnt lgkmcnt(4)
	v_mul_f64 v[74:75], v[20:21], v[26:27]
	v_fma_f64 v[6:7], v[12:13], v[16:17], -v[6:7]
	v_fmac_f64_e32 v[74:75], v[22:23], v[24:25]
	v_add_f64 v[4:5], v[4:5], v[6:7]
	v_mul_f64 v[6:7], v[22:23], v[26:27]
	v_add_f64 v[72:73], v[72:73], v[74:75]
	s_waitcnt lgkmcnt(2)
	v_mul_f64 v[74:75], v[28:29], v[42:43]
	v_fma_f64 v[6:7], v[20:21], v[24:25], -v[6:7]
	v_fmac_f64_e32 v[74:75], v[30:31], v[40:41]
	v_add_f64 v[4:5], v[4:5], v[6:7]
	v_mul_f64 v[6:7], v[30:31], v[42:43]
	v_add_f64 v[72:73], v[72:73], v[74:75]
	s_waitcnt lgkmcnt(0)
	v_mul_f64 v[74:75], v[44:45], v[50:51]
	s_lshl_b64 s[0:1], s[0:1], 4
	v_fma_f64 v[6:7], v[28:29], v[40:41], -v[6:7]
	v_fmac_f64_e32 v[74:75], v[46:47], v[48:49]
	s_add_u32 s2, s14, s0
	v_add_f64 v[4:5], v[4:5], v[6:7]
	v_mul_f64 v[6:7], v[46:47], v[50:51]
	v_add_f64 v[72:73], v[72:73], v[74:75]
	s_addc_u32 s3, s15, s1
	s_lshl_b64 s[0:1], s[4:5], 4
	v_fma_f64 v[6:7], v[44:45], v[48:49], -v[6:7]
	s_add_u32 s0, s2, s0
	v_add_f64 v[4:5], v[4:5], v[6:7]
	v_mul_f64 v[6:7], s[20:21], v[72:73]
	v_mul_f64 v[8:9], s[22:23], v[72:73]
	s_addc_u32 s1, s3, s1
	v_fmac_f64_e32 v[6:7], s[22:23], v[4:5]
	v_fma_f64 v[4:5], s[20:21], v[4:5], -v[8:9]
	v_mad_u64_u32 v[8:9], s[2:3], s6, v2, 0
	v_mov_b32_e32 v10, v9
	v_mad_u64_u32 v[2:3], s[2:3], s7, v2, v[10:11]
	v_mov_b32_e32 v9, v2
	v_lshl_add_u64 v[2:3], v[8:9], 4, s[0:1]
	v_lshl_add_u64 v[0:1], v[2:3], 0, v[0:1]
	flat_store_dwordx4 v[0:1], v[4:7]
.LBB190_15:
	s_endpgm
	.section	.rodata,"a",@progbits
	.p2align	6, 0x0
	.amdhsa_kernel _ZL23rocblas_trmm_rTx_kernelILi16ELb1E19rocblas_complex_numIdEPKS1_KS3_KPS1_Ev13rocblas_fill_17rocblas_diagonal_iiT2_lPT3_llSB_llPT4_lli
		.amdhsa_group_segment_fixed_size 8192
		.amdhsa_private_segment_fixed_size 0
		.amdhsa_kernarg_size 108
		.amdhsa_user_sgpr_count 2
		.amdhsa_user_sgpr_dispatch_ptr 0
		.amdhsa_user_sgpr_queue_ptr 0
		.amdhsa_user_sgpr_kernarg_segment_ptr 1
		.amdhsa_user_sgpr_dispatch_id 0
		.amdhsa_user_sgpr_kernarg_preload_length 0
		.amdhsa_user_sgpr_kernarg_preload_offset 0
		.amdhsa_user_sgpr_private_segment_size 0
		.amdhsa_uses_dynamic_stack 0
		.amdhsa_enable_private_segment 0
		.amdhsa_system_sgpr_workgroup_id_x 1
		.amdhsa_system_sgpr_workgroup_id_y 0
		.amdhsa_system_sgpr_workgroup_id_z 1
		.amdhsa_system_sgpr_workgroup_info 0
		.amdhsa_system_vgpr_workitem_id 1
		.amdhsa_next_free_vgpr 76
		.amdhsa_next_free_sgpr 38
		.amdhsa_accum_offset 76
		.amdhsa_reserve_vcc 1
		.amdhsa_float_round_mode_32 0
		.amdhsa_float_round_mode_16_64 0
		.amdhsa_float_denorm_mode_32 3
		.amdhsa_float_denorm_mode_16_64 3
		.amdhsa_dx10_clamp 1
		.amdhsa_ieee_mode 1
		.amdhsa_fp16_overflow 0
		.amdhsa_tg_split 0
		.amdhsa_exception_fp_ieee_invalid_op 0
		.amdhsa_exception_fp_denorm_src 0
		.amdhsa_exception_fp_ieee_div_zero 0
		.amdhsa_exception_fp_ieee_overflow 0
		.amdhsa_exception_fp_ieee_underflow 0
		.amdhsa_exception_fp_ieee_inexact 0
		.amdhsa_exception_int_div_zero 0
	.end_amdhsa_kernel
	.section	.text._ZL23rocblas_trmm_rTx_kernelILi16ELb1E19rocblas_complex_numIdEPKS1_KS3_KPS1_Ev13rocblas_fill_17rocblas_diagonal_iiT2_lPT3_llSB_llPT4_lli,"axG",@progbits,_ZL23rocblas_trmm_rTx_kernelILi16ELb1E19rocblas_complex_numIdEPKS1_KS3_KPS1_Ev13rocblas_fill_17rocblas_diagonal_iiT2_lPT3_llSB_llPT4_lli,comdat
.Lfunc_end190:
	.size	_ZL23rocblas_trmm_rTx_kernelILi16ELb1E19rocblas_complex_numIdEPKS1_KS3_KPS1_Ev13rocblas_fill_17rocblas_diagonal_iiT2_lPT3_llSB_llPT4_lli, .Lfunc_end190-_ZL23rocblas_trmm_rTx_kernelILi16ELb1E19rocblas_complex_numIdEPKS1_KS3_KPS1_Ev13rocblas_fill_17rocblas_diagonal_iiT2_lPT3_llSB_llPT4_lli
                                        ; -- End function
	.set _ZL23rocblas_trmm_rTx_kernelILi16ELb1E19rocblas_complex_numIdEPKS1_KS3_KPS1_Ev13rocblas_fill_17rocblas_diagonal_iiT2_lPT3_llSB_llPT4_lli.num_vgpr, 76
	.set _ZL23rocblas_trmm_rTx_kernelILi16ELb1E19rocblas_complex_numIdEPKS1_KS3_KPS1_Ev13rocblas_fill_17rocblas_diagonal_iiT2_lPT3_llSB_llPT4_lli.num_agpr, 0
	.set _ZL23rocblas_trmm_rTx_kernelILi16ELb1E19rocblas_complex_numIdEPKS1_KS3_KPS1_Ev13rocblas_fill_17rocblas_diagonal_iiT2_lPT3_llSB_llPT4_lli.numbered_sgpr, 38
	.set _ZL23rocblas_trmm_rTx_kernelILi16ELb1E19rocblas_complex_numIdEPKS1_KS3_KPS1_Ev13rocblas_fill_17rocblas_diagonal_iiT2_lPT3_llSB_llPT4_lli.num_named_barrier, 0
	.set _ZL23rocblas_trmm_rTx_kernelILi16ELb1E19rocblas_complex_numIdEPKS1_KS3_KPS1_Ev13rocblas_fill_17rocblas_diagonal_iiT2_lPT3_llSB_llPT4_lli.private_seg_size, 0
	.set _ZL23rocblas_trmm_rTx_kernelILi16ELb1E19rocblas_complex_numIdEPKS1_KS3_KPS1_Ev13rocblas_fill_17rocblas_diagonal_iiT2_lPT3_llSB_llPT4_lli.uses_vcc, 1
	.set _ZL23rocblas_trmm_rTx_kernelILi16ELb1E19rocblas_complex_numIdEPKS1_KS3_KPS1_Ev13rocblas_fill_17rocblas_diagonal_iiT2_lPT3_llSB_llPT4_lli.uses_flat_scratch, 0
	.set _ZL23rocblas_trmm_rTx_kernelILi16ELb1E19rocblas_complex_numIdEPKS1_KS3_KPS1_Ev13rocblas_fill_17rocblas_diagonal_iiT2_lPT3_llSB_llPT4_lli.has_dyn_sized_stack, 0
	.set _ZL23rocblas_trmm_rTx_kernelILi16ELb1E19rocblas_complex_numIdEPKS1_KS3_KPS1_Ev13rocblas_fill_17rocblas_diagonal_iiT2_lPT3_llSB_llPT4_lli.has_recursion, 0
	.set _ZL23rocblas_trmm_rTx_kernelILi16ELb1E19rocblas_complex_numIdEPKS1_KS3_KPS1_Ev13rocblas_fill_17rocblas_diagonal_iiT2_lPT3_llSB_llPT4_lli.has_indirect_call, 0
	.section	.AMDGPU.csdata,"",@progbits
; Kernel info:
; codeLenInByte = 1792
; TotalNumSgprs: 44
; NumVgprs: 76
; NumAgprs: 0
; TotalNumVgprs: 76
; ScratchSize: 0
; MemoryBound: 0
; FloatMode: 240
; IeeeMode: 1
; LDSByteSize: 8192 bytes/workgroup (compile time only)
; SGPRBlocks: 5
; VGPRBlocks: 9
; NumSGPRsForWavesPerEU: 44
; NumVGPRsForWavesPerEU: 76
; AccumOffset: 76
; Occupancy: 6
; WaveLimiterHint : 1
; COMPUTE_PGM_RSRC2:SCRATCH_EN: 0
; COMPUTE_PGM_RSRC2:USER_SGPR: 2
; COMPUTE_PGM_RSRC2:TRAP_HANDLER: 0
; COMPUTE_PGM_RSRC2:TGID_X_EN: 1
; COMPUTE_PGM_RSRC2:TGID_Y_EN: 0
; COMPUTE_PGM_RSRC2:TGID_Z_EN: 1
; COMPUTE_PGM_RSRC2:TIDIG_COMP_CNT: 1
; COMPUTE_PGM_RSRC3_GFX90A:ACCUM_OFFSET: 18
; COMPUTE_PGM_RSRC3_GFX90A:TG_SPLIT: 0
	.section	.text._ZL23rocblas_trmm_rTx_kernelILi16ELb1E19rocblas_complex_numIdES1_KPKS1_KPS1_Ev13rocblas_fill_17rocblas_diagonal_iiT2_lPT3_llSB_llPT4_lli,"axG",@progbits,_ZL23rocblas_trmm_rTx_kernelILi16ELb1E19rocblas_complex_numIdES1_KPKS1_KPS1_Ev13rocblas_fill_17rocblas_diagonal_iiT2_lPT3_llSB_llPT4_lli,comdat
	.globl	_ZL23rocblas_trmm_rTx_kernelILi16ELb1E19rocblas_complex_numIdES1_KPKS1_KPS1_Ev13rocblas_fill_17rocblas_diagonal_iiT2_lPT3_llSB_llPT4_lli ; -- Begin function _ZL23rocblas_trmm_rTx_kernelILi16ELb1E19rocblas_complex_numIdES1_KPKS1_KPS1_Ev13rocblas_fill_17rocblas_diagonal_iiT2_lPT3_llSB_llPT4_lli
	.p2align	8
	.type	_ZL23rocblas_trmm_rTx_kernelILi16ELb1E19rocblas_complex_numIdES1_KPKS1_KPS1_Ev13rocblas_fill_17rocblas_diagonal_iiT2_lPT3_llSB_llPT4_lli,@function
_ZL23rocblas_trmm_rTx_kernelILi16ELb1E19rocblas_complex_numIdES1_KPKS1_KPS1_Ev13rocblas_fill_17rocblas_diagonal_iiT2_lPT3_llSB_llPT4_lli: ; @_ZL23rocblas_trmm_rTx_kernelILi16ELb1E19rocblas_complex_numIdES1_KPKS1_KPS1_Ev13rocblas_fill_17rocblas_diagonal_iiT2_lPT3_llSB_llPT4_lli
; %bb.0:
	s_load_dwordx4 s[24:27], s[0:1], 0x10
	s_waitcnt lgkmcnt(0)
	v_cmp_neq_f64_e64 s[6:7], s[24:25], 0
	v_cmp_neq_f64_e64 s[8:9], s[26:27], 0
	s_or_b64 s[6:7], s[6:7], s[8:9]
	s_andn2_b64 vcc, exec, s[6:7]
	s_cbranch_vccnz .LBB191_15
; %bb.1:
	s_load_dwordx4 s[28:31], s[0:1], 0x0
	s_load_dwordx16 s[8:23], s[0:1], 0x28
	s_mov_b32 s4, s3
	s_mov_b32 s5, 0
	s_lshl_b64 s[36:37], s[4:5], 3
	v_and_b32_e32 v5, 0x3ff, v0
	s_waitcnt lgkmcnt(0)
	s_add_u32 s6, s14, s36
	s_addc_u32 s7, s15, s37
	s_load_dwordx2 s[34:35], s[6:7], 0x0
	s_add_u32 s6, s20, s36
	s_addc_u32 s7, s21, s37
	s_load_dwordx2 s[14:15], s[6:7], 0x0
	s_mov_b32 s6, s5
	s_mov_b32 s7, s5
	v_bfe_u32 v2, v0, 10, 10
	s_mov_b32 s4, s5
	v_mov_b64_e32 v[8:9], s[6:7]
	v_lshlrev_b32_e32 v3, 4, v2
	v_mov_b64_e32 v[6:7], s[4:5]
	v_cmp_gt_i32_e32 vcc, s31, v2
	v_cmp_gt_i32_e64 s[4:5], s31, v5
	v_add_lshl_u32 v4, v3, v5, 4
	s_and_b64 s[6:7], vcc, s[4:5]
	v_lshlrev_b32_e32 v0, 4, v5
	ds_write_b128 v4, v[6:9]
	ds_write_b128 v4, v[6:9] offset:4096
	s_and_saveexec_b64 s[4:5], s[6:7]
	s_cbranch_execz .LBB191_3
; %bb.2:
	s_add_u32 s6, s8, s36
	s_addc_u32 s7, s9, s37
	s_load_dwordx2 s[6:7], s[6:7], 0x0
	v_mad_u64_u32 v[6:7], s[8:9], s10, v2, 0
	s_lshl_b64 s[8:9], s[12:13], 4
	v_mov_b32_e32 v8, v7
	s_waitcnt lgkmcnt(0)
	s_add_u32 s6, s6, s8
	s_addc_u32 s7, s7, s9
	v_mad_u64_u32 v[8:9], s[8:9], s11, v2, v[8:9]
	v_mov_b32_e32 v7, v8
	v_lshl_add_u64 v[6:7], v[6:7], 4, s[6:7]
	v_mov_b32_e32 v1, 0
	v_lshl_add_u64 v[6:7], v[6:7], 0, v[0:1]
	flat_load_dwordx4 v[6:9], v[6:7]
	s_waitcnt vmcnt(0) lgkmcnt(0)
	v_xor_b32_e32 v9, 0x80000000, v9
	ds_write_b128 v4, v[6:9]
.LBB191_3:
	s_or_b64 exec, exec, s[4:5]
	s_add_i32 s3, s30, -1
	s_ashr_i32 s4, s3, 31
	s_lshr_b32 s4, s4, 28
	s_add_i32 s3, s3, s4
	s_ashr_i32 s4, s3, 4
	s_and_b32 s3, s3, -16
	s_sub_i32 s3, s30, s3
	s_cmp_ge_i32 s2, s4
	s_cselect_b32 s3, s3, 16
	s_lshl_b32 s4, s2, 4
	v_cmp_gt_i32_e64 s[2:3], s3, v5
	s_ashr_i32 s5, s4, 31
	s_and_b64 s[2:3], vcc, s[2:3]
	s_and_saveexec_b64 s[6:7], s[2:3]
	s_cbranch_execz .LBB191_5
; %bb.4:
	s_lshl_b64 s[8:9], s[18:19], 4
	s_waitcnt lgkmcnt(0)
	s_add_u32 s10, s34, s8
	s_addc_u32 s11, s35, s9
	s_lshl_b64 s[8:9], s[4:5], 4
	s_add_u32 s8, s10, s8
	s_addc_u32 s9, s11, s9
	v_mad_u64_u32 v[6:7], s[10:11], s16, v2, 0
	v_mov_b32_e32 v8, v7
	v_mad_u64_u32 v[8:9], s[10:11], s17, v2, v[8:9]
	v_mov_b32_e32 v7, v8
	v_lshl_add_u64 v[6:7], v[6:7], 4, s[8:9]
	v_mov_b32_e32 v1, 0
	v_lshl_add_u64 v[6:7], v[6:7], 0, v[0:1]
	flat_load_dwordx4 v[6:9], v[6:7]
	v_add_u32_e32 v1, 0x1000, v4
	s_waitcnt vmcnt(0) lgkmcnt(0)
	ds_write2_b64 v1, v[6:7], v[8:9] offset1:1
.LBB191_5:
	s_or_b64 exec, exec, s[6:7]
	s_cmpk_eq_i32 s29, 0x84
	s_cselect_b64 s[6:7], -1, 0
	v_cmp_eq_u32_e32 vcc, v2, v5
	s_and_b64 s[8:9], vcc, s[6:7]
	s_and_saveexec_b64 s[6:7], s[8:9]
; %bb.6:
	v_mov_b32_e32 v6, 0
	v_mov_b32_e32 v7, 0x3ff00000
	;; [unrolled: 1-line block ×4, first 2 shown]
	ds_write_b128 v4, v[6:9]
; %bb.7:
	s_or_b64 exec, exec, s[6:7]
	s_cmpk_lg_i32 s28, 0x79
	s_cbranch_scc0 .LBB191_9
; %bb.8:
	v_cmp_lt_u32_e32 vcc, v5, v2
	s_and_b64 s[6:7], vcc, exec
	s_cbranch_execz .LBB191_10
	s_branch .LBB191_11
.LBB191_9:
	s_mov_b64 s[6:7], 0
.LBB191_10:
	v_cmp_gt_u32_e32 vcc, v5, v2
	s_andn2_b64 s[6:7], s[6:7], exec
	s_and_b64 s[8:9], vcc, exec
	s_or_b64 s[6:7], s[6:7], s[8:9]
.LBB191_11:
	s_and_saveexec_b64 s[8:9], s[6:7]
; %bb.12:
	v_mov_b32_e32 v6, 0
	v_mov_b32_e32 v7, v6
	;; [unrolled: 1-line block ×4, first 2 shown]
	ds_write_b128 v4, v[6:9]
; %bb.13:
	s_or_b64 exec, exec, s[8:9]
	s_waitcnt lgkmcnt(0)
	s_barrier
	s_and_saveexec_b64 s[6:7], s[2:3]
	s_cbranch_execz .LBB191_15
; %bb.14:
	ds_read_b128 v[4:7], v3
	ds_read_b128 v[8:11], v3 offset:256
	ds_read_b128 v[12:15], v0 offset:4096
	;; [unrolled: 1-line block ×3, first 2 shown]
	s_load_dwordx2 s[0:1], s[0:1], 0x68
	v_mov_b32_e32 v1, 0
	s_waitcnt lgkmcnt(0)
	v_mul_f64 v[20:21], v[4:5], v[14:15]
	v_fmac_f64_e32 v[20:21], v[6:7], v[12:13]
	v_add_f64 v[38:39], v[20:21], 0
	ds_read_b128 v[20:23], v3 offset:512
	ds_read_b128 v[24:27], v0 offset:4608
	v_mul_f64 v[36:37], v[8:9], v[18:19]
	v_fmac_f64_e32 v[36:37], v[10:11], v[16:17]
	ds_read_b128 v[28:31], v3 offset:768
	ds_read_b128 v[32:35], v0 offset:4864
	v_add_f64 v[36:37], v[38:39], v[36:37]
	s_waitcnt lgkmcnt(2)
	v_mul_f64 v[38:39], v[20:21], v[26:27]
	v_fmac_f64_e32 v[38:39], v[22:23], v[24:25]
	v_add_f64 v[52:53], v[36:37], v[38:39]
	ds_read_b128 v[36:39], v3 offset:1024
	ds_read_b128 v[40:43], v0 offset:5120
	;; [unrolled: 1-line block ×4, first 2 shown]
	s_waitcnt lgkmcnt(4)
	v_mul_f64 v[54:55], v[28:29], v[34:35]
	v_fmac_f64_e32 v[54:55], v[30:31], v[32:33]
	v_add_f64 v[52:53], v[52:53], v[54:55]
	s_waitcnt lgkmcnt(2)
	v_mul_f64 v[54:55], v[36:37], v[42:43]
	v_fmac_f64_e32 v[54:55], v[38:39], v[40:41]
	v_add_f64 v[52:53], v[52:53], v[54:55]
	s_waitcnt lgkmcnt(0)
	v_mul_f64 v[54:55], v[44:45], v[50:51]
	v_fmac_f64_e32 v[54:55], v[46:47], v[48:49]
	v_mul_f64 v[6:7], v[6:7], v[14:15]
	v_add_f64 v[56:57], v[52:53], v[54:55]
	ds_read_b128 v[52:55], v3 offset:1536
	v_fma_f64 v[58:59], v[4:5], v[12:13], -v[6:7]
	ds_read_b128 v[4:7], v0 offset:5632
	v_mul_f64 v[10:11], v[10:11], v[18:19]
	v_fma_f64 v[60:61], v[8:9], v[16:17], -v[10:11]
	ds_read_b128 v[8:11], v3 offset:1792
	ds_read_b128 v[12:15], v0 offset:5888
	v_add_f64 v[58:59], v[58:59], 0
	s_waitcnt lgkmcnt(2)
	v_mul_f64 v[16:17], v[52:53], v[6:7]
	v_fmac_f64_e32 v[16:17], v[54:55], v[4:5]
	v_add_f64 v[56:57], v[56:57], v[16:17]
	v_mul_f64 v[16:17], v[22:23], v[26:27]
	v_fma_f64 v[62:63], v[20:21], v[24:25], -v[16:17]
	v_mul_f64 v[20:21], v[30:31], v[34:35]
	ds_read_b128 v[16:19], v3 offset:2048
	v_fma_f64 v[66:67], v[28:29], v[32:33], -v[20:21]
	ds_read_b128 v[20:23], v0 offset:6144
	s_waitcnt lgkmcnt(2)
	v_mul_f64 v[64:65], v[8:9], v[14:15]
	v_fmac_f64_e32 v[64:65], v[10:11], v[12:13]
	v_mul_f64 v[24:25], v[38:39], v[42:43]
	v_add_f64 v[32:33], v[56:57], v[64:65]
	s_waitcnt lgkmcnt(0)
	v_mul_f64 v[34:35], v[16:17], v[22:23]
	v_fmac_f64_e32 v[34:35], v[18:19], v[20:21]
	v_fma_f64 v[68:69], v[36:37], v[40:41], -v[24:25]
	ds_read_b128 v[24:27], v3 offset:2304
	ds_read_b128 v[28:31], v0 offset:6400
	v_add_f64 v[40:41], v[32:33], v[34:35]
	v_mul_f64 v[32:33], v[46:47], v[50:51]
	v_fma_f64 v[56:57], v[44:45], v[48:49], -v[32:33]
	ds_read_b128 v[32:35], v0 offset:6656
	v_mul_f64 v[6:7], v[54:55], v[6:7]
	v_fma_f64 v[52:53], v[52:53], v[4:5], -v[6:7]
	ds_read_b128 v[4:7], v3 offset:2560
	ds_read_b128 v[36:39], v3 offset:2816
	s_waitcnt lgkmcnt(3)
	v_mul_f64 v[42:43], v[24:25], v[30:31]
	v_fmac_f64_e32 v[42:43], v[26:27], v[28:29]
	v_mul_f64 v[10:11], v[10:11], v[14:15]
	s_waitcnt lgkmcnt(1)
	v_mul_f64 v[14:15], v[4:5], v[34:35]
	v_fma_f64 v[54:55], v[8:9], v[12:13], -v[10:11]
	v_add_f64 v[12:13], v[40:41], v[42:43]
	v_fmac_f64_e32 v[14:15], v[6:7], v[32:33]
	ds_read_b128 v[8:11], v0 offset:6912
	v_add_f64 v[40:41], v[12:13], v[14:15]
	v_mul_f64 v[12:13], v[18:19], v[22:23]
	v_add_f64 v[58:59], v[58:59], v[60:61]
	v_fma_f64 v[64:65], v[16:17], v[20:21], -v[12:13]
	ds_read_b128 v[12:15], v3 offset:3072
	ds_read_b128 v[16:19], v0 offset:7168
	v_add_f64 v[58:59], v[58:59], v[62:63]
	v_add_f64 v[58:59], v[58:59], v[66:67]
	v_add_f64 v[58:59], v[58:59], v[68:69]
	v_add_f64 v[56:57], v[58:59], v[56:57]
	s_waitcnt lgkmcnt(2)
	v_mul_f64 v[42:43], v[36:37], v[10:11]
	v_mul_f64 v[20:21], v[26:27], v[30:31]
	v_add_f64 v[52:53], v[56:57], v[52:53]
	v_fmac_f64_e32 v[42:43], v[38:39], v[8:9]
	v_fma_f64 v[70:71], v[24:25], v[28:29], -v[20:21]
	ds_read_b128 v[20:23], v3 offset:3328
	ds_read_b128 v[24:27], v0 offset:7424
	s_waitcnt lgkmcnt(2)
	v_mul_f64 v[30:31], v[12:13], v[18:19]
	v_add_f64 v[52:53], v[52:53], v[54:55]
	v_add_f64 v[28:29], v[40:41], v[42:43]
	v_fmac_f64_e32 v[30:31], v[14:15], v[16:17]
	v_add_f64 v[52:53], v[52:53], v[64:65]
	v_mul_f64 v[6:7], v[6:7], v[34:35]
	v_add_f64 v[72:73], v[28:29], v[30:31]
	ds_read_b128 v[28:31], v3 offset:3584
	ds_read_b128 v[40:43], v0 offset:7680
	v_add_f64 v[52:53], v[52:53], v[70:71]
	v_fma_f64 v[4:5], v[4:5], v[32:33], -v[6:7]
	v_mul_f64 v[6:7], v[38:39], v[10:11]
	v_add_f64 v[4:5], v[52:53], v[4:5]
	v_fma_f64 v[6:7], v[36:37], v[8:9], -v[6:7]
	ds_read_b128 v[44:47], v3 offset:3840
	ds_read_b128 v[48:51], v0 offset:7936
	v_add_f64 v[4:5], v[4:5], v[6:7]
	v_mul_f64 v[6:7], v[14:15], v[18:19]
	s_waitcnt lgkmcnt(4)
	v_mul_f64 v[74:75], v[20:21], v[26:27]
	v_fma_f64 v[6:7], v[12:13], v[16:17], -v[6:7]
	v_fmac_f64_e32 v[74:75], v[22:23], v[24:25]
	v_add_f64 v[4:5], v[4:5], v[6:7]
	v_mul_f64 v[6:7], v[22:23], v[26:27]
	v_add_f64 v[72:73], v[72:73], v[74:75]
	s_waitcnt lgkmcnt(2)
	v_mul_f64 v[74:75], v[28:29], v[42:43]
	v_fma_f64 v[6:7], v[20:21], v[24:25], -v[6:7]
	v_fmac_f64_e32 v[74:75], v[30:31], v[40:41]
	v_add_f64 v[4:5], v[4:5], v[6:7]
	v_mul_f64 v[6:7], v[30:31], v[42:43]
	v_add_f64 v[72:73], v[72:73], v[74:75]
	s_waitcnt lgkmcnt(0)
	v_mul_f64 v[74:75], v[44:45], v[50:51]
	s_lshl_b64 s[0:1], s[0:1], 4
	v_fma_f64 v[6:7], v[28:29], v[40:41], -v[6:7]
	v_fmac_f64_e32 v[74:75], v[46:47], v[48:49]
	s_add_u32 s2, s14, s0
	v_add_f64 v[4:5], v[4:5], v[6:7]
	v_mul_f64 v[6:7], v[46:47], v[50:51]
	v_add_f64 v[72:73], v[72:73], v[74:75]
	s_addc_u32 s3, s15, s1
	s_lshl_b64 s[0:1], s[4:5], 4
	v_fma_f64 v[6:7], v[44:45], v[48:49], -v[6:7]
	s_add_u32 s0, s2, s0
	v_add_f64 v[4:5], v[4:5], v[6:7]
	v_mul_f64 v[6:7], s[24:25], v[72:73]
	v_mul_f64 v[8:9], s[26:27], v[72:73]
	s_addc_u32 s1, s3, s1
	v_fmac_f64_e32 v[6:7], s[26:27], v[4:5]
	v_fma_f64 v[4:5], s[24:25], v[4:5], -v[8:9]
	v_mad_u64_u32 v[8:9], s[2:3], s22, v2, 0
	v_mov_b32_e32 v10, v9
	v_mad_u64_u32 v[2:3], s[2:3], s23, v2, v[10:11]
	v_mov_b32_e32 v9, v2
	v_lshl_add_u64 v[2:3], v[8:9], 4, s[0:1]
	v_lshl_add_u64 v[0:1], v[2:3], 0, v[0:1]
	flat_store_dwordx4 v[0:1], v[4:7]
.LBB191_15:
	s_endpgm
	.section	.rodata,"a",@progbits
	.p2align	6, 0x0
	.amdhsa_kernel _ZL23rocblas_trmm_rTx_kernelILi16ELb1E19rocblas_complex_numIdES1_KPKS1_KPS1_Ev13rocblas_fill_17rocblas_diagonal_iiT2_lPT3_llSB_llPT4_lli
		.amdhsa_group_segment_fixed_size 8192
		.amdhsa_private_segment_fixed_size 0
		.amdhsa_kernarg_size 116
		.amdhsa_user_sgpr_count 2
		.amdhsa_user_sgpr_dispatch_ptr 0
		.amdhsa_user_sgpr_queue_ptr 0
		.amdhsa_user_sgpr_kernarg_segment_ptr 1
		.amdhsa_user_sgpr_dispatch_id 0
		.amdhsa_user_sgpr_kernarg_preload_length 0
		.amdhsa_user_sgpr_kernarg_preload_offset 0
		.amdhsa_user_sgpr_private_segment_size 0
		.amdhsa_uses_dynamic_stack 0
		.amdhsa_enable_private_segment 0
		.amdhsa_system_sgpr_workgroup_id_x 1
		.amdhsa_system_sgpr_workgroup_id_y 0
		.amdhsa_system_sgpr_workgroup_id_z 1
		.amdhsa_system_sgpr_workgroup_info 0
		.amdhsa_system_vgpr_workitem_id 1
		.amdhsa_next_free_vgpr 76
		.amdhsa_next_free_sgpr 38
		.amdhsa_accum_offset 76
		.amdhsa_reserve_vcc 1
		.amdhsa_float_round_mode_32 0
		.amdhsa_float_round_mode_16_64 0
		.amdhsa_float_denorm_mode_32 3
		.amdhsa_float_denorm_mode_16_64 3
		.amdhsa_dx10_clamp 1
		.amdhsa_ieee_mode 1
		.amdhsa_fp16_overflow 0
		.amdhsa_tg_split 0
		.amdhsa_exception_fp_ieee_invalid_op 0
		.amdhsa_exception_fp_denorm_src 0
		.amdhsa_exception_fp_ieee_div_zero 0
		.amdhsa_exception_fp_ieee_overflow 0
		.amdhsa_exception_fp_ieee_underflow 0
		.amdhsa_exception_fp_ieee_inexact 0
		.amdhsa_exception_int_div_zero 0
	.end_amdhsa_kernel
	.section	.text._ZL23rocblas_trmm_rTx_kernelILi16ELb1E19rocblas_complex_numIdES1_KPKS1_KPS1_Ev13rocblas_fill_17rocblas_diagonal_iiT2_lPT3_llSB_llPT4_lli,"axG",@progbits,_ZL23rocblas_trmm_rTx_kernelILi16ELb1E19rocblas_complex_numIdES1_KPKS1_KPS1_Ev13rocblas_fill_17rocblas_diagonal_iiT2_lPT3_llSB_llPT4_lli,comdat
.Lfunc_end191:
	.size	_ZL23rocblas_trmm_rTx_kernelILi16ELb1E19rocblas_complex_numIdES1_KPKS1_KPS1_Ev13rocblas_fill_17rocblas_diagonal_iiT2_lPT3_llSB_llPT4_lli, .Lfunc_end191-_ZL23rocblas_trmm_rTx_kernelILi16ELb1E19rocblas_complex_numIdES1_KPKS1_KPS1_Ev13rocblas_fill_17rocblas_diagonal_iiT2_lPT3_llSB_llPT4_lli
                                        ; -- End function
	.set _ZL23rocblas_trmm_rTx_kernelILi16ELb1E19rocblas_complex_numIdES1_KPKS1_KPS1_Ev13rocblas_fill_17rocblas_diagonal_iiT2_lPT3_llSB_llPT4_lli.num_vgpr, 76
	.set _ZL23rocblas_trmm_rTx_kernelILi16ELb1E19rocblas_complex_numIdES1_KPKS1_KPS1_Ev13rocblas_fill_17rocblas_diagonal_iiT2_lPT3_llSB_llPT4_lli.num_agpr, 0
	.set _ZL23rocblas_trmm_rTx_kernelILi16ELb1E19rocblas_complex_numIdES1_KPKS1_KPS1_Ev13rocblas_fill_17rocblas_diagonal_iiT2_lPT3_llSB_llPT4_lli.numbered_sgpr, 38
	.set _ZL23rocblas_trmm_rTx_kernelILi16ELb1E19rocblas_complex_numIdES1_KPKS1_KPS1_Ev13rocblas_fill_17rocblas_diagonal_iiT2_lPT3_llSB_llPT4_lli.num_named_barrier, 0
	.set _ZL23rocblas_trmm_rTx_kernelILi16ELb1E19rocblas_complex_numIdES1_KPKS1_KPS1_Ev13rocblas_fill_17rocblas_diagonal_iiT2_lPT3_llSB_llPT4_lli.private_seg_size, 0
	.set _ZL23rocblas_trmm_rTx_kernelILi16ELb1E19rocblas_complex_numIdES1_KPKS1_KPS1_Ev13rocblas_fill_17rocblas_diagonal_iiT2_lPT3_llSB_llPT4_lli.uses_vcc, 1
	.set _ZL23rocblas_trmm_rTx_kernelILi16ELb1E19rocblas_complex_numIdES1_KPKS1_KPS1_Ev13rocblas_fill_17rocblas_diagonal_iiT2_lPT3_llSB_llPT4_lli.uses_flat_scratch, 0
	.set _ZL23rocblas_trmm_rTx_kernelILi16ELb1E19rocblas_complex_numIdES1_KPKS1_KPS1_Ev13rocblas_fill_17rocblas_diagonal_iiT2_lPT3_llSB_llPT4_lli.has_dyn_sized_stack, 0
	.set _ZL23rocblas_trmm_rTx_kernelILi16ELb1E19rocblas_complex_numIdES1_KPKS1_KPS1_Ev13rocblas_fill_17rocblas_diagonal_iiT2_lPT3_llSB_llPT4_lli.has_recursion, 0
	.set _ZL23rocblas_trmm_rTx_kernelILi16ELb1E19rocblas_complex_numIdES1_KPKS1_KPS1_Ev13rocblas_fill_17rocblas_diagonal_iiT2_lPT3_llSB_llPT4_lli.has_indirect_call, 0
	.section	.AMDGPU.csdata,"",@progbits
; Kernel info:
; codeLenInByte = 1752
; TotalNumSgprs: 44
; NumVgprs: 76
; NumAgprs: 0
; TotalNumVgprs: 76
; ScratchSize: 0
; MemoryBound: 0
; FloatMode: 240
; IeeeMode: 1
; LDSByteSize: 8192 bytes/workgroup (compile time only)
; SGPRBlocks: 5
; VGPRBlocks: 9
; NumSGPRsForWavesPerEU: 44
; NumVGPRsForWavesPerEU: 76
; AccumOffset: 76
; Occupancy: 6
; WaveLimiterHint : 1
; COMPUTE_PGM_RSRC2:SCRATCH_EN: 0
; COMPUTE_PGM_RSRC2:USER_SGPR: 2
; COMPUTE_PGM_RSRC2:TRAP_HANDLER: 0
; COMPUTE_PGM_RSRC2:TGID_X_EN: 1
; COMPUTE_PGM_RSRC2:TGID_Y_EN: 0
; COMPUTE_PGM_RSRC2:TGID_Z_EN: 1
; COMPUTE_PGM_RSRC2:TIDIG_COMP_CNT: 1
; COMPUTE_PGM_RSRC3_GFX90A:ACCUM_OFFSET: 18
; COMPUTE_PGM_RSRC3_GFX90A:TG_SPLIT: 0
	.section	.text._ZL44rocblas_set_matrix_zero_if_alpha_zero_kernelILi16ELi16EPKfPKPfEviiT1_lT2_lli,"axG",@progbits,_ZL44rocblas_set_matrix_zero_if_alpha_zero_kernelILi16ELi16EPKfPKPfEviiT1_lT2_lli,comdat
	.globl	_ZL44rocblas_set_matrix_zero_if_alpha_zero_kernelILi16ELi16EPKfPKPfEviiT1_lT2_lli ; -- Begin function _ZL44rocblas_set_matrix_zero_if_alpha_zero_kernelILi16ELi16EPKfPKPfEviiT1_lT2_lli
	.p2align	8
	.type	_ZL44rocblas_set_matrix_zero_if_alpha_zero_kernelILi16ELi16EPKfPKPfEviiT1_lT2_lli,@function
_ZL44rocblas_set_matrix_zero_if_alpha_zero_kernelILi16ELi16EPKfPKPfEviiT1_lT2_lli: ; @_ZL44rocblas_set_matrix_zero_if_alpha_zero_kernelILi16ELi16EPKfPKPfEviiT1_lT2_lli
; %bb.0:
	s_load_dwordx8 s[8:15], s[0:1], 0x8
	s_waitcnt lgkmcnt(0)
	s_mul_i32 s5, s11, s4
	s_mul_hi_u32 s6, s10, s4
	s_add_i32 s7, s6, s5
	s_mul_i32 s6, s10, s4
	s_lshl_b64 s[6:7], s[6:7], 2
	s_add_u32 s6, s8, s6
	s_addc_u32 s7, s9, s7
	s_load_dword s5, s[6:7], 0x0
	s_waitcnt lgkmcnt(0)
	v_cmp_neq_f32_e64 s[6:7], s5, 0
	s_and_b64 vcc, exec, s[6:7]
	s_cbranch_vccnz .LBB192_13
; %bb.1:
	s_load_dwordx2 s[8:9], s[0:1], 0x0
	v_and_b32_e32 v1, 0x3ff, v0
	v_mov_b32_e32 v7, 0
	v_bfe_u32 v0, v0, 10, 10
	v_lshl_add_u32 v6, s2, 4, v1
	v_lshl_add_u32 v0, s3, 4, v0
	v_mov_b32_e32 v1, v7
	s_waitcnt lgkmcnt(0)
	s_ashr_i32 s3, s8, 31
	s_mov_b32 s2, s8
	s_ashr_i32 s7, s9, 31
	s_mov_b32 s6, s9
	v_cmp_gt_i64_e32 vcc, s[2:3], v[6:7]
	v_cmp_gt_i64_e64 s[2:3], s[6:7], v[0:1]
	s_and_b64 s[2:3], vcc, s[2:3]
	s_and_saveexec_b64 s[8:9], s[2:3]
	s_cbranch_execz .LBB192_13
; %bb.2:
	s_load_dwordx2 s[2:3], s[0:1], 0x28
	s_load_dword s10, s[0:1], 0x3c
	s_mov_b32 s5, 0
	s_lshl_b64 s[0:1], s[4:5], 3
	s_add_u32 s8, s12, s0
	s_addc_u32 s9, s13, s1
	s_waitcnt lgkmcnt(0)
	s_lshl_b32 s4, s10, 4
	v_lshl_add_u64 v[4:5], s[4:5], 0, v[0:1]
	v_mov_b32_e32 v2, s7
	v_cmp_lt_i64_e32 vcc, s[6:7], v[4:5]
	v_mov_b32_e32 v3, s5
	s_nop 0
	v_cndmask_b32_e32 v8, v2, v5, vcc
	v_mov_b32_e32 v2, s6
	v_cndmask_b32_e32 v9, v2, v4, vcc
	v_cmp_gt_i64_e32 vcc, s[6:7], v[4:5]
	s_nop 1
	v_cndmask_b32_e64 v2, 0, 1, vcc
	v_lshl_add_u64 v[4:5], v[4:5], 0, v[2:3]
	v_sub_co_u32_e32 v10, vcc, v9, v4
	v_mov_b32_e32 v4, v7
	s_nop 0
	v_subb_co_u32_e32 v5, vcc, v8, v5, vcc
	v_cmp_ne_u64_e32 vcc, 0, v[4:5]
                                        ; implicit-def: $vgpr8_vgpr9
	s_and_saveexec_b64 s[0:1], vcc
	s_xor_b64 s[10:11], exec, s[0:1]
	s_cbranch_execz .LBB192_4
; %bb.3:
	v_cvt_f32_u32_e32 v4, s4
	v_mov_b32_e32 v8, 0x4f800000
	s_sub_u32 s12, 0, s4
	s_subb_u32 s13, 0, 0
	v_fmac_f32_e32 v4, 0, v8
	v_rcp_f32_e32 v4, v4
	v_mov_b32_e32 v13, 0
	v_mul_f32_e32 v4, 0x5f7ffffc, v4
	v_mul_f32_e32 v8, 0x2f800000, v4
	v_trunc_f32_e32 v8, v8
	v_fmamk_f32 v4, v8, 0xcf800000, v4
	v_cvt_u32_f32_e32 v8, v8
	v_cvt_u32_f32_e32 v4, v4
	v_readfirstlane_b32 s16, v8
	v_readfirstlane_b32 s0, v4
	s_mul_i32 s1, s12, s16
	s_mul_hi_u32 s18, s12, s0
	s_mul_i32 s17, s13, s0
	s_add_i32 s1, s18, s1
	s_mul_i32 s19, s12, s0
	s_add_i32 s1, s1, s17
	s_mul_i32 s18, s0, s1
	s_mul_hi_u32 s20, s0, s19
	s_mul_hi_u32 s17, s0, s1
	s_add_u32 s18, s20, s18
	s_addc_u32 s17, 0, s17
	s_mul_hi_u32 s21, s16, s19
	s_mul_i32 s19, s16, s19
	s_add_u32 s18, s18, s19
	s_mul_hi_u32 s20, s16, s1
	s_addc_u32 s17, s17, s21
	s_addc_u32 s18, s20, 0
	s_mul_i32 s1, s16, s1
	s_add_u32 s1, s17, s1
	s_addc_u32 s17, 0, s18
	s_add_u32 s18, s0, s1
	s_cselect_b64 s[0:1], -1, 0
	s_cmp_lg_u64 s[0:1], 0
	s_addc_u32 s16, s16, s17
	s_mul_i32 s0, s12, s16
	s_mul_hi_u32 s1, s12, s18
	s_add_i32 s0, s1, s0
	s_mul_i32 s13, s13, s18
	s_add_i32 s0, s0, s13
	s_mul_i32 s12, s12, s18
	s_mul_hi_u32 s13, s16, s12
	s_mul_i32 s17, s16, s12
	s_mul_i32 s20, s18, s0
	s_mul_hi_u32 s12, s18, s12
	s_mul_hi_u32 s19, s18, s0
	s_add_u32 s12, s12, s20
	s_addc_u32 s19, 0, s19
	s_add_u32 s12, s12, s17
	s_mul_hi_u32 s1, s16, s0
	s_addc_u32 s12, s19, s13
	s_addc_u32 s1, s1, 0
	s_mul_i32 s0, s16, s0
	s_add_u32 s0, s12, s0
	s_addc_u32 s12, 0, s1
	s_add_u32 s13, s18, s0
	s_cselect_b64 s[0:1], -1, 0
	s_cmp_lg_u64 s[0:1], 0
	s_addc_u32 s12, s16, s12
	v_mad_u64_u32 v[8:9], s[0:1], v10, s12, 0
	v_mul_hi_u32 v12, v10, s13
	v_lshl_add_u64 v[8:9], v[12:13], 0, v[8:9]
	v_mad_u64_u32 v[16:17], s[0:1], v5, s13, 0
	v_add_co_u32_e32 v4, vcc, v8, v16
	v_mad_u64_u32 v[14:15], s[0:1], v5, s12, 0
	s_nop 0
	v_addc_co_u32_e32 v12, vcc, v9, v17, vcc
	s_nop 1
	v_addc_co_u32_e32 v15, vcc, 0, v15, vcc
	v_lshl_add_u64 v[8:9], v[12:13], 0, v[14:15]
	v_mad_u64_u32 v[12:13], s[0:1], s4, v8, 0
	v_mov_b32_e32 v4, v13
	v_mad_u64_u32 v[14:15], s[0:1], s4, v9, v[4:5]
	v_sub_co_u32_e32 v12, vcc, v10, v12
	v_lshl_add_u64 v[10:11], v[8:9], 0, 1
	s_nop 0
	v_subb_co_u32_e32 v13, vcc, v5, v14, vcc
	v_subrev_co_u32_e32 v4, vcc, s4, v12
	v_cmp_le_u32_e64 s[0:1], s4, v12
	s_nop 0
	v_subbrev_co_u32_e32 v5, vcc, 0, v13, vcc
	v_cmp_le_u32_e32 vcc, s4, v4
	s_nop 1
	v_cndmask_b32_e64 v4, 0, -1, vcc
	v_cmp_eq_u32_e32 vcc, 0, v5
	s_nop 1
	v_cndmask_b32_e32 v14, -1, v4, vcc
	v_lshl_add_u64 v[4:5], v[8:9], 0, 2
	v_cmp_ne_u32_e32 vcc, 0, v14
	s_nop 1
	v_cndmask_b32_e32 v5, v11, v5, vcc
	v_cndmask_b32_e64 v11, 0, -1, s[0:1]
	v_cmp_eq_u32_e64 s[0:1], 0, v13
	v_cndmask_b32_e32 v4, v10, v4, vcc
                                        ; implicit-def: $vgpr10
	s_nop 0
	v_cndmask_b32_e64 v11, -1, v11, s[0:1]
	v_cmp_ne_u32_e64 s[0:1], 0, v11
	s_nop 1
	v_cndmask_b32_e64 v9, v9, v5, s[0:1]
	v_cndmask_b32_e64 v8, v8, v4, s[0:1]
.LBB192_4:
	s_andn2_saveexec_b64 s[0:1], s[10:11]
	s_cbranch_execz .LBB192_6
; %bb.5:
	v_cvt_f32_u32_e32 v4, s4
	s_sub_i32 s10, 0, s4
	v_rcp_iflag_f32_e32 v4, v4
	s_nop 0
	v_mul_f32_e32 v4, 0x4f7ffffe, v4
	v_cvt_u32_f32_e32 v4, v4
	v_mul_lo_u32 v5, s10, v4
	v_mul_hi_u32 v5, v4, v5
	v_add_u32_e32 v4, v4, v5
	v_mul_hi_u32 v4, v10, v4
	v_mul_lo_u32 v5, v4, s4
	v_sub_u32_e32 v5, v10, v5
	v_add_u32_e32 v8, 1, v4
	v_subrev_u32_e32 v9, s4, v5
	v_cmp_le_u32_e32 vcc, s4, v5
	s_nop 1
	v_cndmask_b32_e32 v5, v5, v9, vcc
	v_cndmask_b32_e32 v4, v4, v8, vcc
	v_add_u32_e32 v8, 1, v4
	v_cmp_le_u32_e32 vcc, s4, v5
	v_mov_b32_e32 v9, 0
	s_nop 0
	v_cndmask_b32_e32 v8, v4, v8, vcc
.LBB192_6:
	s_or_b64 exec, exec, s[0:1]
	s_load_dwordx2 s[0:1], s[8:9], 0x0
	v_lshl_add_u64 v[2:3], v[8:9], 0, v[2:3]
	v_lshl_add_u64 v[8:9], v[2:3], 0, 1
	v_cmp_lt_u64_e32 vcc, 1, v[8:9]
	s_mov_b64 s[10:11], -1
	s_and_saveexec_b64 s[8:9], vcc
	s_cbranch_execz .LBB192_10
; %bb.7:
	s_lshl_b64 s[10:11], s[2:3], 2
	s_waitcnt lgkmcnt(0)
	s_add_u32 s10, s0, s10
	s_addc_u32 s11, s1, s11
	v_lshl_add_u64 v[2:3], v[0:1], 0, s[4:5]
	v_lshl_add_u64 v[12:13], v[6:7], 2, s[10:11]
	v_and_b32_e32 v10, -2, v8
	v_mov_b32_e32 v11, v9
	s_lshl_b64 s[10:11], s[4:5], 1
	v_mov_b64_e32 v[4:5], v[2:3]
	s_mov_b32 s18, s14
	s_mov_b32 s19, s15
	;; [unrolled: 1-line block ×4, first 2 shown]
	s_mov_b64 s[16:17], 0
	v_mov_b32_e32 v16, 0
	v_mov_b64_e32 v[14:15], v[10:11]
	v_mov_b64_e32 v[2:3], v[0:1]
.LBB192_8:                              ; =>This Inner Loop Header: Depth=1
	v_mul_lo_u32 v23, v3, s18
	v_mul_lo_u32 v24, v2, s19
	v_mad_u64_u32 v[20:21], s[20:21], v2, s18, 0
	v_lshl_add_u64 v[14:15], v[14:15], 0, -2
	v_mul_lo_u32 v17, v5, s14
	v_mul_lo_u32 v22, v4, s15
	v_mad_u64_u32 v[18:19], s[20:21], v4, s14, 0
	v_add3_u32 v21, v21, v24, v23
	v_cmp_eq_u64_e32 vcc, 0, v[14:15]
	v_lshl_add_u64 v[4:5], v[4:5], 0, s[12:13]
	v_lshl_add_u64 v[2:3], v[2:3], 0, s[10:11]
	v_add3_u32 v19, v19, v22, v17
	v_lshl_add_u64 v[20:21], v[20:21], 2, v[12:13]
	s_or_b64 s[16:17], vcc, s[16:17]
	v_lshl_add_u64 v[18:19], v[18:19], 2, v[12:13]
	flat_store_dword v[20:21], v16
	flat_store_dword v[18:19], v16
	s_andn2_b64 exec, exec, s[16:17]
	s_cbranch_execnz .LBB192_8
; %bb.9:
	s_or_b64 exec, exec, s[16:17]
	v_mad_u64_u32 v[0:1], s[10:11], v10, s4, v[0:1]
	v_mov_b32_e32 v2, v1
	v_mad_u64_u32 v[2:3], s[10:11], v11, s4, v[2:3]
	v_cmp_ne_u64_e32 vcc, v[8:9], v[10:11]
	v_mov_b32_e32 v1, v2
	s_orn2_b64 s[10:11], vcc, exec
.LBB192_10:
	s_or_b64 exec, exec, s[8:9]
	s_and_b64 exec, exec, s[10:11]
	s_cbranch_execz .LBB192_13
; %bb.11:
	v_mul_lo_u32 v4, v1, s14
	v_mul_lo_u32 v5, v0, s15
	v_mad_u64_u32 v[2:3], s[8:9], v0, s14, 0
	v_add3_u32 v3, v3, v5, v4
	s_lshl_b64 s[2:3], s[2:3], 2
	v_lshl_add_u64 v[2:3], v[2:3], 2, s[2:3]
	v_lshl_add_u64 v[2:3], v[6:7], 2, v[2:3]
	s_waitcnt lgkmcnt(0)
	v_lshl_add_u64 v[2:3], s[0:1], 0, v[2:3]
	s_mul_i32 s0, s15, s4
	s_mul_hi_u32 s1, s14, s4
	s_add_i32 s1, s1, s0
	s_mul_i32 s0, s14, s4
	s_lshl_b64 s[0:1], s[0:1], 2
	s_mov_b64 s[2:3], 0
	v_mov_b32_e32 v4, 0
.LBB192_12:                             ; =>This Inner Loop Header: Depth=1
	v_lshl_add_u64 v[0:1], v[0:1], 0, s[4:5]
	v_cmp_le_i64_e32 vcc, s[6:7], v[0:1]
	flat_store_dword v[2:3], v4
	s_or_b64 s[2:3], vcc, s[2:3]
	v_lshl_add_u64 v[2:3], v[2:3], 0, s[0:1]
	s_andn2_b64 exec, exec, s[2:3]
	s_cbranch_execnz .LBB192_12
.LBB192_13:
	s_endpgm
	.section	.rodata,"a",@progbits
	.p2align	6, 0x0
	.amdhsa_kernel _ZL44rocblas_set_matrix_zero_if_alpha_zero_kernelILi16ELi16EPKfPKPfEviiT1_lT2_lli
		.amdhsa_group_segment_fixed_size 0
		.amdhsa_private_segment_fixed_size 0
		.amdhsa_kernarg_size 312
		.amdhsa_user_sgpr_count 2
		.amdhsa_user_sgpr_dispatch_ptr 0
		.amdhsa_user_sgpr_queue_ptr 0
		.amdhsa_user_sgpr_kernarg_segment_ptr 1
		.amdhsa_user_sgpr_dispatch_id 0
		.amdhsa_user_sgpr_kernarg_preload_length 0
		.amdhsa_user_sgpr_kernarg_preload_offset 0
		.amdhsa_user_sgpr_private_segment_size 0
		.amdhsa_uses_dynamic_stack 0
		.amdhsa_enable_private_segment 0
		.amdhsa_system_sgpr_workgroup_id_x 1
		.amdhsa_system_sgpr_workgroup_id_y 1
		.amdhsa_system_sgpr_workgroup_id_z 1
		.amdhsa_system_sgpr_workgroup_info 0
		.amdhsa_system_vgpr_workitem_id 1
		.amdhsa_next_free_vgpr 25
		.amdhsa_next_free_sgpr 22
		.amdhsa_accum_offset 28
		.amdhsa_reserve_vcc 1
		.amdhsa_float_round_mode_32 0
		.amdhsa_float_round_mode_16_64 0
		.amdhsa_float_denorm_mode_32 3
		.amdhsa_float_denorm_mode_16_64 3
		.amdhsa_dx10_clamp 1
		.amdhsa_ieee_mode 1
		.amdhsa_fp16_overflow 0
		.amdhsa_tg_split 0
		.amdhsa_exception_fp_ieee_invalid_op 0
		.amdhsa_exception_fp_denorm_src 0
		.amdhsa_exception_fp_ieee_div_zero 0
		.amdhsa_exception_fp_ieee_overflow 0
		.amdhsa_exception_fp_ieee_underflow 0
		.amdhsa_exception_fp_ieee_inexact 0
		.amdhsa_exception_int_div_zero 0
	.end_amdhsa_kernel
	.section	.text._ZL44rocblas_set_matrix_zero_if_alpha_zero_kernelILi16ELi16EPKfPKPfEviiT1_lT2_lli,"axG",@progbits,_ZL44rocblas_set_matrix_zero_if_alpha_zero_kernelILi16ELi16EPKfPKPfEviiT1_lT2_lli,comdat
.Lfunc_end192:
	.size	_ZL44rocblas_set_matrix_zero_if_alpha_zero_kernelILi16ELi16EPKfPKPfEviiT1_lT2_lli, .Lfunc_end192-_ZL44rocblas_set_matrix_zero_if_alpha_zero_kernelILi16ELi16EPKfPKPfEviiT1_lT2_lli
                                        ; -- End function
	.set _ZL44rocblas_set_matrix_zero_if_alpha_zero_kernelILi16ELi16EPKfPKPfEviiT1_lT2_lli.num_vgpr, 25
	.set _ZL44rocblas_set_matrix_zero_if_alpha_zero_kernelILi16ELi16EPKfPKPfEviiT1_lT2_lli.num_agpr, 0
	.set _ZL44rocblas_set_matrix_zero_if_alpha_zero_kernelILi16ELi16EPKfPKPfEviiT1_lT2_lli.numbered_sgpr, 22
	.set _ZL44rocblas_set_matrix_zero_if_alpha_zero_kernelILi16ELi16EPKfPKPfEviiT1_lT2_lli.num_named_barrier, 0
	.set _ZL44rocblas_set_matrix_zero_if_alpha_zero_kernelILi16ELi16EPKfPKPfEviiT1_lT2_lli.private_seg_size, 0
	.set _ZL44rocblas_set_matrix_zero_if_alpha_zero_kernelILi16ELi16EPKfPKPfEviiT1_lT2_lli.uses_vcc, 1
	.set _ZL44rocblas_set_matrix_zero_if_alpha_zero_kernelILi16ELi16EPKfPKPfEviiT1_lT2_lli.uses_flat_scratch, 0
	.set _ZL44rocblas_set_matrix_zero_if_alpha_zero_kernelILi16ELi16EPKfPKPfEviiT1_lT2_lli.has_dyn_sized_stack, 0
	.set _ZL44rocblas_set_matrix_zero_if_alpha_zero_kernelILi16ELi16EPKfPKPfEviiT1_lT2_lli.has_recursion, 0
	.set _ZL44rocblas_set_matrix_zero_if_alpha_zero_kernelILi16ELi16EPKfPKPfEviiT1_lT2_lli.has_indirect_call, 0
	.section	.AMDGPU.csdata,"",@progbits
; Kernel info:
; codeLenInByte = 1360
; TotalNumSgprs: 28
; NumVgprs: 25
; NumAgprs: 0
; TotalNumVgprs: 25
; ScratchSize: 0
; MemoryBound: 0
; FloatMode: 240
; IeeeMode: 1
; LDSByteSize: 0 bytes/workgroup (compile time only)
; SGPRBlocks: 3
; VGPRBlocks: 3
; NumSGPRsForWavesPerEU: 28
; NumVGPRsForWavesPerEU: 25
; AccumOffset: 28
; Occupancy: 8
; WaveLimiterHint : 1
; COMPUTE_PGM_RSRC2:SCRATCH_EN: 0
; COMPUTE_PGM_RSRC2:USER_SGPR: 2
; COMPUTE_PGM_RSRC2:TRAP_HANDLER: 0
; COMPUTE_PGM_RSRC2:TGID_X_EN: 1
; COMPUTE_PGM_RSRC2:TGID_Y_EN: 1
; COMPUTE_PGM_RSRC2:TGID_Z_EN: 1
; COMPUTE_PGM_RSRC2:TIDIG_COMP_CNT: 1
; COMPUTE_PGM_RSRC3_GFX90A:ACCUM_OFFSET: 6
; COMPUTE_PGM_RSRC3_GFX90A:TG_SPLIT: 0
	.section	.text._ZL44rocblas_set_matrix_zero_if_alpha_zero_kernelILi16ELi16EfPKPfEviiT1_lT2_lli,"axG",@progbits,_ZL44rocblas_set_matrix_zero_if_alpha_zero_kernelILi16ELi16EfPKPfEviiT1_lT2_lli,comdat
	.globl	_ZL44rocblas_set_matrix_zero_if_alpha_zero_kernelILi16ELi16EfPKPfEviiT1_lT2_lli ; -- Begin function _ZL44rocblas_set_matrix_zero_if_alpha_zero_kernelILi16ELi16EfPKPfEviiT1_lT2_lli
	.p2align	8
	.type	_ZL44rocblas_set_matrix_zero_if_alpha_zero_kernelILi16ELi16EfPKPfEviiT1_lT2_lli,@function
_ZL44rocblas_set_matrix_zero_if_alpha_zero_kernelILi16ELi16EfPKPfEviiT1_lT2_lli: ; @_ZL44rocblas_set_matrix_zero_if_alpha_zero_kernelILi16ELi16EfPKPfEviiT1_lT2_lli
; %bb.0:
	s_load_dwordx4 s[8:11], s[0:1], 0x0
	s_waitcnt lgkmcnt(0)
	v_cmp_neq_f32_e64 s[6:7], s10, 0
	s_and_b64 vcc, exec, s[6:7]
	s_cbranch_vccnz .LBB193_13
; %bb.1:
	v_and_b32_e32 v1, 0x3ff, v0
	v_mov_b32_e32 v7, 0
	v_bfe_u32 v0, v0, 10, 10
	v_lshl_add_u32 v6, s2, 4, v1
	v_lshl_add_u32 v0, s3, 4, v0
	v_mov_b32_e32 v1, v7
	s_ashr_i32 s3, s8, 31
	s_mov_b32 s2, s8
	s_ashr_i32 s7, s9, 31
	s_mov_b32 s6, s9
	v_cmp_gt_i64_e32 vcc, s[2:3], v[6:7]
	v_cmp_gt_i64_e64 s[2:3], s[6:7], v[0:1]
	s_and_b64 s[2:3], vcc, s[2:3]
	s_and_saveexec_b64 s[8:9], s[2:3]
	s_cbranch_execz .LBB193_13
; %bb.2:
	s_load_dwordx4 s[8:11], s[0:1], 0x18
	s_load_dwordx2 s[2:3], s[0:1], 0x28
	s_load_dword s12, s[0:1], 0x3c
	s_mov_b32 s5, 0
	s_lshl_b64 s[0:1], s[4:5], 3
	s_waitcnt lgkmcnt(0)
	s_add_u32 s8, s8, s0
	s_addc_u32 s9, s9, s1
	s_lshl_b32 s4, s12, 4
	v_lshl_add_u64 v[4:5], s[4:5], 0, v[0:1]
	v_mov_b32_e32 v2, s7
	v_cmp_lt_i64_e32 vcc, s[6:7], v[4:5]
	v_mov_b32_e32 v3, s5
	s_nop 0
	v_cndmask_b32_e32 v8, v2, v5, vcc
	v_mov_b32_e32 v2, s6
	v_cndmask_b32_e32 v9, v2, v4, vcc
	v_cmp_gt_i64_e32 vcc, s[6:7], v[4:5]
	s_nop 1
	v_cndmask_b32_e64 v2, 0, 1, vcc
	v_lshl_add_u64 v[4:5], v[4:5], 0, v[2:3]
	v_sub_co_u32_e32 v10, vcc, v9, v4
	v_mov_b32_e32 v4, v7
	s_nop 0
	v_subb_co_u32_e32 v5, vcc, v8, v5, vcc
	v_cmp_ne_u64_e32 vcc, 0, v[4:5]
                                        ; implicit-def: $vgpr8_vgpr9
	s_and_saveexec_b64 s[0:1], vcc
	s_xor_b64 s[12:13], exec, s[0:1]
	s_cbranch_execz .LBB193_4
; %bb.3:
	v_cvt_f32_u32_e32 v4, s4
	v_mov_b32_e32 v8, 0x4f800000
	s_sub_u32 s14, 0, s4
	s_subb_u32 s15, 0, 0
	v_fmac_f32_e32 v4, 0, v8
	v_rcp_f32_e32 v4, v4
	v_mov_b32_e32 v13, 0
	v_mul_f32_e32 v4, 0x5f7ffffc, v4
	v_mul_f32_e32 v8, 0x2f800000, v4
	v_trunc_f32_e32 v8, v8
	v_fmamk_f32 v4, v8, 0xcf800000, v4
	v_cvt_u32_f32_e32 v8, v8
	v_cvt_u32_f32_e32 v4, v4
	v_readfirstlane_b32 s16, v8
	v_readfirstlane_b32 s0, v4
	s_mul_i32 s1, s14, s16
	s_mul_hi_u32 s18, s14, s0
	s_mul_i32 s17, s15, s0
	s_add_i32 s1, s18, s1
	s_mul_i32 s19, s14, s0
	s_add_i32 s1, s1, s17
	s_mul_i32 s18, s0, s1
	s_mul_hi_u32 s20, s0, s19
	s_mul_hi_u32 s17, s0, s1
	s_add_u32 s18, s20, s18
	s_addc_u32 s17, 0, s17
	s_mul_hi_u32 s21, s16, s19
	s_mul_i32 s19, s16, s19
	s_add_u32 s18, s18, s19
	s_mul_hi_u32 s20, s16, s1
	s_addc_u32 s17, s17, s21
	s_addc_u32 s18, s20, 0
	s_mul_i32 s1, s16, s1
	s_add_u32 s1, s17, s1
	s_addc_u32 s17, 0, s18
	s_add_u32 s18, s0, s1
	s_cselect_b64 s[0:1], -1, 0
	s_cmp_lg_u64 s[0:1], 0
	s_addc_u32 s16, s16, s17
	s_mul_i32 s0, s14, s16
	s_mul_hi_u32 s1, s14, s18
	s_add_i32 s0, s1, s0
	s_mul_i32 s15, s15, s18
	s_add_i32 s0, s0, s15
	s_mul_i32 s14, s14, s18
	s_mul_hi_u32 s15, s16, s14
	s_mul_i32 s17, s16, s14
	s_mul_i32 s20, s18, s0
	s_mul_hi_u32 s14, s18, s14
	s_mul_hi_u32 s19, s18, s0
	s_add_u32 s14, s14, s20
	s_addc_u32 s19, 0, s19
	s_add_u32 s14, s14, s17
	s_mul_hi_u32 s1, s16, s0
	s_addc_u32 s14, s19, s15
	s_addc_u32 s1, s1, 0
	s_mul_i32 s0, s16, s0
	s_add_u32 s0, s14, s0
	s_addc_u32 s14, 0, s1
	s_add_u32 s15, s18, s0
	s_cselect_b64 s[0:1], -1, 0
	s_cmp_lg_u64 s[0:1], 0
	s_addc_u32 s14, s16, s14
	v_mad_u64_u32 v[8:9], s[0:1], v10, s14, 0
	v_mul_hi_u32 v12, v10, s15
	v_lshl_add_u64 v[8:9], v[12:13], 0, v[8:9]
	v_mad_u64_u32 v[16:17], s[0:1], v5, s15, 0
	v_add_co_u32_e32 v4, vcc, v8, v16
	v_mad_u64_u32 v[14:15], s[0:1], v5, s14, 0
	s_nop 0
	v_addc_co_u32_e32 v12, vcc, v9, v17, vcc
	s_nop 1
	v_addc_co_u32_e32 v15, vcc, 0, v15, vcc
	v_lshl_add_u64 v[8:9], v[12:13], 0, v[14:15]
	v_mad_u64_u32 v[12:13], s[0:1], s4, v8, 0
	v_mov_b32_e32 v4, v13
	v_mad_u64_u32 v[14:15], s[0:1], s4, v9, v[4:5]
	v_sub_co_u32_e32 v12, vcc, v10, v12
	v_lshl_add_u64 v[10:11], v[8:9], 0, 1
	s_nop 0
	v_subb_co_u32_e32 v13, vcc, v5, v14, vcc
	v_subrev_co_u32_e32 v4, vcc, s4, v12
	v_cmp_le_u32_e64 s[0:1], s4, v12
	s_nop 0
	v_subbrev_co_u32_e32 v5, vcc, 0, v13, vcc
	v_cmp_le_u32_e32 vcc, s4, v4
	s_nop 1
	v_cndmask_b32_e64 v4, 0, -1, vcc
	v_cmp_eq_u32_e32 vcc, 0, v5
	s_nop 1
	v_cndmask_b32_e32 v14, -1, v4, vcc
	v_lshl_add_u64 v[4:5], v[8:9], 0, 2
	v_cmp_ne_u32_e32 vcc, 0, v14
	s_nop 1
	v_cndmask_b32_e32 v5, v11, v5, vcc
	v_cndmask_b32_e64 v11, 0, -1, s[0:1]
	v_cmp_eq_u32_e64 s[0:1], 0, v13
	v_cndmask_b32_e32 v4, v10, v4, vcc
                                        ; implicit-def: $vgpr10
	s_nop 0
	v_cndmask_b32_e64 v11, -1, v11, s[0:1]
	v_cmp_ne_u32_e64 s[0:1], 0, v11
	s_nop 1
	v_cndmask_b32_e64 v9, v9, v5, s[0:1]
	v_cndmask_b32_e64 v8, v8, v4, s[0:1]
.LBB193_4:
	s_andn2_saveexec_b64 s[0:1], s[12:13]
	s_cbranch_execz .LBB193_6
; %bb.5:
	v_cvt_f32_u32_e32 v4, s4
	s_sub_i32 s12, 0, s4
	v_rcp_iflag_f32_e32 v4, v4
	s_nop 0
	v_mul_f32_e32 v4, 0x4f7ffffe, v4
	v_cvt_u32_f32_e32 v4, v4
	v_mul_lo_u32 v5, s12, v4
	v_mul_hi_u32 v5, v4, v5
	v_add_u32_e32 v4, v4, v5
	v_mul_hi_u32 v4, v10, v4
	v_mul_lo_u32 v5, v4, s4
	v_sub_u32_e32 v5, v10, v5
	v_add_u32_e32 v8, 1, v4
	v_subrev_u32_e32 v9, s4, v5
	v_cmp_le_u32_e32 vcc, s4, v5
	s_nop 1
	v_cndmask_b32_e32 v5, v5, v9, vcc
	v_cndmask_b32_e32 v4, v4, v8, vcc
	v_add_u32_e32 v8, 1, v4
	v_cmp_le_u32_e32 vcc, s4, v5
	v_mov_b32_e32 v9, 0
	s_nop 0
	v_cndmask_b32_e32 v8, v4, v8, vcc
.LBB193_6:
	s_or_b64 exec, exec, s[0:1]
	s_load_dwordx2 s[0:1], s[8:9], 0x0
	v_lshl_add_u64 v[2:3], v[8:9], 0, v[2:3]
	v_lshl_add_u64 v[8:9], v[2:3], 0, 1
	v_cmp_lt_u64_e32 vcc, 1, v[8:9]
	s_mov_b64 s[12:13], -1
	s_and_saveexec_b64 s[8:9], vcc
	s_cbranch_execz .LBB193_10
; %bb.7:
	s_lshl_b64 s[12:13], s[2:3], 2
	s_waitcnt lgkmcnt(0)
	s_add_u32 s12, s0, s12
	s_addc_u32 s13, s1, s13
	v_lshl_add_u64 v[2:3], v[0:1], 0, s[4:5]
	v_lshl_add_u64 v[12:13], v[6:7], 2, s[12:13]
	v_and_b32_e32 v10, -2, v8
	v_mov_b32_e32 v11, v9
	s_lshl_b64 s[12:13], s[4:5], 1
	v_mov_b64_e32 v[4:5], v[2:3]
	s_mov_b32 s18, s10
	s_mov_b32 s19, s11
	;; [unrolled: 1-line block ×4, first 2 shown]
	s_mov_b64 s[16:17], 0
	v_mov_b32_e32 v16, 0
	v_mov_b64_e32 v[14:15], v[10:11]
	v_mov_b64_e32 v[2:3], v[0:1]
.LBB193_8:                              ; =>This Inner Loop Header: Depth=1
	v_mul_lo_u32 v23, v3, s18
	v_mul_lo_u32 v24, v2, s19
	v_mad_u64_u32 v[20:21], s[20:21], v2, s18, 0
	v_lshl_add_u64 v[14:15], v[14:15], 0, -2
	v_mul_lo_u32 v17, v5, s10
	v_mul_lo_u32 v22, v4, s11
	v_mad_u64_u32 v[18:19], s[20:21], v4, s10, 0
	v_add3_u32 v21, v21, v24, v23
	v_cmp_eq_u64_e32 vcc, 0, v[14:15]
	v_lshl_add_u64 v[4:5], v[4:5], 0, s[14:15]
	v_lshl_add_u64 v[2:3], v[2:3], 0, s[12:13]
	v_add3_u32 v19, v19, v22, v17
	v_lshl_add_u64 v[20:21], v[20:21], 2, v[12:13]
	s_or_b64 s[16:17], vcc, s[16:17]
	v_lshl_add_u64 v[18:19], v[18:19], 2, v[12:13]
	flat_store_dword v[20:21], v16
	flat_store_dword v[18:19], v16
	s_andn2_b64 exec, exec, s[16:17]
	s_cbranch_execnz .LBB193_8
; %bb.9:
	s_or_b64 exec, exec, s[16:17]
	v_mad_u64_u32 v[0:1], s[12:13], v10, s4, v[0:1]
	v_mov_b32_e32 v2, v1
	v_mad_u64_u32 v[2:3], s[12:13], v11, s4, v[2:3]
	v_cmp_ne_u64_e32 vcc, v[8:9], v[10:11]
	v_mov_b32_e32 v1, v2
	s_orn2_b64 s[12:13], vcc, exec
.LBB193_10:
	s_or_b64 exec, exec, s[8:9]
	s_and_b64 exec, exec, s[12:13]
	s_cbranch_execz .LBB193_13
; %bb.11:
	v_mul_lo_u32 v4, v1, s10
	v_mul_lo_u32 v5, v0, s11
	v_mad_u64_u32 v[2:3], s[8:9], v0, s10, 0
	v_add3_u32 v3, v3, v5, v4
	s_lshl_b64 s[2:3], s[2:3], 2
	v_lshl_add_u64 v[2:3], v[2:3], 2, s[2:3]
	v_lshl_add_u64 v[2:3], v[6:7], 2, v[2:3]
	s_waitcnt lgkmcnt(0)
	v_lshl_add_u64 v[2:3], s[0:1], 0, v[2:3]
	s_mul_i32 s0, s11, s4
	s_mul_hi_u32 s1, s10, s4
	s_add_i32 s1, s1, s0
	s_mul_i32 s0, s10, s4
	s_lshl_b64 s[0:1], s[0:1], 2
	s_mov_b64 s[2:3], 0
	v_mov_b32_e32 v4, 0
.LBB193_12:                             ; =>This Inner Loop Header: Depth=1
	v_lshl_add_u64 v[0:1], v[0:1], 0, s[4:5]
	v_cmp_le_i64_e32 vcc, s[6:7], v[0:1]
	flat_store_dword v[2:3], v4
	s_or_b64 s[2:3], vcc, s[2:3]
	v_lshl_add_u64 v[2:3], v[2:3], 0, s[0:1]
	s_andn2_b64 exec, exec, s[2:3]
	s_cbranch_execnz .LBB193_12
.LBB193_13:
	s_endpgm
	.section	.rodata,"a",@progbits
	.p2align	6, 0x0
	.amdhsa_kernel _ZL44rocblas_set_matrix_zero_if_alpha_zero_kernelILi16ELi16EfPKPfEviiT1_lT2_lli
		.amdhsa_group_segment_fixed_size 0
		.amdhsa_private_segment_fixed_size 0
		.amdhsa_kernarg_size 312
		.amdhsa_user_sgpr_count 2
		.amdhsa_user_sgpr_dispatch_ptr 0
		.amdhsa_user_sgpr_queue_ptr 0
		.amdhsa_user_sgpr_kernarg_segment_ptr 1
		.amdhsa_user_sgpr_dispatch_id 0
		.amdhsa_user_sgpr_kernarg_preload_length 0
		.amdhsa_user_sgpr_kernarg_preload_offset 0
		.amdhsa_user_sgpr_private_segment_size 0
		.amdhsa_uses_dynamic_stack 0
		.amdhsa_enable_private_segment 0
		.amdhsa_system_sgpr_workgroup_id_x 1
		.amdhsa_system_sgpr_workgroup_id_y 1
		.amdhsa_system_sgpr_workgroup_id_z 1
		.amdhsa_system_sgpr_workgroup_info 0
		.amdhsa_system_vgpr_workitem_id 1
		.amdhsa_next_free_vgpr 25
		.amdhsa_next_free_sgpr 22
		.amdhsa_accum_offset 28
		.amdhsa_reserve_vcc 1
		.amdhsa_float_round_mode_32 0
		.amdhsa_float_round_mode_16_64 0
		.amdhsa_float_denorm_mode_32 3
		.amdhsa_float_denorm_mode_16_64 3
		.amdhsa_dx10_clamp 1
		.amdhsa_ieee_mode 1
		.amdhsa_fp16_overflow 0
		.amdhsa_tg_split 0
		.amdhsa_exception_fp_ieee_invalid_op 0
		.amdhsa_exception_fp_denorm_src 0
		.amdhsa_exception_fp_ieee_div_zero 0
		.amdhsa_exception_fp_ieee_overflow 0
		.amdhsa_exception_fp_ieee_underflow 0
		.amdhsa_exception_fp_ieee_inexact 0
		.amdhsa_exception_int_div_zero 0
	.end_amdhsa_kernel
	.section	.text._ZL44rocblas_set_matrix_zero_if_alpha_zero_kernelILi16ELi16EfPKPfEviiT1_lT2_lli,"axG",@progbits,_ZL44rocblas_set_matrix_zero_if_alpha_zero_kernelILi16ELi16EfPKPfEviiT1_lT2_lli,comdat
.Lfunc_end193:
	.size	_ZL44rocblas_set_matrix_zero_if_alpha_zero_kernelILi16ELi16EfPKPfEviiT1_lT2_lli, .Lfunc_end193-_ZL44rocblas_set_matrix_zero_if_alpha_zero_kernelILi16ELi16EfPKPfEviiT1_lT2_lli
                                        ; -- End function
	.set _ZL44rocblas_set_matrix_zero_if_alpha_zero_kernelILi16ELi16EfPKPfEviiT1_lT2_lli.num_vgpr, 25
	.set _ZL44rocblas_set_matrix_zero_if_alpha_zero_kernelILi16ELi16EfPKPfEviiT1_lT2_lli.num_agpr, 0
	.set _ZL44rocblas_set_matrix_zero_if_alpha_zero_kernelILi16ELi16EfPKPfEviiT1_lT2_lli.numbered_sgpr, 22
	.set _ZL44rocblas_set_matrix_zero_if_alpha_zero_kernelILi16ELi16EfPKPfEviiT1_lT2_lli.num_named_barrier, 0
	.set _ZL44rocblas_set_matrix_zero_if_alpha_zero_kernelILi16ELi16EfPKPfEviiT1_lT2_lli.private_seg_size, 0
	.set _ZL44rocblas_set_matrix_zero_if_alpha_zero_kernelILi16ELi16EfPKPfEviiT1_lT2_lli.uses_vcc, 1
	.set _ZL44rocblas_set_matrix_zero_if_alpha_zero_kernelILi16ELi16EfPKPfEviiT1_lT2_lli.uses_flat_scratch, 0
	.set _ZL44rocblas_set_matrix_zero_if_alpha_zero_kernelILi16ELi16EfPKPfEviiT1_lT2_lli.has_dyn_sized_stack, 0
	.set _ZL44rocblas_set_matrix_zero_if_alpha_zero_kernelILi16ELi16EfPKPfEviiT1_lT2_lli.has_recursion, 0
	.set _ZL44rocblas_set_matrix_zero_if_alpha_zero_kernelILi16ELi16EfPKPfEviiT1_lT2_lli.has_indirect_call, 0
	.section	.AMDGPU.csdata,"",@progbits
; Kernel info:
; codeLenInByte = 1316
; TotalNumSgprs: 28
; NumVgprs: 25
; NumAgprs: 0
; TotalNumVgprs: 25
; ScratchSize: 0
; MemoryBound: 0
; FloatMode: 240
; IeeeMode: 1
; LDSByteSize: 0 bytes/workgroup (compile time only)
; SGPRBlocks: 3
; VGPRBlocks: 3
; NumSGPRsForWavesPerEU: 28
; NumVGPRsForWavesPerEU: 25
; AccumOffset: 28
; Occupancy: 8
; WaveLimiterHint : 1
; COMPUTE_PGM_RSRC2:SCRATCH_EN: 0
; COMPUTE_PGM_RSRC2:USER_SGPR: 2
; COMPUTE_PGM_RSRC2:TRAP_HANDLER: 0
; COMPUTE_PGM_RSRC2:TGID_X_EN: 1
; COMPUTE_PGM_RSRC2:TGID_Y_EN: 1
; COMPUTE_PGM_RSRC2:TGID_Z_EN: 1
; COMPUTE_PGM_RSRC2:TIDIG_COMP_CNT: 1
; COMPUTE_PGM_RSRC3_GFX90A:ACCUM_OFFSET: 6
; COMPUTE_PGM_RSRC3_GFX90A:TG_SPLIT: 0
	.section	.text._ZL44rocblas_set_matrix_zero_if_alpha_zero_kernelILi16ELi16EPKfPfEviiT1_lT2_lli,"axG",@progbits,_ZL44rocblas_set_matrix_zero_if_alpha_zero_kernelILi16ELi16EPKfPfEviiT1_lT2_lli,comdat
	.globl	_ZL44rocblas_set_matrix_zero_if_alpha_zero_kernelILi16ELi16EPKfPfEviiT1_lT2_lli ; -- Begin function _ZL44rocblas_set_matrix_zero_if_alpha_zero_kernelILi16ELi16EPKfPfEviiT1_lT2_lli
	.p2align	8
	.type	_ZL44rocblas_set_matrix_zero_if_alpha_zero_kernelILi16ELi16EPKfPfEviiT1_lT2_lli,@function
_ZL44rocblas_set_matrix_zero_if_alpha_zero_kernelILi16ELi16EPKfPfEviiT1_lT2_lli: ; @_ZL44rocblas_set_matrix_zero_if_alpha_zero_kernelILi16ELi16EPKfPfEviiT1_lT2_lli
; %bb.0:
	s_load_dwordx8 s[8:15], s[0:1], 0x8
	s_waitcnt lgkmcnt(0)
	s_mul_i32 s5, s11, s4
	s_mul_hi_u32 s6, s10, s4
	s_add_i32 s7, s6, s5
	s_mul_i32 s6, s10, s4
	s_lshl_b64 s[6:7], s[6:7], 2
	s_add_u32 s6, s8, s6
	s_addc_u32 s7, s9, s7
	s_load_dword s5, s[6:7], 0x0
	s_waitcnt lgkmcnt(0)
	v_cmp_neq_f32_e64 s[6:7], s5, 0
	s_and_b64 vcc, exec, s[6:7]
	s_cbranch_vccnz .LBB194_13
; %bb.1:
	s_load_dwordx2 s[8:9], s[0:1], 0x0
	v_and_b32_e32 v1, 0x3ff, v0
	v_mov_b32_e32 v7, 0
	v_bfe_u32 v0, v0, 10, 10
	v_lshl_add_u32 v6, s2, 4, v1
	v_lshl_add_u32 v0, s3, 4, v0
	v_mov_b32_e32 v1, v7
	s_waitcnt lgkmcnt(0)
	s_ashr_i32 s3, s8, 31
	s_mov_b32 s2, s8
	s_ashr_i32 s7, s9, 31
	s_mov_b32 s6, s9
	v_cmp_gt_i64_e32 vcc, s[2:3], v[6:7]
	v_cmp_gt_i64_e64 s[2:3], s[6:7], v[0:1]
	s_and_b64 s[2:3], vcc, s[2:3]
	s_and_saveexec_b64 s[8:9], s[2:3]
	s_cbranch_execz .LBB194_13
; %bb.2:
	s_load_dword s2, s[0:1], 0x3c
	s_load_dwordx2 s[8:9], s[0:1], 0x28
	s_mov_b32 s3, 0
	v_mov_b32_e32 v2, s7
	v_mov_b32_e32 v3, s3
	s_waitcnt lgkmcnt(0)
	s_lshl_b32 s2, s2, 4
	v_lshl_add_u64 v[4:5], s[2:3], 0, v[0:1]
	v_cmp_lt_i64_e32 vcc, s[6:7], v[4:5]
	s_nop 1
	v_cndmask_b32_e32 v8, v2, v5, vcc
	v_mov_b32_e32 v2, s6
	v_cndmask_b32_e32 v9, v2, v4, vcc
	v_cmp_gt_i64_e32 vcc, s[6:7], v[4:5]
	s_nop 1
	v_cndmask_b32_e64 v2, 0, 1, vcc
	v_lshl_add_u64 v[4:5], v[4:5], 0, v[2:3]
	v_sub_co_u32_e32 v10, vcc, v9, v4
	v_mov_b32_e32 v4, v7
	s_nop 0
	v_subb_co_u32_e32 v5, vcc, v8, v5, vcc
	v_cmp_ne_u64_e32 vcc, 0, v[4:5]
                                        ; implicit-def: $vgpr8_vgpr9
	s_and_saveexec_b64 s[0:1], vcc
	s_xor_b64 s[10:11], exec, s[0:1]
	s_cbranch_execz .LBB194_4
; %bb.3:
	v_cvt_f32_u32_e32 v4, s2
	v_mov_b32_e32 v8, 0x4f800000
	s_sub_u32 s5, 0, s2
	s_subb_u32 s16, 0, 0
	v_fmac_f32_e32 v4, 0, v8
	v_rcp_f32_e32 v4, v4
	v_mov_b32_e32 v13, 0
	v_mul_f32_e32 v4, 0x5f7ffffc, v4
	v_mul_f32_e32 v8, 0x2f800000, v4
	v_trunc_f32_e32 v8, v8
	v_fmamk_f32 v4, v8, 0xcf800000, v4
	v_cvt_u32_f32_e32 v8, v8
	v_cvt_u32_f32_e32 v4, v4
	v_readfirstlane_b32 s17, v8
	v_readfirstlane_b32 s0, v4
	s_mul_i32 s1, s5, s17
	s_mul_hi_u32 s19, s5, s0
	s_mul_i32 s18, s16, s0
	s_add_i32 s1, s19, s1
	s_mul_i32 s20, s5, s0
	s_add_i32 s1, s1, s18
	s_mul_i32 s19, s0, s1
	s_mul_hi_u32 s21, s0, s20
	s_mul_hi_u32 s18, s0, s1
	s_add_u32 s19, s21, s19
	s_addc_u32 s18, 0, s18
	s_mul_hi_u32 s22, s17, s20
	s_mul_i32 s20, s17, s20
	s_add_u32 s19, s19, s20
	s_mul_hi_u32 s21, s17, s1
	s_addc_u32 s18, s18, s22
	s_addc_u32 s19, s21, 0
	s_mul_i32 s1, s17, s1
	s_add_u32 s1, s18, s1
	s_addc_u32 s18, 0, s19
	s_add_u32 s19, s0, s1
	s_cselect_b64 s[0:1], -1, 0
	s_cmp_lg_u64 s[0:1], 0
	s_addc_u32 s17, s17, s18
	s_mul_i32 s0, s5, s17
	s_mul_hi_u32 s1, s5, s19
	s_add_i32 s0, s1, s0
	s_mul_i32 s16, s16, s19
	s_add_i32 s0, s0, s16
	s_mul_i32 s5, s5, s19
	s_mul_hi_u32 s16, s17, s5
	s_mul_i32 s18, s17, s5
	s_mul_i32 s21, s19, s0
	s_mul_hi_u32 s5, s19, s5
	s_mul_hi_u32 s20, s19, s0
	s_add_u32 s5, s5, s21
	s_addc_u32 s20, 0, s20
	s_add_u32 s5, s5, s18
	s_mul_hi_u32 s1, s17, s0
	s_addc_u32 s5, s20, s16
	s_addc_u32 s1, s1, 0
	s_mul_i32 s0, s17, s0
	s_add_u32 s0, s5, s0
	s_addc_u32 s5, 0, s1
	s_add_u32 s16, s19, s0
	s_cselect_b64 s[0:1], -1, 0
	s_cmp_lg_u64 s[0:1], 0
	s_addc_u32 s5, s17, s5
	v_mad_u64_u32 v[8:9], s[0:1], v10, s5, 0
	v_mul_hi_u32 v12, v10, s16
	v_lshl_add_u64 v[8:9], v[12:13], 0, v[8:9]
	v_mad_u64_u32 v[16:17], s[0:1], v5, s16, 0
	v_add_co_u32_e32 v4, vcc, v8, v16
	v_mad_u64_u32 v[14:15], s[0:1], v5, s5, 0
	s_nop 0
	v_addc_co_u32_e32 v12, vcc, v9, v17, vcc
	s_nop 1
	v_addc_co_u32_e32 v15, vcc, 0, v15, vcc
	v_lshl_add_u64 v[8:9], v[12:13], 0, v[14:15]
	v_mad_u64_u32 v[12:13], s[0:1], s2, v8, 0
	v_mov_b32_e32 v4, v13
	v_mad_u64_u32 v[14:15], s[0:1], s2, v9, v[4:5]
	v_sub_co_u32_e32 v12, vcc, v10, v12
	v_lshl_add_u64 v[10:11], v[8:9], 0, 1
	s_nop 0
	v_subb_co_u32_e32 v13, vcc, v5, v14, vcc
	v_subrev_co_u32_e32 v4, vcc, s2, v12
	v_cmp_le_u32_e64 s[0:1], s2, v12
	s_nop 0
	v_subbrev_co_u32_e32 v5, vcc, 0, v13, vcc
	v_cmp_le_u32_e32 vcc, s2, v4
	s_nop 1
	v_cndmask_b32_e64 v4, 0, -1, vcc
	v_cmp_eq_u32_e32 vcc, 0, v5
	s_nop 1
	v_cndmask_b32_e32 v14, -1, v4, vcc
	v_lshl_add_u64 v[4:5], v[8:9], 0, 2
	v_cmp_ne_u32_e32 vcc, 0, v14
	s_nop 1
	v_cndmask_b32_e32 v5, v11, v5, vcc
	v_cndmask_b32_e64 v11, 0, -1, s[0:1]
	v_cmp_eq_u32_e64 s[0:1], 0, v13
	v_cndmask_b32_e32 v4, v10, v4, vcc
                                        ; implicit-def: $vgpr10
	s_nop 0
	v_cndmask_b32_e64 v11, -1, v11, s[0:1]
	v_cmp_ne_u32_e64 s[0:1], 0, v11
	s_nop 1
	v_cndmask_b32_e64 v9, v9, v5, s[0:1]
	v_cndmask_b32_e64 v8, v8, v4, s[0:1]
.LBB194_4:
	s_andn2_saveexec_b64 s[0:1], s[10:11]
	s_cbranch_execz .LBB194_6
; %bb.5:
	v_cvt_f32_u32_e32 v4, s2
	s_sub_i32 s5, 0, s2
	v_rcp_iflag_f32_e32 v4, v4
	s_nop 0
	v_mul_f32_e32 v4, 0x4f7ffffe, v4
	v_cvt_u32_f32_e32 v4, v4
	v_mul_lo_u32 v5, s5, v4
	v_mul_hi_u32 v5, v4, v5
	v_add_u32_e32 v4, v4, v5
	v_mul_hi_u32 v4, v10, v4
	v_mul_lo_u32 v5, v4, s2
	v_sub_u32_e32 v5, v10, v5
	v_add_u32_e32 v8, 1, v4
	v_subrev_u32_e32 v9, s2, v5
	v_cmp_le_u32_e32 vcc, s2, v5
	s_nop 1
	v_cndmask_b32_e32 v5, v5, v9, vcc
	v_cndmask_b32_e32 v4, v4, v8, vcc
	v_add_u32_e32 v8, 1, v4
	v_cmp_le_u32_e32 vcc, s2, v5
	v_mov_b32_e32 v9, 0
	s_nop 0
	v_cndmask_b32_e32 v8, v4, v8, vcc
.LBB194_6:
	s_or_b64 exec, exec, s[0:1]
	v_lshl_add_u64 v[2:3], v[8:9], 0, v[2:3]
	s_mul_i32 s0, s9, s4
	s_mul_hi_u32 s1, s8, s4
	v_lshl_add_u64 v[8:9], v[2:3], 0, 1
	s_add_i32 s1, s1, s0
	s_mul_i32 s0, s8, s4
	v_cmp_lt_u64_e32 vcc, 1, v[8:9]
	s_mov_b64 s[8:9], -1
	s_and_saveexec_b64 s[4:5], vcc
	s_cbranch_execz .LBB194_10
; %bb.7:
	s_lshl_b64 s[8:9], s[0:1], 2
	s_add_u32 s8, s12, s8
	s_addc_u32 s9, s13, s9
	v_lshl_add_u64 v[2:3], v[0:1], 0, s[2:3]
	v_lshl_add_u64 v[12:13], v[6:7], 2, s[8:9]
	v_and_b32_e32 v10, -2, v8
	v_mov_b32_e32 v11, v9
	s_lshl_b64 s[8:9], s[2:3], 1
	v_mov_b64_e32 v[4:5], v[2:3]
	s_mov_b32 s18, s14
	s_mov_b32 s19, s15
	;; [unrolled: 1-line block ×6, first 2 shown]
	s_mov_b64 s[16:17], 0
	v_mov_b32_e32 v16, 0
	v_mov_b64_e32 v[14:15], v[10:11]
	v_mov_b64_e32 v[2:3], v[0:1]
.LBB194_8:                              ; =>This Inner Loop Header: Depth=1
	v_mul_lo_u32 v23, v3, s18
	v_mul_lo_u32 v24, v2, s19
	v_mad_u64_u32 v[20:21], s[22:23], v2, s18, 0
	v_lshl_add_u64 v[14:15], v[14:15], 0, -2
	v_mul_lo_u32 v17, v5, s20
	v_mul_lo_u32 v22, v4, s21
	v_mad_u64_u32 v[18:19], s[22:23], v4, s20, 0
	v_add3_u32 v21, v21, v24, v23
	v_cmp_eq_u64_e32 vcc, 0, v[14:15]
	v_lshl_add_u64 v[4:5], v[4:5], 0, s[10:11]
	v_lshl_add_u64 v[2:3], v[2:3], 0, s[8:9]
	v_add3_u32 v19, v19, v22, v17
	v_lshl_add_u64 v[20:21], v[20:21], 2, v[12:13]
	s_or_b64 s[16:17], vcc, s[16:17]
	v_lshl_add_u64 v[18:19], v[18:19], 2, v[12:13]
	global_store_dword v[20:21], v16, off
	global_store_dword v[18:19], v16, off
	s_andn2_b64 exec, exec, s[16:17]
	s_cbranch_execnz .LBB194_8
; %bb.9:
	s_or_b64 exec, exec, s[16:17]
	v_mad_u64_u32 v[0:1], s[8:9], v10, s2, v[0:1]
	v_mov_b32_e32 v2, v1
	v_mad_u64_u32 v[2:3], s[8:9], v11, s2, v[2:3]
	v_cmp_ne_u64_e32 vcc, v[8:9], v[10:11]
	v_mov_b32_e32 v1, v2
	s_orn2_b64 s[8:9], vcc, exec
.LBB194_10:
	s_or_b64 exec, exec, s[4:5]
	s_and_b64 exec, exec, s[8:9]
	s_cbranch_execz .LBB194_13
; %bb.11:
	v_mul_lo_u32 v4, v1, s14
	v_mul_lo_u32 v5, v0, s15
	v_mad_u64_u32 v[2:3], s[4:5], v0, s14, 0
	v_add3_u32 v3, v3, v5, v4
	s_lshl_b64 s[0:1], s[0:1], 2
	v_lshl_add_u64 v[2:3], v[2:3], 2, s[0:1]
	s_mul_i32 s0, s15, s2
	s_mul_hi_u32 s1, s14, s2
	v_lshl_add_u64 v[2:3], v[6:7], 2, v[2:3]
	s_add_i32 s1, s1, s0
	s_mul_i32 s0, s14, s2
	v_lshl_add_u64 v[2:3], s[12:13], 0, v[2:3]
	s_lshl_b64 s[0:1], s[0:1], 2
	s_mov_b64 s[4:5], 0
	v_mov_b32_e32 v4, 0
.LBB194_12:                             ; =>This Inner Loop Header: Depth=1
	v_lshl_add_u64 v[0:1], v[0:1], 0, s[2:3]
	v_cmp_le_i64_e32 vcc, s[6:7], v[0:1]
	global_store_dword v[2:3], v4, off
	s_or_b64 s[4:5], vcc, s[4:5]
	v_lshl_add_u64 v[2:3], v[2:3], 0, s[0:1]
	s_andn2_b64 exec, exec, s[4:5]
	s_cbranch_execnz .LBB194_12
.LBB194_13:
	s_endpgm
	.section	.rodata,"a",@progbits
	.p2align	6, 0x0
	.amdhsa_kernel _ZL44rocblas_set_matrix_zero_if_alpha_zero_kernelILi16ELi16EPKfPfEviiT1_lT2_lli
		.amdhsa_group_segment_fixed_size 0
		.amdhsa_private_segment_fixed_size 0
		.amdhsa_kernarg_size 312
		.amdhsa_user_sgpr_count 2
		.amdhsa_user_sgpr_dispatch_ptr 0
		.amdhsa_user_sgpr_queue_ptr 0
		.amdhsa_user_sgpr_kernarg_segment_ptr 1
		.amdhsa_user_sgpr_dispatch_id 0
		.amdhsa_user_sgpr_kernarg_preload_length 0
		.amdhsa_user_sgpr_kernarg_preload_offset 0
		.amdhsa_user_sgpr_private_segment_size 0
		.amdhsa_uses_dynamic_stack 0
		.amdhsa_enable_private_segment 0
		.amdhsa_system_sgpr_workgroup_id_x 1
		.amdhsa_system_sgpr_workgroup_id_y 1
		.amdhsa_system_sgpr_workgroup_id_z 1
		.amdhsa_system_sgpr_workgroup_info 0
		.amdhsa_system_vgpr_workitem_id 1
		.amdhsa_next_free_vgpr 25
		.amdhsa_next_free_sgpr 24
		.amdhsa_accum_offset 28
		.amdhsa_reserve_vcc 1
		.amdhsa_float_round_mode_32 0
		.amdhsa_float_round_mode_16_64 0
		.amdhsa_float_denorm_mode_32 3
		.amdhsa_float_denorm_mode_16_64 3
		.amdhsa_dx10_clamp 1
		.amdhsa_ieee_mode 1
		.amdhsa_fp16_overflow 0
		.amdhsa_tg_split 0
		.amdhsa_exception_fp_ieee_invalid_op 0
		.amdhsa_exception_fp_denorm_src 0
		.amdhsa_exception_fp_ieee_div_zero 0
		.amdhsa_exception_fp_ieee_overflow 0
		.amdhsa_exception_fp_ieee_underflow 0
		.amdhsa_exception_fp_ieee_inexact 0
		.amdhsa_exception_int_div_zero 0
	.end_amdhsa_kernel
	.section	.text._ZL44rocblas_set_matrix_zero_if_alpha_zero_kernelILi16ELi16EPKfPfEviiT1_lT2_lli,"axG",@progbits,_ZL44rocblas_set_matrix_zero_if_alpha_zero_kernelILi16ELi16EPKfPfEviiT1_lT2_lli,comdat
.Lfunc_end194:
	.size	_ZL44rocblas_set_matrix_zero_if_alpha_zero_kernelILi16ELi16EPKfPfEviiT1_lT2_lli, .Lfunc_end194-_ZL44rocblas_set_matrix_zero_if_alpha_zero_kernelILi16ELi16EPKfPfEviiT1_lT2_lli
                                        ; -- End function
	.set _ZL44rocblas_set_matrix_zero_if_alpha_zero_kernelILi16ELi16EPKfPfEviiT1_lT2_lli.num_vgpr, 25
	.set _ZL44rocblas_set_matrix_zero_if_alpha_zero_kernelILi16ELi16EPKfPfEviiT1_lT2_lli.num_agpr, 0
	.set _ZL44rocblas_set_matrix_zero_if_alpha_zero_kernelILi16ELi16EPKfPfEviiT1_lT2_lli.numbered_sgpr, 24
	.set _ZL44rocblas_set_matrix_zero_if_alpha_zero_kernelILi16ELi16EPKfPfEviiT1_lT2_lli.num_named_barrier, 0
	.set _ZL44rocblas_set_matrix_zero_if_alpha_zero_kernelILi16ELi16EPKfPfEviiT1_lT2_lli.private_seg_size, 0
	.set _ZL44rocblas_set_matrix_zero_if_alpha_zero_kernelILi16ELi16EPKfPfEviiT1_lT2_lli.uses_vcc, 1
	.set _ZL44rocblas_set_matrix_zero_if_alpha_zero_kernelILi16ELi16EPKfPfEviiT1_lT2_lli.uses_flat_scratch, 0
	.set _ZL44rocblas_set_matrix_zero_if_alpha_zero_kernelILi16ELi16EPKfPfEviiT1_lT2_lli.has_dyn_sized_stack, 0
	.set _ZL44rocblas_set_matrix_zero_if_alpha_zero_kernelILi16ELi16EPKfPfEviiT1_lT2_lli.has_recursion, 0
	.set _ZL44rocblas_set_matrix_zero_if_alpha_zero_kernelILi16ELi16EPKfPfEviiT1_lT2_lli.has_indirect_call, 0
	.section	.AMDGPU.csdata,"",@progbits
; Kernel info:
; codeLenInByte = 1356
; TotalNumSgprs: 30
; NumVgprs: 25
; NumAgprs: 0
; TotalNumVgprs: 25
; ScratchSize: 0
; MemoryBound: 0
; FloatMode: 240
; IeeeMode: 1
; LDSByteSize: 0 bytes/workgroup (compile time only)
; SGPRBlocks: 3
; VGPRBlocks: 3
; NumSGPRsForWavesPerEU: 30
; NumVGPRsForWavesPerEU: 25
; AccumOffset: 28
; Occupancy: 8
; WaveLimiterHint : 0
; COMPUTE_PGM_RSRC2:SCRATCH_EN: 0
; COMPUTE_PGM_RSRC2:USER_SGPR: 2
; COMPUTE_PGM_RSRC2:TRAP_HANDLER: 0
; COMPUTE_PGM_RSRC2:TGID_X_EN: 1
; COMPUTE_PGM_RSRC2:TGID_Y_EN: 1
; COMPUTE_PGM_RSRC2:TGID_Z_EN: 1
; COMPUTE_PGM_RSRC2:TIDIG_COMP_CNT: 1
; COMPUTE_PGM_RSRC3_GFX90A:ACCUM_OFFSET: 6
; COMPUTE_PGM_RSRC3_GFX90A:TG_SPLIT: 0
	.section	.text._ZL44rocblas_set_matrix_zero_if_alpha_zero_kernelILi16ELi16EfPfEviiT1_lT2_lli,"axG",@progbits,_ZL44rocblas_set_matrix_zero_if_alpha_zero_kernelILi16ELi16EfPfEviiT1_lT2_lli,comdat
	.globl	_ZL44rocblas_set_matrix_zero_if_alpha_zero_kernelILi16ELi16EfPfEviiT1_lT2_lli ; -- Begin function _ZL44rocblas_set_matrix_zero_if_alpha_zero_kernelILi16ELi16EfPfEviiT1_lT2_lli
	.p2align	8
	.type	_ZL44rocblas_set_matrix_zero_if_alpha_zero_kernelILi16ELi16EfPfEviiT1_lT2_lli,@function
_ZL44rocblas_set_matrix_zero_if_alpha_zero_kernelILi16ELi16EfPfEviiT1_lT2_lli: ; @_ZL44rocblas_set_matrix_zero_if_alpha_zero_kernelILi16ELi16EfPfEviiT1_lT2_lli
; %bb.0:
	s_load_dwordx4 s[8:11], s[0:1], 0x0
	s_waitcnt lgkmcnt(0)
	v_cmp_neq_f32_e64 s[6:7], s10, 0
	s_and_b64 vcc, exec, s[6:7]
	s_cbranch_vccnz .LBB195_13
; %bb.1:
	v_and_b32_e32 v1, 0x3ff, v0
	v_mov_b32_e32 v7, 0
	v_bfe_u32 v0, v0, 10, 10
	v_lshl_add_u32 v6, s2, 4, v1
	v_lshl_add_u32 v0, s3, 4, v0
	v_mov_b32_e32 v1, v7
	s_ashr_i32 s3, s8, 31
	s_mov_b32 s2, s8
	s_ashr_i32 s7, s9, 31
	s_mov_b32 s6, s9
	v_cmp_gt_i64_e32 vcc, s[2:3], v[6:7]
	v_cmp_gt_i64_e64 s[2:3], s[6:7], v[0:1]
	s_and_b64 s[2:3], vcc, s[2:3]
	s_and_saveexec_b64 s[8:9], s[2:3]
	s_cbranch_execz .LBB195_13
; %bb.2:
	s_load_dword s2, s[0:1], 0x3c
	s_mov_b32 s13, 0
	v_mov_b32_e32 v2, s7
	v_mov_b32_e32 v3, s6
	s_waitcnt lgkmcnt(0)
	s_lshl_b32 s12, s2, 4
	v_lshl_add_u64 v[4:5], s[12:13], 0, v[0:1]
	v_cmp_lt_i64_e32 vcc, s[6:7], v[4:5]
	s_nop 1
	v_cndmask_b32_e32 v8, v2, v5, vcc
	v_cndmask_b32_e32 v9, v3, v4, vcc
	v_cmp_gt_i64_e32 vcc, s[6:7], v[4:5]
	v_mov_b32_e32 v3, s13
	s_nop 0
	v_cndmask_b32_e64 v2, 0, 1, vcc
	v_lshl_add_u64 v[4:5], v[4:5], 0, v[2:3]
	v_sub_co_u32_e32 v10, vcc, v9, v4
	v_mov_b32_e32 v4, v7
	s_nop 0
	v_subb_co_u32_e32 v5, vcc, v8, v5, vcc
	v_cmp_ne_u64_e32 vcc, 0, v[4:5]
                                        ; implicit-def: $vgpr8_vgpr9
	s_and_saveexec_b64 s[2:3], vcc
	s_xor_b64 s[8:9], exec, s[2:3]
	s_cbranch_execz .LBB195_4
; %bb.3:
	v_cvt_f32_u32_e32 v4, s12
	v_mov_b32_e32 v8, 0x4f800000
	s_sub_u32 s5, 0, s12
	s_subb_u32 s10, 0, 0
	v_fmac_f32_e32 v4, 0, v8
	v_rcp_f32_e32 v4, v4
	v_mov_b32_e32 v13, 0
	v_mul_f32_e32 v4, 0x5f7ffffc, v4
	v_mul_f32_e32 v8, 0x2f800000, v4
	v_trunc_f32_e32 v8, v8
	v_fmamk_f32 v4, v8, 0xcf800000, v4
	v_cvt_u32_f32_e32 v8, v8
	v_cvt_u32_f32_e32 v4, v4
	v_readfirstlane_b32 s11, v8
	v_readfirstlane_b32 s2, v4
	s_mul_i32 s3, s5, s11
	s_mul_hi_u32 s15, s5, s2
	s_mul_i32 s14, s10, s2
	s_add_i32 s3, s15, s3
	s_mul_i32 s16, s5, s2
	s_add_i32 s3, s3, s14
	s_mul_i32 s15, s2, s3
	s_mul_hi_u32 s17, s2, s16
	s_mul_hi_u32 s14, s2, s3
	s_add_u32 s15, s17, s15
	s_addc_u32 s14, 0, s14
	s_mul_hi_u32 s18, s11, s16
	s_mul_i32 s16, s11, s16
	s_add_u32 s15, s15, s16
	s_mul_hi_u32 s17, s11, s3
	s_addc_u32 s14, s14, s18
	s_addc_u32 s15, s17, 0
	s_mul_i32 s3, s11, s3
	s_add_u32 s3, s14, s3
	s_addc_u32 s14, 0, s15
	s_add_u32 s15, s2, s3
	s_cselect_b64 s[2:3], -1, 0
	s_cmp_lg_u64 s[2:3], 0
	s_addc_u32 s11, s11, s14
	s_mul_i32 s2, s5, s11
	s_mul_hi_u32 s3, s5, s15
	s_add_i32 s2, s3, s2
	s_mul_i32 s10, s10, s15
	s_add_i32 s2, s2, s10
	s_mul_i32 s5, s5, s15
	s_mul_hi_u32 s10, s11, s5
	s_mul_i32 s14, s11, s5
	s_mul_i32 s17, s15, s2
	s_mul_hi_u32 s5, s15, s5
	s_mul_hi_u32 s16, s15, s2
	s_add_u32 s5, s5, s17
	s_addc_u32 s16, 0, s16
	s_add_u32 s5, s5, s14
	s_mul_hi_u32 s3, s11, s2
	s_addc_u32 s5, s16, s10
	s_addc_u32 s3, s3, 0
	s_mul_i32 s2, s11, s2
	s_add_u32 s2, s5, s2
	s_addc_u32 s5, 0, s3
	s_add_u32 s10, s15, s2
	s_cselect_b64 s[2:3], -1, 0
	s_cmp_lg_u64 s[2:3], 0
	s_addc_u32 s5, s11, s5
	v_mad_u64_u32 v[8:9], s[2:3], v10, s5, 0
	v_mul_hi_u32 v12, v10, s10
	v_lshl_add_u64 v[8:9], v[12:13], 0, v[8:9]
	v_mad_u64_u32 v[16:17], s[2:3], v5, s10, 0
	v_add_co_u32_e32 v4, vcc, v8, v16
	v_mad_u64_u32 v[14:15], s[2:3], v5, s5, 0
	s_nop 0
	v_addc_co_u32_e32 v12, vcc, v9, v17, vcc
	s_nop 1
	v_addc_co_u32_e32 v15, vcc, 0, v15, vcc
	v_lshl_add_u64 v[8:9], v[12:13], 0, v[14:15]
	v_mad_u64_u32 v[12:13], s[2:3], s12, v8, 0
	v_mov_b32_e32 v4, v13
	v_mad_u64_u32 v[14:15], s[2:3], s12, v9, v[4:5]
	v_sub_co_u32_e32 v12, vcc, v10, v12
	v_lshl_add_u64 v[10:11], v[8:9], 0, 1
	s_nop 0
	v_subb_co_u32_e32 v13, vcc, v5, v14, vcc
	v_subrev_co_u32_e32 v4, vcc, s12, v12
	v_cmp_le_u32_e64 s[2:3], s12, v12
	s_nop 0
	v_subbrev_co_u32_e32 v5, vcc, 0, v13, vcc
	v_cmp_le_u32_e32 vcc, s12, v4
	s_nop 1
	v_cndmask_b32_e64 v4, 0, -1, vcc
	v_cmp_eq_u32_e32 vcc, 0, v5
	s_nop 1
	v_cndmask_b32_e32 v14, -1, v4, vcc
	v_lshl_add_u64 v[4:5], v[8:9], 0, 2
	v_cmp_ne_u32_e32 vcc, 0, v14
	s_nop 1
	v_cndmask_b32_e32 v5, v11, v5, vcc
	v_cndmask_b32_e64 v11, 0, -1, s[2:3]
	v_cmp_eq_u32_e64 s[2:3], 0, v13
	v_cndmask_b32_e32 v4, v10, v4, vcc
                                        ; implicit-def: $vgpr10
	s_nop 0
	v_cndmask_b32_e64 v11, -1, v11, s[2:3]
	v_cmp_ne_u32_e64 s[2:3], 0, v11
	s_nop 1
	v_cndmask_b32_e64 v9, v9, v5, s[2:3]
	v_cndmask_b32_e64 v8, v8, v4, s[2:3]
.LBB195_4:
	s_andn2_saveexec_b64 s[2:3], s[8:9]
	s_cbranch_execz .LBB195_6
; %bb.5:
	v_cvt_f32_u32_e32 v4, s12
	s_sub_i32 s5, 0, s12
	v_rcp_iflag_f32_e32 v4, v4
	s_nop 0
	v_mul_f32_e32 v4, 0x4f7ffffe, v4
	v_cvt_u32_f32_e32 v4, v4
	v_mul_lo_u32 v5, s5, v4
	v_mul_hi_u32 v5, v4, v5
	v_add_u32_e32 v4, v4, v5
	v_mul_hi_u32 v4, v10, v4
	v_mul_lo_u32 v5, v4, s12
	v_sub_u32_e32 v5, v10, v5
	v_add_u32_e32 v8, 1, v4
	v_subrev_u32_e32 v9, s12, v5
	v_cmp_le_u32_e32 vcc, s12, v5
	s_nop 1
	v_cndmask_b32_e32 v5, v5, v9, vcc
	v_cndmask_b32_e32 v4, v4, v8, vcc
	v_add_u32_e32 v8, 1, v4
	v_cmp_le_u32_e32 vcc, s12, v5
	v_mov_b32_e32 v9, 0
	s_nop 0
	v_cndmask_b32_e32 v8, v4, v8, vcc
.LBB195_6:
	s_or_b64 exec, exec, s[2:3]
	s_load_dwordx2 s[2:3], s[0:1], 0x28
	s_load_dwordx4 s[8:11], s[0:1], 0x18
	v_lshl_add_u64 v[2:3], v[8:9], 0, v[2:3]
	v_lshl_add_u64 v[8:9], v[2:3], 0, 1
	v_cmp_lt_u64_e32 vcc, 1, v[8:9]
	s_waitcnt lgkmcnt(0)
	s_mul_i32 s1, s3, s4
	s_mul_hi_u32 s3, s2, s4
	s_mul_i32 s0, s2, s4
	s_add_i32 s1, s3, s1
	s_mov_b64 s[4:5], -1
	s_and_saveexec_b64 s[2:3], vcc
	s_cbranch_execz .LBB195_10
; %bb.7:
	s_lshl_b64 s[4:5], s[0:1], 2
	s_add_u32 s4, s8, s4
	s_addc_u32 s5, s9, s5
	v_lshl_add_u64 v[2:3], v[0:1], 0, s[12:13]
	v_lshl_add_u64 v[12:13], v[6:7], 2, s[4:5]
	v_and_b32_e32 v10, -2, v8
	v_mov_b32_e32 v11, v9
	s_lshl_b64 s[4:5], s[12:13], 1
	v_mov_b64_e32 v[4:5], v[2:3]
	s_mov_b32 s18, s10
	s_mov_b32 s19, s11
	;; [unrolled: 1-line block ×6, first 2 shown]
	s_mov_b64 s[16:17], 0
	v_mov_b32_e32 v16, 0
	v_mov_b64_e32 v[14:15], v[10:11]
	v_mov_b64_e32 v[2:3], v[0:1]
.LBB195_8:                              ; =>This Inner Loop Header: Depth=1
	v_mul_lo_u32 v23, v3, s18
	v_mul_lo_u32 v24, v2, s19
	v_mad_u64_u32 v[20:21], s[22:23], v2, s18, 0
	v_lshl_add_u64 v[14:15], v[14:15], 0, -2
	v_mul_lo_u32 v17, v5, s20
	v_mul_lo_u32 v22, v4, s21
	v_mad_u64_u32 v[18:19], s[22:23], v4, s20, 0
	v_add3_u32 v21, v21, v24, v23
	v_cmp_eq_u64_e32 vcc, 0, v[14:15]
	v_lshl_add_u64 v[4:5], v[4:5], 0, s[14:15]
	v_lshl_add_u64 v[2:3], v[2:3], 0, s[4:5]
	v_add3_u32 v19, v19, v22, v17
	v_lshl_add_u64 v[20:21], v[20:21], 2, v[12:13]
	s_or_b64 s[16:17], vcc, s[16:17]
	v_lshl_add_u64 v[18:19], v[18:19], 2, v[12:13]
	global_store_dword v[20:21], v16, off
	global_store_dword v[18:19], v16, off
	s_andn2_b64 exec, exec, s[16:17]
	s_cbranch_execnz .LBB195_8
; %bb.9:
	s_or_b64 exec, exec, s[16:17]
	v_mad_u64_u32 v[0:1], s[4:5], v10, s12, v[0:1]
	v_mov_b32_e32 v2, v1
	v_mad_u64_u32 v[2:3], s[4:5], v11, s12, v[2:3]
	v_cmp_ne_u64_e32 vcc, v[8:9], v[10:11]
	v_mov_b32_e32 v1, v2
	s_orn2_b64 s[4:5], vcc, exec
.LBB195_10:
	s_or_b64 exec, exec, s[2:3]
	s_and_b64 exec, exec, s[4:5]
	s_cbranch_execz .LBB195_13
; %bb.11:
	v_mul_lo_u32 v4, v1, s10
	v_mul_lo_u32 v5, v0, s11
	v_mad_u64_u32 v[2:3], s[2:3], v0, s10, 0
	v_add3_u32 v3, v3, v5, v4
	s_lshl_b64 s[0:1], s[0:1], 2
	v_lshl_add_u64 v[2:3], v[2:3], 2, s[0:1]
	s_mul_i32 s0, s11, s12
	s_mul_hi_u32 s1, s10, s12
	v_lshl_add_u64 v[2:3], v[6:7], 2, v[2:3]
	s_add_i32 s1, s1, s0
	s_mul_i32 s0, s10, s12
	v_lshl_add_u64 v[2:3], s[8:9], 0, v[2:3]
	s_lshl_b64 s[0:1], s[0:1], 2
	s_mov_b64 s[2:3], 0
	v_mov_b32_e32 v4, 0
.LBB195_12:                             ; =>This Inner Loop Header: Depth=1
	v_lshl_add_u64 v[0:1], v[0:1], 0, s[12:13]
	v_cmp_le_i64_e32 vcc, s[6:7], v[0:1]
	global_store_dword v[2:3], v4, off
	s_or_b64 s[2:3], vcc, s[2:3]
	v_lshl_add_u64 v[2:3], v[2:3], 0, s[0:1]
	s_andn2_b64 exec, exec, s[2:3]
	s_cbranch_execnz .LBB195_12
.LBB195_13:
	s_endpgm
	.section	.rodata,"a",@progbits
	.p2align	6, 0x0
	.amdhsa_kernel _ZL44rocblas_set_matrix_zero_if_alpha_zero_kernelILi16ELi16EfPfEviiT1_lT2_lli
		.amdhsa_group_segment_fixed_size 0
		.amdhsa_private_segment_fixed_size 0
		.amdhsa_kernarg_size 312
		.amdhsa_user_sgpr_count 2
		.amdhsa_user_sgpr_dispatch_ptr 0
		.amdhsa_user_sgpr_queue_ptr 0
		.amdhsa_user_sgpr_kernarg_segment_ptr 1
		.amdhsa_user_sgpr_dispatch_id 0
		.amdhsa_user_sgpr_kernarg_preload_length 0
		.amdhsa_user_sgpr_kernarg_preload_offset 0
		.amdhsa_user_sgpr_private_segment_size 0
		.amdhsa_uses_dynamic_stack 0
		.amdhsa_enable_private_segment 0
		.amdhsa_system_sgpr_workgroup_id_x 1
		.amdhsa_system_sgpr_workgroup_id_y 1
		.amdhsa_system_sgpr_workgroup_id_z 1
		.amdhsa_system_sgpr_workgroup_info 0
		.amdhsa_system_vgpr_workitem_id 1
		.amdhsa_next_free_vgpr 25
		.amdhsa_next_free_sgpr 24
		.amdhsa_accum_offset 28
		.amdhsa_reserve_vcc 1
		.amdhsa_float_round_mode_32 0
		.amdhsa_float_round_mode_16_64 0
		.amdhsa_float_denorm_mode_32 3
		.amdhsa_float_denorm_mode_16_64 3
		.amdhsa_dx10_clamp 1
		.amdhsa_ieee_mode 1
		.amdhsa_fp16_overflow 0
		.amdhsa_tg_split 0
		.amdhsa_exception_fp_ieee_invalid_op 0
		.amdhsa_exception_fp_denorm_src 0
		.amdhsa_exception_fp_ieee_div_zero 0
		.amdhsa_exception_fp_ieee_overflow 0
		.amdhsa_exception_fp_ieee_underflow 0
		.amdhsa_exception_fp_ieee_inexact 0
		.amdhsa_exception_int_div_zero 0
	.end_amdhsa_kernel
	.section	.text._ZL44rocblas_set_matrix_zero_if_alpha_zero_kernelILi16ELi16EfPfEviiT1_lT2_lli,"axG",@progbits,_ZL44rocblas_set_matrix_zero_if_alpha_zero_kernelILi16ELi16EfPfEviiT1_lT2_lli,comdat
.Lfunc_end195:
	.size	_ZL44rocblas_set_matrix_zero_if_alpha_zero_kernelILi16ELi16EfPfEviiT1_lT2_lli, .Lfunc_end195-_ZL44rocblas_set_matrix_zero_if_alpha_zero_kernelILi16ELi16EfPfEviiT1_lT2_lli
                                        ; -- End function
	.set _ZL44rocblas_set_matrix_zero_if_alpha_zero_kernelILi16ELi16EfPfEviiT1_lT2_lli.num_vgpr, 25
	.set _ZL44rocblas_set_matrix_zero_if_alpha_zero_kernelILi16ELi16EfPfEviiT1_lT2_lli.num_agpr, 0
	.set _ZL44rocblas_set_matrix_zero_if_alpha_zero_kernelILi16ELi16EfPfEviiT1_lT2_lli.numbered_sgpr, 24
	.set _ZL44rocblas_set_matrix_zero_if_alpha_zero_kernelILi16ELi16EfPfEviiT1_lT2_lli.num_named_barrier, 0
	.set _ZL44rocblas_set_matrix_zero_if_alpha_zero_kernelILi16ELi16EfPfEviiT1_lT2_lli.private_seg_size, 0
	.set _ZL44rocblas_set_matrix_zero_if_alpha_zero_kernelILi16ELi16EfPfEviiT1_lT2_lli.uses_vcc, 1
	.set _ZL44rocblas_set_matrix_zero_if_alpha_zero_kernelILi16ELi16EfPfEviiT1_lT2_lli.uses_flat_scratch, 0
	.set _ZL44rocblas_set_matrix_zero_if_alpha_zero_kernelILi16ELi16EfPfEviiT1_lT2_lli.has_dyn_sized_stack, 0
	.set _ZL44rocblas_set_matrix_zero_if_alpha_zero_kernelILi16ELi16EfPfEviiT1_lT2_lli.has_recursion, 0
	.set _ZL44rocblas_set_matrix_zero_if_alpha_zero_kernelILi16ELi16EfPfEviiT1_lT2_lli.has_indirect_call, 0
	.section	.AMDGPU.csdata,"",@progbits
; Kernel info:
; codeLenInByte = 1316
; TotalNumSgprs: 30
; NumVgprs: 25
; NumAgprs: 0
; TotalNumVgprs: 25
; ScratchSize: 0
; MemoryBound: 0
; FloatMode: 240
; IeeeMode: 1
; LDSByteSize: 0 bytes/workgroup (compile time only)
; SGPRBlocks: 3
; VGPRBlocks: 3
; NumSGPRsForWavesPerEU: 30
; NumVGPRsForWavesPerEU: 25
; AccumOffset: 28
; Occupancy: 8
; WaveLimiterHint : 0
; COMPUTE_PGM_RSRC2:SCRATCH_EN: 0
; COMPUTE_PGM_RSRC2:USER_SGPR: 2
; COMPUTE_PGM_RSRC2:TRAP_HANDLER: 0
; COMPUTE_PGM_RSRC2:TGID_X_EN: 1
; COMPUTE_PGM_RSRC2:TGID_Y_EN: 1
; COMPUTE_PGM_RSRC2:TGID_Z_EN: 1
; COMPUTE_PGM_RSRC2:TIDIG_COMP_CNT: 1
; COMPUTE_PGM_RSRC3_GFX90A:ACCUM_OFFSET: 6
; COMPUTE_PGM_RSRC3_GFX90A:TG_SPLIT: 0
	.section	.text._ZL44rocblas_set_matrix_zero_if_alpha_zero_kernelILi16ELi16EPKdPdEviiT1_lT2_lli,"axG",@progbits,_ZL44rocblas_set_matrix_zero_if_alpha_zero_kernelILi16ELi16EPKdPdEviiT1_lT2_lli,comdat
	.globl	_ZL44rocblas_set_matrix_zero_if_alpha_zero_kernelILi16ELi16EPKdPdEviiT1_lT2_lli ; -- Begin function _ZL44rocblas_set_matrix_zero_if_alpha_zero_kernelILi16ELi16EPKdPdEviiT1_lT2_lli
	.p2align	8
	.type	_ZL44rocblas_set_matrix_zero_if_alpha_zero_kernelILi16ELi16EPKdPdEviiT1_lT2_lli,@function
_ZL44rocblas_set_matrix_zero_if_alpha_zero_kernelILi16ELi16EPKdPdEviiT1_lT2_lli: ; @_ZL44rocblas_set_matrix_zero_if_alpha_zero_kernelILi16ELi16EPKdPdEviiT1_lT2_lli
; %bb.0:
	s_load_dwordx8 s[8:15], s[0:1], 0x8
	s_waitcnt lgkmcnt(0)
	s_mul_i32 s5, s11, s4
	s_mul_hi_u32 s6, s10, s4
	s_add_i32 s7, s6, s5
	s_mul_i32 s6, s10, s4
	s_lshl_b64 s[6:7], s[6:7], 3
	s_add_u32 s6, s8, s6
	s_addc_u32 s7, s9, s7
	s_load_dwordx2 s[6:7], s[6:7], 0x0
	s_waitcnt lgkmcnt(0)
	v_cmp_neq_f64_e64 s[6:7], s[6:7], 0
	s_and_b64 vcc, exec, s[6:7]
	s_cbranch_vccnz .LBB196_4
; %bb.1:
	s_load_dwordx2 s[8:9], s[0:1], 0x0
	v_and_b32_e32 v1, 0x3ff, v0
	v_mov_b32_e32 v3, 0
	v_bfe_u32 v0, v0, 10, 10
	v_lshl_add_u32 v2, s2, 4, v1
	v_lshl_add_u32 v0, s3, 4, v0
	v_mov_b32_e32 v1, v3
	s_waitcnt lgkmcnt(0)
	s_ashr_i32 s3, s8, 31
	s_mov_b32 s2, s8
	s_ashr_i32 s7, s9, 31
	s_mov_b32 s6, s9
	v_cmp_gt_i64_e32 vcc, s[2:3], v[2:3]
	v_cmp_gt_i64_e64 s[2:3], s[6:7], v[0:1]
	s_and_b64 s[2:3], vcc, s[2:3]
	s_and_saveexec_b64 s[8:9], s[2:3]
	s_cbranch_execz .LBB196_4
; %bb.2:
	s_load_dword s5, s[0:1], 0x3c
	s_load_dwordx2 s[2:3], s[0:1], 0x28
	s_mov_b32 s1, 0
	s_waitcnt lgkmcnt(0)
	s_lshl_b32 s0, s5, 4
	s_mul_i32 s3, s3, s4
	s_mul_hi_u32 s5, s2, s4
	s_add_i32 s3, s5, s3
	s_mul_i32 s2, s2, s4
	v_mad_u64_u32 v[4:5], s[4:5], s14, v0, 0
	v_mov_b32_e32 v6, v5
	v_mad_u64_u32 v[6:7], s[4:5], s15, v0, v[6:7]
	v_mov_b32_e32 v5, v6
	v_lshlrev_b64 v[4:5], 3, v[4:5]
	v_lshl_add_u64 v[4:5], s[2:3], 3, v[4:5]
	s_mul_i32 s2, s15, s0
	s_mul_hi_u32 s3, s14, s0
	v_lshl_add_u64 v[4:5], v[2:3], 3, v[4:5]
	s_add_i32 s3, s3, s2
	s_mul_i32 s2, s14, s0
	v_lshl_add_u64 v[4:5], s[12:13], 0, v[4:5]
	s_lshl_b64 s[2:3], s[2:3], 3
	s_mov_b64 s[4:5], 0
	v_mov_b32_e32 v2, v3
.LBB196_3:                              ; =>This Inner Loop Header: Depth=1
	v_lshl_add_u64 v[0:1], v[0:1], 0, s[0:1]
	v_cmp_le_i64_e32 vcc, s[6:7], v[0:1]
	global_store_dwordx2 v[4:5], v[2:3], off
	s_or_b64 s[4:5], vcc, s[4:5]
	v_lshl_add_u64 v[4:5], v[4:5], 0, s[2:3]
	s_andn2_b64 exec, exec, s[4:5]
	s_cbranch_execnz .LBB196_3
.LBB196_4:
	s_endpgm
	.section	.rodata,"a",@progbits
	.p2align	6, 0x0
	.amdhsa_kernel _ZL44rocblas_set_matrix_zero_if_alpha_zero_kernelILi16ELi16EPKdPdEviiT1_lT2_lli
		.amdhsa_group_segment_fixed_size 0
		.amdhsa_private_segment_fixed_size 0
		.amdhsa_kernarg_size 312
		.amdhsa_user_sgpr_count 2
		.amdhsa_user_sgpr_dispatch_ptr 0
		.amdhsa_user_sgpr_queue_ptr 0
		.amdhsa_user_sgpr_kernarg_segment_ptr 1
		.amdhsa_user_sgpr_dispatch_id 0
		.amdhsa_user_sgpr_kernarg_preload_length 0
		.amdhsa_user_sgpr_kernarg_preload_offset 0
		.amdhsa_user_sgpr_private_segment_size 0
		.amdhsa_uses_dynamic_stack 0
		.amdhsa_enable_private_segment 0
		.amdhsa_system_sgpr_workgroup_id_x 1
		.amdhsa_system_sgpr_workgroup_id_y 1
		.amdhsa_system_sgpr_workgroup_id_z 1
		.amdhsa_system_sgpr_workgroup_info 0
		.amdhsa_system_vgpr_workitem_id 1
		.amdhsa_next_free_vgpr 8
		.amdhsa_next_free_sgpr 16
		.amdhsa_accum_offset 8
		.amdhsa_reserve_vcc 1
		.amdhsa_float_round_mode_32 0
		.amdhsa_float_round_mode_16_64 0
		.amdhsa_float_denorm_mode_32 3
		.amdhsa_float_denorm_mode_16_64 3
		.amdhsa_dx10_clamp 1
		.amdhsa_ieee_mode 1
		.amdhsa_fp16_overflow 0
		.amdhsa_tg_split 0
		.amdhsa_exception_fp_ieee_invalid_op 0
		.amdhsa_exception_fp_denorm_src 0
		.amdhsa_exception_fp_ieee_div_zero 0
		.amdhsa_exception_fp_ieee_overflow 0
		.amdhsa_exception_fp_ieee_underflow 0
		.amdhsa_exception_fp_ieee_inexact 0
		.amdhsa_exception_int_div_zero 0
	.end_amdhsa_kernel
	.section	.text._ZL44rocblas_set_matrix_zero_if_alpha_zero_kernelILi16ELi16EPKdPdEviiT1_lT2_lli,"axG",@progbits,_ZL44rocblas_set_matrix_zero_if_alpha_zero_kernelILi16ELi16EPKdPdEviiT1_lT2_lli,comdat
.Lfunc_end196:
	.size	_ZL44rocblas_set_matrix_zero_if_alpha_zero_kernelILi16ELi16EPKdPdEviiT1_lT2_lli, .Lfunc_end196-_ZL44rocblas_set_matrix_zero_if_alpha_zero_kernelILi16ELi16EPKdPdEviiT1_lT2_lli
                                        ; -- End function
	.set _ZL44rocblas_set_matrix_zero_if_alpha_zero_kernelILi16ELi16EPKdPdEviiT1_lT2_lli.num_vgpr, 8
	.set _ZL44rocblas_set_matrix_zero_if_alpha_zero_kernelILi16ELi16EPKdPdEviiT1_lT2_lli.num_agpr, 0
	.set _ZL44rocblas_set_matrix_zero_if_alpha_zero_kernelILi16ELi16EPKdPdEviiT1_lT2_lli.numbered_sgpr, 16
	.set _ZL44rocblas_set_matrix_zero_if_alpha_zero_kernelILi16ELi16EPKdPdEviiT1_lT2_lli.num_named_barrier, 0
	.set _ZL44rocblas_set_matrix_zero_if_alpha_zero_kernelILi16ELi16EPKdPdEviiT1_lT2_lli.private_seg_size, 0
	.set _ZL44rocblas_set_matrix_zero_if_alpha_zero_kernelILi16ELi16EPKdPdEviiT1_lT2_lli.uses_vcc, 1
	.set _ZL44rocblas_set_matrix_zero_if_alpha_zero_kernelILi16ELi16EPKdPdEviiT1_lT2_lli.uses_flat_scratch, 0
	.set _ZL44rocblas_set_matrix_zero_if_alpha_zero_kernelILi16ELi16EPKdPdEviiT1_lT2_lli.has_dyn_sized_stack, 0
	.set _ZL44rocblas_set_matrix_zero_if_alpha_zero_kernelILi16ELi16EPKdPdEviiT1_lT2_lli.has_recursion, 0
	.set _ZL44rocblas_set_matrix_zero_if_alpha_zero_kernelILi16ELi16EPKdPdEviiT1_lT2_lli.has_indirect_call, 0
	.section	.AMDGPU.csdata,"",@progbits
; Kernel info:
; codeLenInByte = 332
; TotalNumSgprs: 22
; NumVgprs: 8
; NumAgprs: 0
; TotalNumVgprs: 8
; ScratchSize: 0
; MemoryBound: 0
; FloatMode: 240
; IeeeMode: 1
; LDSByteSize: 0 bytes/workgroup (compile time only)
; SGPRBlocks: 2
; VGPRBlocks: 0
; NumSGPRsForWavesPerEU: 22
; NumVGPRsForWavesPerEU: 8
; AccumOffset: 8
; Occupancy: 8
; WaveLimiterHint : 0
; COMPUTE_PGM_RSRC2:SCRATCH_EN: 0
; COMPUTE_PGM_RSRC2:USER_SGPR: 2
; COMPUTE_PGM_RSRC2:TRAP_HANDLER: 0
; COMPUTE_PGM_RSRC2:TGID_X_EN: 1
; COMPUTE_PGM_RSRC2:TGID_Y_EN: 1
; COMPUTE_PGM_RSRC2:TGID_Z_EN: 1
; COMPUTE_PGM_RSRC2:TIDIG_COMP_CNT: 1
; COMPUTE_PGM_RSRC3_GFX90A:ACCUM_OFFSET: 1
; COMPUTE_PGM_RSRC3_GFX90A:TG_SPLIT: 0
	.section	.text._ZL44rocblas_set_matrix_zero_if_alpha_zero_kernelILi16ELi16EdPdEviiT1_lT2_lli,"axG",@progbits,_ZL44rocblas_set_matrix_zero_if_alpha_zero_kernelILi16ELi16EdPdEviiT1_lT2_lli,comdat
	.globl	_ZL44rocblas_set_matrix_zero_if_alpha_zero_kernelILi16ELi16EdPdEviiT1_lT2_lli ; -- Begin function _ZL44rocblas_set_matrix_zero_if_alpha_zero_kernelILi16ELi16EdPdEviiT1_lT2_lli
	.p2align	8
	.type	_ZL44rocblas_set_matrix_zero_if_alpha_zero_kernelILi16ELi16EdPdEviiT1_lT2_lli,@function
_ZL44rocblas_set_matrix_zero_if_alpha_zero_kernelILi16ELi16EdPdEviiT1_lT2_lli: ; @_ZL44rocblas_set_matrix_zero_if_alpha_zero_kernelILi16ELi16EdPdEviiT1_lT2_lli
; %bb.0:
	s_load_dwordx2 s[6:7], s[0:1], 0x8
	s_waitcnt lgkmcnt(0)
	v_cmp_neq_f64_e64 s[6:7], s[6:7], 0
	s_and_b64 vcc, exec, s[6:7]
	s_cbranch_vccnz .LBB197_4
; %bb.1:
	s_load_dwordx2 s[8:9], s[0:1], 0x0
	v_and_b32_e32 v1, 0x3ff, v0
	v_mov_b32_e32 v3, 0
	v_bfe_u32 v0, v0, 10, 10
	v_lshl_add_u32 v2, s2, 4, v1
	v_lshl_add_u32 v0, s3, 4, v0
	v_mov_b32_e32 v1, v3
	s_waitcnt lgkmcnt(0)
	s_ashr_i32 s3, s8, 31
	s_mov_b32 s2, s8
	s_ashr_i32 s7, s9, 31
	s_mov_b32 s6, s9
	v_cmp_gt_i64_e32 vcc, s[2:3], v[2:3]
	v_cmp_gt_i64_e64 s[2:3], s[6:7], v[0:1]
	s_and_b64 s[2:3], vcc, s[2:3]
	s_and_saveexec_b64 s[8:9], s[2:3]
	s_cbranch_execz .LBB197_4
; %bb.2:
	s_load_dword s5, s[0:1], 0x3c
	s_load_dwordx2 s[2:3], s[0:1], 0x28
	s_load_dwordx4 s[8:11], s[0:1], 0x18
	s_mov_b32 s1, 0
	s_waitcnt lgkmcnt(0)
	s_lshl_b32 s0, s5, 4
	s_mul_i32 s3, s3, s4
	s_mul_hi_u32 s5, s2, s4
	s_add_i32 s3, s5, s3
	s_mul_i32 s2, s2, s4
	v_mad_u64_u32 v[4:5], s[4:5], s10, v0, 0
	v_mov_b32_e32 v6, v5
	v_mad_u64_u32 v[6:7], s[4:5], s11, v0, v[6:7]
	v_mov_b32_e32 v5, v6
	v_lshlrev_b64 v[4:5], 3, v[4:5]
	v_lshl_add_u64 v[4:5], s[2:3], 3, v[4:5]
	s_mul_i32 s2, s11, s0
	s_mul_hi_u32 s3, s10, s0
	v_lshl_add_u64 v[4:5], v[2:3], 3, v[4:5]
	s_add_i32 s3, s3, s2
	s_mul_i32 s2, s10, s0
	v_lshl_add_u64 v[4:5], s[8:9], 0, v[4:5]
	s_lshl_b64 s[2:3], s[2:3], 3
	s_mov_b64 s[4:5], 0
	v_mov_b32_e32 v2, v3
.LBB197_3:                              ; =>This Inner Loop Header: Depth=1
	v_lshl_add_u64 v[0:1], v[0:1], 0, s[0:1]
	v_cmp_le_i64_e32 vcc, s[6:7], v[0:1]
	global_store_dwordx2 v[4:5], v[2:3], off
	s_or_b64 s[4:5], vcc, s[4:5]
	v_lshl_add_u64 v[4:5], v[4:5], 0, s[2:3]
	s_andn2_b64 exec, exec, s[4:5]
	s_cbranch_execnz .LBB197_3
.LBB197_4:
	s_endpgm
	.section	.rodata,"a",@progbits
	.p2align	6, 0x0
	.amdhsa_kernel _ZL44rocblas_set_matrix_zero_if_alpha_zero_kernelILi16ELi16EdPdEviiT1_lT2_lli
		.amdhsa_group_segment_fixed_size 0
		.amdhsa_private_segment_fixed_size 0
		.amdhsa_kernarg_size 312
		.amdhsa_user_sgpr_count 2
		.amdhsa_user_sgpr_dispatch_ptr 0
		.amdhsa_user_sgpr_queue_ptr 0
		.amdhsa_user_sgpr_kernarg_segment_ptr 1
		.amdhsa_user_sgpr_dispatch_id 0
		.amdhsa_user_sgpr_kernarg_preload_length 0
		.amdhsa_user_sgpr_kernarg_preload_offset 0
		.amdhsa_user_sgpr_private_segment_size 0
		.amdhsa_uses_dynamic_stack 0
		.amdhsa_enable_private_segment 0
		.amdhsa_system_sgpr_workgroup_id_x 1
		.amdhsa_system_sgpr_workgroup_id_y 1
		.amdhsa_system_sgpr_workgroup_id_z 1
		.amdhsa_system_sgpr_workgroup_info 0
		.amdhsa_system_vgpr_workitem_id 1
		.amdhsa_next_free_vgpr 8
		.amdhsa_next_free_sgpr 12
		.amdhsa_accum_offset 8
		.amdhsa_reserve_vcc 1
		.amdhsa_float_round_mode_32 0
		.amdhsa_float_round_mode_16_64 0
		.amdhsa_float_denorm_mode_32 3
		.amdhsa_float_denorm_mode_16_64 3
		.amdhsa_dx10_clamp 1
		.amdhsa_ieee_mode 1
		.amdhsa_fp16_overflow 0
		.amdhsa_tg_split 0
		.amdhsa_exception_fp_ieee_invalid_op 0
		.amdhsa_exception_fp_denorm_src 0
		.amdhsa_exception_fp_ieee_div_zero 0
		.amdhsa_exception_fp_ieee_overflow 0
		.amdhsa_exception_fp_ieee_underflow 0
		.amdhsa_exception_fp_ieee_inexact 0
		.amdhsa_exception_int_div_zero 0
	.end_amdhsa_kernel
	.section	.text._ZL44rocblas_set_matrix_zero_if_alpha_zero_kernelILi16ELi16EdPdEviiT1_lT2_lli,"axG",@progbits,_ZL44rocblas_set_matrix_zero_if_alpha_zero_kernelILi16ELi16EdPdEviiT1_lT2_lli,comdat
.Lfunc_end197:
	.size	_ZL44rocblas_set_matrix_zero_if_alpha_zero_kernelILi16ELi16EdPdEviiT1_lT2_lli, .Lfunc_end197-_ZL44rocblas_set_matrix_zero_if_alpha_zero_kernelILi16ELi16EdPdEviiT1_lT2_lli
                                        ; -- End function
	.set _ZL44rocblas_set_matrix_zero_if_alpha_zero_kernelILi16ELi16EdPdEviiT1_lT2_lli.num_vgpr, 8
	.set _ZL44rocblas_set_matrix_zero_if_alpha_zero_kernelILi16ELi16EdPdEviiT1_lT2_lli.num_agpr, 0
	.set _ZL44rocblas_set_matrix_zero_if_alpha_zero_kernelILi16ELi16EdPdEviiT1_lT2_lli.numbered_sgpr, 12
	.set _ZL44rocblas_set_matrix_zero_if_alpha_zero_kernelILi16ELi16EdPdEviiT1_lT2_lli.num_named_barrier, 0
	.set _ZL44rocblas_set_matrix_zero_if_alpha_zero_kernelILi16ELi16EdPdEviiT1_lT2_lli.private_seg_size, 0
	.set _ZL44rocblas_set_matrix_zero_if_alpha_zero_kernelILi16ELi16EdPdEviiT1_lT2_lli.uses_vcc, 1
	.set _ZL44rocblas_set_matrix_zero_if_alpha_zero_kernelILi16ELi16EdPdEviiT1_lT2_lli.uses_flat_scratch, 0
	.set _ZL44rocblas_set_matrix_zero_if_alpha_zero_kernelILi16ELi16EdPdEviiT1_lT2_lli.has_dyn_sized_stack, 0
	.set _ZL44rocblas_set_matrix_zero_if_alpha_zero_kernelILi16ELi16EdPdEviiT1_lT2_lli.has_recursion, 0
	.set _ZL44rocblas_set_matrix_zero_if_alpha_zero_kernelILi16ELi16EdPdEviiT1_lT2_lli.has_indirect_call, 0
	.section	.AMDGPU.csdata,"",@progbits
; Kernel info:
; codeLenInByte = 300
; TotalNumSgprs: 18
; NumVgprs: 8
; NumAgprs: 0
; TotalNumVgprs: 8
; ScratchSize: 0
; MemoryBound: 0
; FloatMode: 240
; IeeeMode: 1
; LDSByteSize: 0 bytes/workgroup (compile time only)
; SGPRBlocks: 2
; VGPRBlocks: 0
; NumSGPRsForWavesPerEU: 18
; NumVGPRsForWavesPerEU: 8
; AccumOffset: 8
; Occupancy: 8
; WaveLimiterHint : 0
; COMPUTE_PGM_RSRC2:SCRATCH_EN: 0
; COMPUTE_PGM_RSRC2:USER_SGPR: 2
; COMPUTE_PGM_RSRC2:TRAP_HANDLER: 0
; COMPUTE_PGM_RSRC2:TGID_X_EN: 1
; COMPUTE_PGM_RSRC2:TGID_Y_EN: 1
; COMPUTE_PGM_RSRC2:TGID_Z_EN: 1
; COMPUTE_PGM_RSRC2:TIDIG_COMP_CNT: 1
; COMPUTE_PGM_RSRC3_GFX90A:ACCUM_OFFSET: 1
; COMPUTE_PGM_RSRC3_GFX90A:TG_SPLIT: 0
	.section	.text._ZL44rocblas_set_matrix_zero_if_alpha_zero_kernelILi16ELi16EPKdPKPdEviiT1_lT2_lli,"axG",@progbits,_ZL44rocblas_set_matrix_zero_if_alpha_zero_kernelILi16ELi16EPKdPKPdEviiT1_lT2_lli,comdat
	.globl	_ZL44rocblas_set_matrix_zero_if_alpha_zero_kernelILi16ELi16EPKdPKPdEviiT1_lT2_lli ; -- Begin function _ZL44rocblas_set_matrix_zero_if_alpha_zero_kernelILi16ELi16EPKdPKPdEviiT1_lT2_lli
	.p2align	8
	.type	_ZL44rocblas_set_matrix_zero_if_alpha_zero_kernelILi16ELi16EPKdPKPdEviiT1_lT2_lli,@function
_ZL44rocblas_set_matrix_zero_if_alpha_zero_kernelILi16ELi16EPKdPKPdEviiT1_lT2_lli: ; @_ZL44rocblas_set_matrix_zero_if_alpha_zero_kernelILi16ELi16EPKdPKPdEviiT1_lT2_lli
; %bb.0:
	s_load_dwordx8 s[8:15], s[0:1], 0x8
	s_waitcnt lgkmcnt(0)
	s_mul_i32 s5, s11, s4
	s_mul_hi_u32 s6, s10, s4
	s_add_i32 s7, s6, s5
	s_mul_i32 s6, s10, s4
	s_lshl_b64 s[6:7], s[6:7], 3
	s_add_u32 s6, s8, s6
	s_addc_u32 s7, s9, s7
	s_load_dwordx2 s[6:7], s[6:7], 0x0
	s_waitcnt lgkmcnt(0)
	v_cmp_neq_f64_e64 s[6:7], s[6:7], 0
	s_and_b64 vcc, exec, s[6:7]
	s_cbranch_vccnz .LBB198_4
; %bb.1:
	s_load_dwordx2 s[8:9], s[0:1], 0x0
	v_and_b32_e32 v1, 0x3ff, v0
	v_mov_b32_e32 v3, 0
	v_bfe_u32 v0, v0, 10, 10
	v_lshl_add_u32 v2, s2, 4, v1
	v_lshl_add_u32 v0, s3, 4, v0
	v_mov_b32_e32 v1, v3
	s_waitcnt lgkmcnt(0)
	s_ashr_i32 s3, s8, 31
	s_mov_b32 s2, s8
	s_ashr_i32 s7, s9, 31
	s_mov_b32 s6, s9
	v_cmp_gt_i64_e32 vcc, s[2:3], v[2:3]
	v_cmp_gt_i64_e64 s[2:3], s[6:7], v[0:1]
	s_and_b64 s[2:3], vcc, s[2:3]
	s_and_saveexec_b64 s[8:9], s[2:3]
	s_cbranch_execz .LBB198_4
; %bb.2:
	s_load_dwordx2 s[2:3], s[0:1], 0x28
	s_load_dword s8, s[0:1], 0x3c
	s_mov_b32 s5, 0
	s_lshl_b64 s[0:1], s[4:5], 3
	s_add_u32 s0, s12, s0
	s_addc_u32 s1, s13, s1
	s_waitcnt lgkmcnt(0)
	s_lshl_b32 s4, s8, 4
	v_mad_u64_u32 v[4:5], s[8:9], s14, v0, 0
	s_load_dwordx2 s[0:1], s[0:1], 0x0
	v_mov_b32_e32 v6, v5
	v_mad_u64_u32 v[6:7], s[8:9], s15, v0, v[6:7]
	v_mov_b32_e32 v5, v6
	s_lshl_b64 s[2:3], s[2:3], 3
	v_lshl_add_u64 v[4:5], v[4:5], 3, s[2:3]
	v_lshl_add_u64 v[4:5], v[2:3], 3, v[4:5]
	s_waitcnt lgkmcnt(0)
	v_lshl_add_u64 v[4:5], s[0:1], 0, v[4:5]
	s_mul_i32 s0, s15, s4
	s_mul_hi_u32 s1, s14, s4
	s_add_i32 s1, s1, s0
	s_mul_i32 s0, s14, s4
	s_lshl_b64 s[0:1], s[0:1], 3
	s_mov_b64 s[2:3], 0
	v_mov_b32_e32 v2, v3
.LBB198_3:                              ; =>This Inner Loop Header: Depth=1
	v_lshl_add_u64 v[0:1], v[0:1], 0, s[4:5]
	v_cmp_le_i64_e32 vcc, s[6:7], v[0:1]
	flat_store_dwordx2 v[4:5], v[2:3]
	s_or_b64 s[2:3], vcc, s[2:3]
	v_lshl_add_u64 v[4:5], v[4:5], 0, s[0:1]
	s_andn2_b64 exec, exec, s[2:3]
	s_cbranch_execnz .LBB198_3
.LBB198_4:
	s_endpgm
	.section	.rodata,"a",@progbits
	.p2align	6, 0x0
	.amdhsa_kernel _ZL44rocblas_set_matrix_zero_if_alpha_zero_kernelILi16ELi16EPKdPKPdEviiT1_lT2_lli
		.amdhsa_group_segment_fixed_size 0
		.amdhsa_private_segment_fixed_size 0
		.amdhsa_kernarg_size 312
		.amdhsa_user_sgpr_count 2
		.amdhsa_user_sgpr_dispatch_ptr 0
		.amdhsa_user_sgpr_queue_ptr 0
		.amdhsa_user_sgpr_kernarg_segment_ptr 1
		.amdhsa_user_sgpr_dispatch_id 0
		.amdhsa_user_sgpr_kernarg_preload_length 0
		.amdhsa_user_sgpr_kernarg_preload_offset 0
		.amdhsa_user_sgpr_private_segment_size 0
		.amdhsa_uses_dynamic_stack 0
		.amdhsa_enable_private_segment 0
		.amdhsa_system_sgpr_workgroup_id_x 1
		.amdhsa_system_sgpr_workgroup_id_y 1
		.amdhsa_system_sgpr_workgroup_id_z 1
		.amdhsa_system_sgpr_workgroup_info 0
		.amdhsa_system_vgpr_workitem_id 1
		.amdhsa_next_free_vgpr 8
		.amdhsa_next_free_sgpr 16
		.amdhsa_accum_offset 8
		.amdhsa_reserve_vcc 1
		.amdhsa_float_round_mode_32 0
		.amdhsa_float_round_mode_16_64 0
		.amdhsa_float_denorm_mode_32 3
		.amdhsa_float_denorm_mode_16_64 3
		.amdhsa_dx10_clamp 1
		.amdhsa_ieee_mode 1
		.amdhsa_fp16_overflow 0
		.amdhsa_tg_split 0
		.amdhsa_exception_fp_ieee_invalid_op 0
		.amdhsa_exception_fp_denorm_src 0
		.amdhsa_exception_fp_ieee_div_zero 0
		.amdhsa_exception_fp_ieee_overflow 0
		.amdhsa_exception_fp_ieee_underflow 0
		.amdhsa_exception_fp_ieee_inexact 0
		.amdhsa_exception_int_div_zero 0
	.end_amdhsa_kernel
	.section	.text._ZL44rocblas_set_matrix_zero_if_alpha_zero_kernelILi16ELi16EPKdPKPdEviiT1_lT2_lli,"axG",@progbits,_ZL44rocblas_set_matrix_zero_if_alpha_zero_kernelILi16ELi16EPKdPKPdEviiT1_lT2_lli,comdat
.Lfunc_end198:
	.size	_ZL44rocblas_set_matrix_zero_if_alpha_zero_kernelILi16ELi16EPKdPKPdEviiT1_lT2_lli, .Lfunc_end198-_ZL44rocblas_set_matrix_zero_if_alpha_zero_kernelILi16ELi16EPKdPKPdEviiT1_lT2_lli
                                        ; -- End function
	.set _ZL44rocblas_set_matrix_zero_if_alpha_zero_kernelILi16ELi16EPKdPKPdEviiT1_lT2_lli.num_vgpr, 8
	.set _ZL44rocblas_set_matrix_zero_if_alpha_zero_kernelILi16ELi16EPKdPKPdEviiT1_lT2_lli.num_agpr, 0
	.set _ZL44rocblas_set_matrix_zero_if_alpha_zero_kernelILi16ELi16EPKdPKPdEviiT1_lT2_lli.numbered_sgpr, 16
	.set _ZL44rocblas_set_matrix_zero_if_alpha_zero_kernelILi16ELi16EPKdPKPdEviiT1_lT2_lli.num_named_barrier, 0
	.set _ZL44rocblas_set_matrix_zero_if_alpha_zero_kernelILi16ELi16EPKdPKPdEviiT1_lT2_lli.private_seg_size, 0
	.set _ZL44rocblas_set_matrix_zero_if_alpha_zero_kernelILi16ELi16EPKdPKPdEviiT1_lT2_lli.uses_vcc, 1
	.set _ZL44rocblas_set_matrix_zero_if_alpha_zero_kernelILi16ELi16EPKdPKPdEviiT1_lT2_lli.uses_flat_scratch, 0
	.set _ZL44rocblas_set_matrix_zero_if_alpha_zero_kernelILi16ELi16EPKdPKPdEviiT1_lT2_lli.has_dyn_sized_stack, 0
	.set _ZL44rocblas_set_matrix_zero_if_alpha_zero_kernelILi16ELi16EPKdPKPdEviiT1_lT2_lli.has_recursion, 0
	.set _ZL44rocblas_set_matrix_zero_if_alpha_zero_kernelILi16ELi16EPKdPKPdEviiT1_lT2_lli.has_indirect_call, 0
	.section	.AMDGPU.csdata,"",@progbits
; Kernel info:
; codeLenInByte = 336
; TotalNumSgprs: 22
; NumVgprs: 8
; NumAgprs: 0
; TotalNumVgprs: 8
; ScratchSize: 0
; MemoryBound: 0
; FloatMode: 240
; IeeeMode: 1
; LDSByteSize: 0 bytes/workgroup (compile time only)
; SGPRBlocks: 2
; VGPRBlocks: 0
; NumSGPRsForWavesPerEU: 22
; NumVGPRsForWavesPerEU: 8
; AccumOffset: 8
; Occupancy: 8
; WaveLimiterHint : 0
; COMPUTE_PGM_RSRC2:SCRATCH_EN: 0
; COMPUTE_PGM_RSRC2:USER_SGPR: 2
; COMPUTE_PGM_RSRC2:TRAP_HANDLER: 0
; COMPUTE_PGM_RSRC2:TGID_X_EN: 1
; COMPUTE_PGM_RSRC2:TGID_Y_EN: 1
; COMPUTE_PGM_RSRC2:TGID_Z_EN: 1
; COMPUTE_PGM_RSRC2:TIDIG_COMP_CNT: 1
; COMPUTE_PGM_RSRC3_GFX90A:ACCUM_OFFSET: 1
; COMPUTE_PGM_RSRC3_GFX90A:TG_SPLIT: 0
	.section	.text._ZL44rocblas_set_matrix_zero_if_alpha_zero_kernelILi16ELi16EdPKPdEviiT1_lT2_lli,"axG",@progbits,_ZL44rocblas_set_matrix_zero_if_alpha_zero_kernelILi16ELi16EdPKPdEviiT1_lT2_lli,comdat
	.globl	_ZL44rocblas_set_matrix_zero_if_alpha_zero_kernelILi16ELi16EdPKPdEviiT1_lT2_lli ; -- Begin function _ZL44rocblas_set_matrix_zero_if_alpha_zero_kernelILi16ELi16EdPKPdEviiT1_lT2_lli
	.p2align	8
	.type	_ZL44rocblas_set_matrix_zero_if_alpha_zero_kernelILi16ELi16EdPKPdEviiT1_lT2_lli,@function
_ZL44rocblas_set_matrix_zero_if_alpha_zero_kernelILi16ELi16EdPKPdEviiT1_lT2_lli: ; @_ZL44rocblas_set_matrix_zero_if_alpha_zero_kernelILi16ELi16EdPKPdEviiT1_lT2_lli
; %bb.0:
	s_load_dwordx2 s[6:7], s[0:1], 0x8
	s_waitcnt lgkmcnt(0)
	v_cmp_neq_f64_e64 s[6:7], s[6:7], 0
	s_and_b64 vcc, exec, s[6:7]
	s_cbranch_vccnz .LBB199_4
; %bb.1:
	s_load_dwordx2 s[8:9], s[0:1], 0x0
	v_and_b32_e32 v1, 0x3ff, v0
	v_mov_b32_e32 v3, 0
	v_bfe_u32 v0, v0, 10, 10
	v_lshl_add_u32 v2, s2, 4, v1
	v_lshl_add_u32 v0, s3, 4, v0
	v_mov_b32_e32 v1, v3
	s_waitcnt lgkmcnt(0)
	s_ashr_i32 s3, s8, 31
	s_mov_b32 s2, s8
	s_ashr_i32 s7, s9, 31
	s_mov_b32 s6, s9
	v_cmp_gt_i64_e32 vcc, s[2:3], v[2:3]
	v_cmp_gt_i64_e64 s[2:3], s[6:7], v[0:1]
	s_and_b64 s[2:3], vcc, s[2:3]
	s_and_saveexec_b64 s[8:9], s[2:3]
	s_cbranch_execz .LBB199_4
; %bb.2:
	s_load_dwordx4 s[8:11], s[0:1], 0x18
	s_load_dwordx2 s[2:3], s[0:1], 0x28
	s_mov_b32 s5, 0
	s_load_dword s12, s[0:1], 0x3c
	s_lshl_b64 s[0:1], s[4:5], 3
	s_waitcnt lgkmcnt(0)
	s_add_u32 s0, s8, s0
	s_addc_u32 s1, s9, s1
	v_mad_u64_u32 v[4:5], s[8:9], s10, v0, 0
	s_load_dwordx2 s[0:1], s[0:1], 0x0
	v_mov_b32_e32 v6, v5
	v_mad_u64_u32 v[6:7], s[8:9], s11, v0, v[6:7]
	v_mov_b32_e32 v5, v6
	s_lshl_b64 s[2:3], s[2:3], 3
	v_lshl_add_u64 v[4:5], v[4:5], 3, s[2:3]
	s_lshl_b32 s4, s12, 4
	v_lshl_add_u64 v[4:5], v[2:3], 3, v[4:5]
	s_waitcnt lgkmcnt(0)
	v_lshl_add_u64 v[4:5], s[0:1], 0, v[4:5]
	s_mul_i32 s0, s11, s4
	s_mul_hi_u32 s1, s10, s4
	s_add_i32 s1, s1, s0
	s_mul_i32 s0, s10, s4
	s_lshl_b64 s[0:1], s[0:1], 3
	s_mov_b64 s[2:3], 0
	v_mov_b32_e32 v2, v3
.LBB199_3:                              ; =>This Inner Loop Header: Depth=1
	v_lshl_add_u64 v[0:1], v[0:1], 0, s[4:5]
	v_cmp_le_i64_e32 vcc, s[6:7], v[0:1]
	flat_store_dwordx2 v[4:5], v[2:3]
	s_or_b64 s[2:3], vcc, s[2:3]
	v_lshl_add_u64 v[4:5], v[4:5], 0, s[0:1]
	s_andn2_b64 exec, exec, s[2:3]
	s_cbranch_execnz .LBB199_3
.LBB199_4:
	s_endpgm
	.section	.rodata,"a",@progbits
	.p2align	6, 0x0
	.amdhsa_kernel _ZL44rocblas_set_matrix_zero_if_alpha_zero_kernelILi16ELi16EdPKPdEviiT1_lT2_lli
		.amdhsa_group_segment_fixed_size 0
		.amdhsa_private_segment_fixed_size 0
		.amdhsa_kernarg_size 312
		.amdhsa_user_sgpr_count 2
		.amdhsa_user_sgpr_dispatch_ptr 0
		.amdhsa_user_sgpr_queue_ptr 0
		.amdhsa_user_sgpr_kernarg_segment_ptr 1
		.amdhsa_user_sgpr_dispatch_id 0
		.amdhsa_user_sgpr_kernarg_preload_length 0
		.amdhsa_user_sgpr_kernarg_preload_offset 0
		.amdhsa_user_sgpr_private_segment_size 0
		.amdhsa_uses_dynamic_stack 0
		.amdhsa_enable_private_segment 0
		.amdhsa_system_sgpr_workgroup_id_x 1
		.amdhsa_system_sgpr_workgroup_id_y 1
		.amdhsa_system_sgpr_workgroup_id_z 1
		.amdhsa_system_sgpr_workgroup_info 0
		.amdhsa_system_vgpr_workitem_id 1
		.amdhsa_next_free_vgpr 8
		.amdhsa_next_free_sgpr 13
		.amdhsa_accum_offset 8
		.amdhsa_reserve_vcc 1
		.amdhsa_float_round_mode_32 0
		.amdhsa_float_round_mode_16_64 0
		.amdhsa_float_denorm_mode_32 3
		.amdhsa_float_denorm_mode_16_64 3
		.amdhsa_dx10_clamp 1
		.amdhsa_ieee_mode 1
		.amdhsa_fp16_overflow 0
		.amdhsa_tg_split 0
		.amdhsa_exception_fp_ieee_invalid_op 0
		.amdhsa_exception_fp_denorm_src 0
		.amdhsa_exception_fp_ieee_div_zero 0
		.amdhsa_exception_fp_ieee_overflow 0
		.amdhsa_exception_fp_ieee_underflow 0
		.amdhsa_exception_fp_ieee_inexact 0
		.amdhsa_exception_int_div_zero 0
	.end_amdhsa_kernel
	.section	.text._ZL44rocblas_set_matrix_zero_if_alpha_zero_kernelILi16ELi16EdPKPdEviiT1_lT2_lli,"axG",@progbits,_ZL44rocblas_set_matrix_zero_if_alpha_zero_kernelILi16ELi16EdPKPdEviiT1_lT2_lli,comdat
.Lfunc_end199:
	.size	_ZL44rocblas_set_matrix_zero_if_alpha_zero_kernelILi16ELi16EdPKPdEviiT1_lT2_lli, .Lfunc_end199-_ZL44rocblas_set_matrix_zero_if_alpha_zero_kernelILi16ELi16EdPKPdEviiT1_lT2_lli
                                        ; -- End function
	.set _ZL44rocblas_set_matrix_zero_if_alpha_zero_kernelILi16ELi16EdPKPdEviiT1_lT2_lli.num_vgpr, 8
	.set _ZL44rocblas_set_matrix_zero_if_alpha_zero_kernelILi16ELi16EdPKPdEviiT1_lT2_lli.num_agpr, 0
	.set _ZL44rocblas_set_matrix_zero_if_alpha_zero_kernelILi16ELi16EdPKPdEviiT1_lT2_lli.numbered_sgpr, 13
	.set _ZL44rocblas_set_matrix_zero_if_alpha_zero_kernelILi16ELi16EdPKPdEviiT1_lT2_lli.num_named_barrier, 0
	.set _ZL44rocblas_set_matrix_zero_if_alpha_zero_kernelILi16ELi16EdPKPdEviiT1_lT2_lli.private_seg_size, 0
	.set _ZL44rocblas_set_matrix_zero_if_alpha_zero_kernelILi16ELi16EdPKPdEviiT1_lT2_lli.uses_vcc, 1
	.set _ZL44rocblas_set_matrix_zero_if_alpha_zero_kernelILi16ELi16EdPKPdEviiT1_lT2_lli.uses_flat_scratch, 0
	.set _ZL44rocblas_set_matrix_zero_if_alpha_zero_kernelILi16ELi16EdPKPdEviiT1_lT2_lli.has_dyn_sized_stack, 0
	.set _ZL44rocblas_set_matrix_zero_if_alpha_zero_kernelILi16ELi16EdPKPdEviiT1_lT2_lli.has_recursion, 0
	.set _ZL44rocblas_set_matrix_zero_if_alpha_zero_kernelILi16ELi16EdPKPdEviiT1_lT2_lli.has_indirect_call, 0
	.section	.AMDGPU.csdata,"",@progbits
; Kernel info:
; codeLenInByte = 304
; TotalNumSgprs: 19
; NumVgprs: 8
; NumAgprs: 0
; TotalNumVgprs: 8
; ScratchSize: 0
; MemoryBound: 0
; FloatMode: 240
; IeeeMode: 1
; LDSByteSize: 0 bytes/workgroup (compile time only)
; SGPRBlocks: 2
; VGPRBlocks: 0
; NumSGPRsForWavesPerEU: 19
; NumVGPRsForWavesPerEU: 8
; AccumOffset: 8
; Occupancy: 8
; WaveLimiterHint : 0
; COMPUTE_PGM_RSRC2:SCRATCH_EN: 0
; COMPUTE_PGM_RSRC2:USER_SGPR: 2
; COMPUTE_PGM_RSRC2:TRAP_HANDLER: 0
; COMPUTE_PGM_RSRC2:TGID_X_EN: 1
; COMPUTE_PGM_RSRC2:TGID_Y_EN: 1
; COMPUTE_PGM_RSRC2:TGID_Z_EN: 1
; COMPUTE_PGM_RSRC2:TIDIG_COMP_CNT: 1
; COMPUTE_PGM_RSRC3_GFX90A:ACCUM_OFFSET: 1
; COMPUTE_PGM_RSRC3_GFX90A:TG_SPLIT: 0
	.section	.text._ZL44rocblas_set_matrix_zero_if_alpha_zero_kernelILi16ELi16EPK19rocblas_complex_numIfEPKPS1_EviiT1_lT2_lli,"axG",@progbits,_ZL44rocblas_set_matrix_zero_if_alpha_zero_kernelILi16ELi16EPK19rocblas_complex_numIfEPKPS1_EviiT1_lT2_lli,comdat
	.globl	_ZL44rocblas_set_matrix_zero_if_alpha_zero_kernelILi16ELi16EPK19rocblas_complex_numIfEPKPS1_EviiT1_lT2_lli ; -- Begin function _ZL44rocblas_set_matrix_zero_if_alpha_zero_kernelILi16ELi16EPK19rocblas_complex_numIfEPKPS1_EviiT1_lT2_lli
	.p2align	8
	.type	_ZL44rocblas_set_matrix_zero_if_alpha_zero_kernelILi16ELi16EPK19rocblas_complex_numIfEPKPS1_EviiT1_lT2_lli,@function
_ZL44rocblas_set_matrix_zero_if_alpha_zero_kernelILi16ELi16EPK19rocblas_complex_numIfEPKPS1_EviiT1_lT2_lli: ; @_ZL44rocblas_set_matrix_zero_if_alpha_zero_kernelILi16ELi16EPK19rocblas_complex_numIfEPKPS1_EviiT1_lT2_lli
; %bb.0:
	s_load_dwordx8 s[8:15], s[0:1], 0x8
	s_waitcnt lgkmcnt(0)
	s_mul_i32 s5, s11, s4
	s_mul_hi_u32 s6, s10, s4
	s_add_i32 s7, s6, s5
	s_mul_i32 s6, s10, s4
	s_lshl_b64 s[6:7], s[6:7], 3
	s_add_u32 s6, s8, s6
	s_addc_u32 s7, s9, s7
	s_load_dwordx2 s[8:9], s[6:7], 0x0
	s_waitcnt lgkmcnt(0)
	v_cmp_eq_f32_e64 s[6:7], s8, 0
	v_cmp_eq_f32_e64 s[8:9], s9, 0
	s_and_b64 s[6:7], s[6:7], s[8:9]
	s_andn2_b64 vcc, exec, s[6:7]
	s_cbranch_vccnz .LBB200_4
; %bb.1:
	s_load_dwordx2 s[8:9], s[0:1], 0x0
	v_and_b32_e32 v1, 0x3ff, v0
	v_mov_b32_e32 v3, 0
	v_bfe_u32 v0, v0, 10, 10
	v_lshl_add_u32 v2, s2, 4, v1
	v_lshl_add_u32 v0, s3, 4, v0
	v_mov_b32_e32 v1, v3
	s_waitcnt lgkmcnt(0)
	s_ashr_i32 s3, s8, 31
	s_mov_b32 s2, s8
	s_ashr_i32 s7, s9, 31
	s_mov_b32 s6, s9
	v_cmp_gt_i64_e32 vcc, s[2:3], v[2:3]
	v_cmp_gt_i64_e64 s[2:3], s[6:7], v[0:1]
	s_and_b64 s[2:3], vcc, s[2:3]
	s_and_saveexec_b64 s[8:9], s[2:3]
	s_cbranch_execz .LBB200_4
; %bb.2:
	s_load_dwordx2 s[2:3], s[0:1], 0x28
	s_load_dword s8, s[0:1], 0x3c
	s_mov_b32 s5, 0
	s_lshl_b64 s[0:1], s[4:5], 3
	s_add_u32 s0, s12, s0
	s_addc_u32 s1, s13, s1
	s_waitcnt lgkmcnt(0)
	s_lshl_b32 s4, s8, 4
	v_mad_u64_u32 v[4:5], s[8:9], s14, v0, 0
	v_mov_b32_e32 v6, v5
	v_mad_u64_u32 v[6:7], s[8:9], s15, v0, v[6:7]
	v_mov_b32_e32 v5, v6
	s_lshl_b64 s[2:3], s[2:3], 3
	v_lshl_add_u64 v[4:5], v[4:5], 3, s[2:3]
	s_mul_i32 s2, s15, s4
	s_mul_hi_u32 s3, s14, s4
	s_add_i32 s3, s3, s2
	s_mul_i32 s2, s14, s4
	v_lshl_add_u64 v[4:5], v[2:3], 3, v[4:5]
	s_lshl_b64 s[2:3], s[2:3], 3
	s_mov_b64 s[8:9], 0
	v_mov_b32_e32 v2, v3
.LBB200_3:                              ; =>This Inner Loop Header: Depth=1
	global_load_dwordx2 v[6:7], v3, s[0:1]
	v_lshl_add_u64 v[0:1], v[0:1], 0, s[4:5]
	v_cmp_le_i64_e32 vcc, s[6:7], v[0:1]
	s_or_b64 s[8:9], vcc, s[8:9]
	s_waitcnt vmcnt(0)
	v_lshl_add_u64 v[6:7], v[6:7], 0, v[4:5]
	v_lshl_add_u64 v[4:5], v[4:5], 0, s[2:3]
	flat_store_dwordx2 v[6:7], v[2:3]
	s_andn2_b64 exec, exec, s[8:9]
	s_cbranch_execnz .LBB200_3
.LBB200_4:
	s_endpgm
	.section	.rodata,"a",@progbits
	.p2align	6, 0x0
	.amdhsa_kernel _ZL44rocblas_set_matrix_zero_if_alpha_zero_kernelILi16ELi16EPK19rocblas_complex_numIfEPKPS1_EviiT1_lT2_lli
		.amdhsa_group_segment_fixed_size 0
		.amdhsa_private_segment_fixed_size 0
		.amdhsa_kernarg_size 312
		.amdhsa_user_sgpr_count 2
		.amdhsa_user_sgpr_dispatch_ptr 0
		.amdhsa_user_sgpr_queue_ptr 0
		.amdhsa_user_sgpr_kernarg_segment_ptr 1
		.amdhsa_user_sgpr_dispatch_id 0
		.amdhsa_user_sgpr_kernarg_preload_length 0
		.amdhsa_user_sgpr_kernarg_preload_offset 0
		.amdhsa_user_sgpr_private_segment_size 0
		.amdhsa_uses_dynamic_stack 0
		.amdhsa_enable_private_segment 0
		.amdhsa_system_sgpr_workgroup_id_x 1
		.amdhsa_system_sgpr_workgroup_id_y 1
		.amdhsa_system_sgpr_workgroup_id_z 1
		.amdhsa_system_sgpr_workgroup_info 0
		.amdhsa_system_vgpr_workitem_id 1
		.amdhsa_next_free_vgpr 8
		.amdhsa_next_free_sgpr 16
		.amdhsa_accum_offset 8
		.amdhsa_reserve_vcc 1
		.amdhsa_float_round_mode_32 0
		.amdhsa_float_round_mode_16_64 0
		.amdhsa_float_denorm_mode_32 3
		.amdhsa_float_denorm_mode_16_64 3
		.amdhsa_dx10_clamp 1
		.amdhsa_ieee_mode 1
		.amdhsa_fp16_overflow 0
		.amdhsa_tg_split 0
		.amdhsa_exception_fp_ieee_invalid_op 0
		.amdhsa_exception_fp_denorm_src 0
		.amdhsa_exception_fp_ieee_div_zero 0
		.amdhsa_exception_fp_ieee_overflow 0
		.amdhsa_exception_fp_ieee_underflow 0
		.amdhsa_exception_fp_ieee_inexact 0
		.amdhsa_exception_int_div_zero 0
	.end_amdhsa_kernel
	.section	.text._ZL44rocblas_set_matrix_zero_if_alpha_zero_kernelILi16ELi16EPK19rocblas_complex_numIfEPKPS1_EviiT1_lT2_lli,"axG",@progbits,_ZL44rocblas_set_matrix_zero_if_alpha_zero_kernelILi16ELi16EPK19rocblas_complex_numIfEPKPS1_EviiT1_lT2_lli,comdat
.Lfunc_end200:
	.size	_ZL44rocblas_set_matrix_zero_if_alpha_zero_kernelILi16ELi16EPK19rocblas_complex_numIfEPKPS1_EviiT1_lT2_lli, .Lfunc_end200-_ZL44rocblas_set_matrix_zero_if_alpha_zero_kernelILi16ELi16EPK19rocblas_complex_numIfEPKPS1_EviiT1_lT2_lli
                                        ; -- End function
	.set _ZL44rocblas_set_matrix_zero_if_alpha_zero_kernelILi16ELi16EPK19rocblas_complex_numIfEPKPS1_EviiT1_lT2_lli.num_vgpr, 8
	.set _ZL44rocblas_set_matrix_zero_if_alpha_zero_kernelILi16ELi16EPK19rocblas_complex_numIfEPKPS1_EviiT1_lT2_lli.num_agpr, 0
	.set _ZL44rocblas_set_matrix_zero_if_alpha_zero_kernelILi16ELi16EPK19rocblas_complex_numIfEPKPS1_EviiT1_lT2_lli.numbered_sgpr, 16
	.set _ZL44rocblas_set_matrix_zero_if_alpha_zero_kernelILi16ELi16EPK19rocblas_complex_numIfEPKPS1_EviiT1_lT2_lli.num_named_barrier, 0
	.set _ZL44rocblas_set_matrix_zero_if_alpha_zero_kernelILi16ELi16EPK19rocblas_complex_numIfEPKPS1_EviiT1_lT2_lli.private_seg_size, 0
	.set _ZL44rocblas_set_matrix_zero_if_alpha_zero_kernelILi16ELi16EPK19rocblas_complex_numIfEPKPS1_EviiT1_lT2_lli.uses_vcc, 1
	.set _ZL44rocblas_set_matrix_zero_if_alpha_zero_kernelILi16ELi16EPK19rocblas_complex_numIfEPKPS1_EviiT1_lT2_lli.uses_flat_scratch, 0
	.set _ZL44rocblas_set_matrix_zero_if_alpha_zero_kernelILi16ELi16EPK19rocblas_complex_numIfEPKPS1_EviiT1_lT2_lli.has_dyn_sized_stack, 0
	.set _ZL44rocblas_set_matrix_zero_if_alpha_zero_kernelILi16ELi16EPK19rocblas_complex_numIfEPKPS1_EviiT1_lT2_lli.has_recursion, 0
	.set _ZL44rocblas_set_matrix_zero_if_alpha_zero_kernelILi16ELi16EPK19rocblas_complex_numIfEPKPS1_EviiT1_lT2_lli.has_indirect_call, 0
	.section	.AMDGPU.csdata,"",@progbits
; Kernel info:
; codeLenInByte = 348
; TotalNumSgprs: 22
; NumVgprs: 8
; NumAgprs: 0
; TotalNumVgprs: 8
; ScratchSize: 0
; MemoryBound: 0
; FloatMode: 240
; IeeeMode: 1
; LDSByteSize: 0 bytes/workgroup (compile time only)
; SGPRBlocks: 2
; VGPRBlocks: 0
; NumSGPRsForWavesPerEU: 22
; NumVGPRsForWavesPerEU: 8
; AccumOffset: 8
; Occupancy: 8
; WaveLimiterHint : 1
; COMPUTE_PGM_RSRC2:SCRATCH_EN: 0
; COMPUTE_PGM_RSRC2:USER_SGPR: 2
; COMPUTE_PGM_RSRC2:TRAP_HANDLER: 0
; COMPUTE_PGM_RSRC2:TGID_X_EN: 1
; COMPUTE_PGM_RSRC2:TGID_Y_EN: 1
; COMPUTE_PGM_RSRC2:TGID_Z_EN: 1
; COMPUTE_PGM_RSRC2:TIDIG_COMP_CNT: 1
; COMPUTE_PGM_RSRC3_GFX90A:ACCUM_OFFSET: 1
; COMPUTE_PGM_RSRC3_GFX90A:TG_SPLIT: 0
	.section	.text._ZL44rocblas_set_matrix_zero_if_alpha_zero_kernelILi16ELi16E19rocblas_complex_numIfEPKPS1_EviiT1_lT2_lli,"axG",@progbits,_ZL44rocblas_set_matrix_zero_if_alpha_zero_kernelILi16ELi16E19rocblas_complex_numIfEPKPS1_EviiT1_lT2_lli,comdat
	.globl	_ZL44rocblas_set_matrix_zero_if_alpha_zero_kernelILi16ELi16E19rocblas_complex_numIfEPKPS1_EviiT1_lT2_lli ; -- Begin function _ZL44rocblas_set_matrix_zero_if_alpha_zero_kernelILi16ELi16E19rocblas_complex_numIfEPKPS1_EviiT1_lT2_lli
	.p2align	8
	.type	_ZL44rocblas_set_matrix_zero_if_alpha_zero_kernelILi16ELi16E19rocblas_complex_numIfEPKPS1_EviiT1_lT2_lli,@function
_ZL44rocblas_set_matrix_zero_if_alpha_zero_kernelILi16ELi16E19rocblas_complex_numIfEPKPS1_EviiT1_lT2_lli: ; @_ZL44rocblas_set_matrix_zero_if_alpha_zero_kernelILi16ELi16E19rocblas_complex_numIfEPKPS1_EviiT1_lT2_lli
; %bb.0:
	s_load_dwordx4 s[8:11], s[0:1], 0x0
	s_waitcnt lgkmcnt(0)
	v_cmp_eq_f32_e64 s[6:7], s10, 0
	v_cmp_eq_f32_e64 s[10:11], s11, 0
	s_and_b64 s[6:7], s[6:7], s[10:11]
	s_andn2_b64 vcc, exec, s[6:7]
	s_cbranch_vccnz .LBB201_4
; %bb.1:
	v_and_b32_e32 v1, 0x3ff, v0
	v_mov_b32_e32 v3, 0
	v_bfe_u32 v0, v0, 10, 10
	v_lshl_add_u32 v2, s2, 4, v1
	v_lshl_add_u32 v0, s3, 4, v0
	v_mov_b32_e32 v1, v3
	s_ashr_i32 s3, s8, 31
	s_mov_b32 s2, s8
	s_ashr_i32 s7, s9, 31
	s_mov_b32 s6, s9
	v_cmp_gt_i64_e32 vcc, s[2:3], v[2:3]
	v_cmp_gt_i64_e64 s[2:3], s[6:7], v[0:1]
	s_and_b64 s[2:3], vcc, s[2:3]
	s_and_saveexec_b64 s[8:9], s[2:3]
	s_cbranch_execz .LBB201_4
; %bb.2:
	s_load_dwordx4 s[8:11], s[0:1], 0x18
	s_load_dwordx2 s[2:3], s[0:1], 0x28
	s_load_dword s12, s[0:1], 0x3c
	s_mov_b32 s5, 0
	s_lshl_b64 s[0:1], s[4:5], 3
	s_waitcnt lgkmcnt(0)
	s_add_u32 s0, s8, s0
	s_addc_u32 s1, s9, s1
	v_mad_u64_u32 v[4:5], s[8:9], s10, v0, 0
	v_mov_b32_e32 v6, v5
	v_mad_u64_u32 v[6:7], s[8:9], s11, v0, v[6:7]
	s_lshl_b32 s4, s12, 4
	v_mov_b32_e32 v5, v6
	s_lshl_b64 s[2:3], s[2:3], 3
	v_lshl_add_u64 v[4:5], v[4:5], 3, s[2:3]
	s_mul_i32 s2, s11, s4
	s_mul_hi_u32 s3, s10, s4
	s_add_i32 s3, s3, s2
	s_mul_i32 s2, s10, s4
	v_lshl_add_u64 v[4:5], v[2:3], 3, v[4:5]
	s_lshl_b64 s[2:3], s[2:3], 3
	s_mov_b64 s[8:9], 0
	v_mov_b32_e32 v2, v3
.LBB201_3:                              ; =>This Inner Loop Header: Depth=1
	global_load_dwordx2 v[6:7], v3, s[0:1]
	v_lshl_add_u64 v[0:1], v[0:1], 0, s[4:5]
	v_cmp_le_i64_e32 vcc, s[6:7], v[0:1]
	s_or_b64 s[8:9], vcc, s[8:9]
	s_waitcnt vmcnt(0)
	v_lshl_add_u64 v[6:7], v[6:7], 0, v[4:5]
	v_lshl_add_u64 v[4:5], v[4:5], 0, s[2:3]
	flat_store_dwordx2 v[6:7], v[2:3]
	s_andn2_b64 exec, exec, s[8:9]
	s_cbranch_execnz .LBB201_3
.LBB201_4:
	s_endpgm
	.section	.rodata,"a",@progbits
	.p2align	6, 0x0
	.amdhsa_kernel _ZL44rocblas_set_matrix_zero_if_alpha_zero_kernelILi16ELi16E19rocblas_complex_numIfEPKPS1_EviiT1_lT2_lli
		.amdhsa_group_segment_fixed_size 0
		.amdhsa_private_segment_fixed_size 0
		.amdhsa_kernarg_size 312
		.amdhsa_user_sgpr_count 2
		.amdhsa_user_sgpr_dispatch_ptr 0
		.amdhsa_user_sgpr_queue_ptr 0
		.amdhsa_user_sgpr_kernarg_segment_ptr 1
		.amdhsa_user_sgpr_dispatch_id 0
		.amdhsa_user_sgpr_kernarg_preload_length 0
		.amdhsa_user_sgpr_kernarg_preload_offset 0
		.amdhsa_user_sgpr_private_segment_size 0
		.amdhsa_uses_dynamic_stack 0
		.amdhsa_enable_private_segment 0
		.amdhsa_system_sgpr_workgroup_id_x 1
		.amdhsa_system_sgpr_workgroup_id_y 1
		.amdhsa_system_sgpr_workgroup_id_z 1
		.amdhsa_system_sgpr_workgroup_info 0
		.amdhsa_system_vgpr_workitem_id 1
		.amdhsa_next_free_vgpr 8
		.amdhsa_next_free_sgpr 13
		.amdhsa_accum_offset 8
		.amdhsa_reserve_vcc 1
		.amdhsa_float_round_mode_32 0
		.amdhsa_float_round_mode_16_64 0
		.amdhsa_float_denorm_mode_32 3
		.amdhsa_float_denorm_mode_16_64 3
		.amdhsa_dx10_clamp 1
		.amdhsa_ieee_mode 1
		.amdhsa_fp16_overflow 0
		.amdhsa_tg_split 0
		.amdhsa_exception_fp_ieee_invalid_op 0
		.amdhsa_exception_fp_denorm_src 0
		.amdhsa_exception_fp_ieee_div_zero 0
		.amdhsa_exception_fp_ieee_overflow 0
		.amdhsa_exception_fp_ieee_underflow 0
		.amdhsa_exception_fp_ieee_inexact 0
		.amdhsa_exception_int_div_zero 0
	.end_amdhsa_kernel
	.section	.text._ZL44rocblas_set_matrix_zero_if_alpha_zero_kernelILi16ELi16E19rocblas_complex_numIfEPKPS1_EviiT1_lT2_lli,"axG",@progbits,_ZL44rocblas_set_matrix_zero_if_alpha_zero_kernelILi16ELi16E19rocblas_complex_numIfEPKPS1_EviiT1_lT2_lli,comdat
.Lfunc_end201:
	.size	_ZL44rocblas_set_matrix_zero_if_alpha_zero_kernelILi16ELi16E19rocblas_complex_numIfEPKPS1_EviiT1_lT2_lli, .Lfunc_end201-_ZL44rocblas_set_matrix_zero_if_alpha_zero_kernelILi16ELi16E19rocblas_complex_numIfEPKPS1_EviiT1_lT2_lli
                                        ; -- End function
	.set _ZL44rocblas_set_matrix_zero_if_alpha_zero_kernelILi16ELi16E19rocblas_complex_numIfEPKPS1_EviiT1_lT2_lli.num_vgpr, 8
	.set _ZL44rocblas_set_matrix_zero_if_alpha_zero_kernelILi16ELi16E19rocblas_complex_numIfEPKPS1_EviiT1_lT2_lli.num_agpr, 0
	.set _ZL44rocblas_set_matrix_zero_if_alpha_zero_kernelILi16ELi16E19rocblas_complex_numIfEPKPS1_EviiT1_lT2_lli.numbered_sgpr, 13
	.set _ZL44rocblas_set_matrix_zero_if_alpha_zero_kernelILi16ELi16E19rocblas_complex_numIfEPKPS1_EviiT1_lT2_lli.num_named_barrier, 0
	.set _ZL44rocblas_set_matrix_zero_if_alpha_zero_kernelILi16ELi16E19rocblas_complex_numIfEPKPS1_EviiT1_lT2_lli.private_seg_size, 0
	.set _ZL44rocblas_set_matrix_zero_if_alpha_zero_kernelILi16ELi16E19rocblas_complex_numIfEPKPS1_EviiT1_lT2_lli.uses_vcc, 1
	.set _ZL44rocblas_set_matrix_zero_if_alpha_zero_kernelILi16ELi16E19rocblas_complex_numIfEPKPS1_EviiT1_lT2_lli.uses_flat_scratch, 0
	.set _ZL44rocblas_set_matrix_zero_if_alpha_zero_kernelILi16ELi16E19rocblas_complex_numIfEPKPS1_EviiT1_lT2_lli.has_dyn_sized_stack, 0
	.set _ZL44rocblas_set_matrix_zero_if_alpha_zero_kernelILi16ELi16E19rocblas_complex_numIfEPKPS1_EviiT1_lT2_lli.has_recursion, 0
	.set _ZL44rocblas_set_matrix_zero_if_alpha_zero_kernelILi16ELi16E19rocblas_complex_numIfEPKPS1_EviiT1_lT2_lli.has_indirect_call, 0
	.section	.AMDGPU.csdata,"",@progbits
; Kernel info:
; codeLenInByte = 304
; TotalNumSgprs: 19
; NumVgprs: 8
; NumAgprs: 0
; TotalNumVgprs: 8
; ScratchSize: 0
; MemoryBound: 0
; FloatMode: 240
; IeeeMode: 1
; LDSByteSize: 0 bytes/workgroup (compile time only)
; SGPRBlocks: 2
; VGPRBlocks: 0
; NumSGPRsForWavesPerEU: 19
; NumVGPRsForWavesPerEU: 8
; AccumOffset: 8
; Occupancy: 8
; WaveLimiterHint : 1
; COMPUTE_PGM_RSRC2:SCRATCH_EN: 0
; COMPUTE_PGM_RSRC2:USER_SGPR: 2
; COMPUTE_PGM_RSRC2:TRAP_HANDLER: 0
; COMPUTE_PGM_RSRC2:TGID_X_EN: 1
; COMPUTE_PGM_RSRC2:TGID_Y_EN: 1
; COMPUTE_PGM_RSRC2:TGID_Z_EN: 1
; COMPUTE_PGM_RSRC2:TIDIG_COMP_CNT: 1
; COMPUTE_PGM_RSRC3_GFX90A:ACCUM_OFFSET: 1
; COMPUTE_PGM_RSRC3_GFX90A:TG_SPLIT: 0
	.section	.text._ZL44rocblas_set_matrix_zero_if_alpha_zero_kernelILi16ELi16EPK19rocblas_complex_numIfEPS1_EviiT1_lT2_lli,"axG",@progbits,_ZL44rocblas_set_matrix_zero_if_alpha_zero_kernelILi16ELi16EPK19rocblas_complex_numIfEPS1_EviiT1_lT2_lli,comdat
	.globl	_ZL44rocblas_set_matrix_zero_if_alpha_zero_kernelILi16ELi16EPK19rocblas_complex_numIfEPS1_EviiT1_lT2_lli ; -- Begin function _ZL44rocblas_set_matrix_zero_if_alpha_zero_kernelILi16ELi16EPK19rocblas_complex_numIfEPS1_EviiT1_lT2_lli
	.p2align	8
	.type	_ZL44rocblas_set_matrix_zero_if_alpha_zero_kernelILi16ELi16EPK19rocblas_complex_numIfEPS1_EviiT1_lT2_lli,@function
_ZL44rocblas_set_matrix_zero_if_alpha_zero_kernelILi16ELi16EPK19rocblas_complex_numIfEPS1_EviiT1_lT2_lli: ; @_ZL44rocblas_set_matrix_zero_if_alpha_zero_kernelILi16ELi16EPK19rocblas_complex_numIfEPS1_EviiT1_lT2_lli
; %bb.0:
	s_load_dwordx8 s[8:15], s[0:1], 0x8
	s_waitcnt lgkmcnt(0)
	s_mul_i32 s5, s11, s4
	s_mul_hi_u32 s6, s10, s4
	s_add_i32 s7, s6, s5
	s_mul_i32 s6, s10, s4
	s_lshl_b64 s[6:7], s[6:7], 3
	s_add_u32 s6, s8, s6
	s_addc_u32 s7, s9, s7
	s_load_dwordx2 s[8:9], s[6:7], 0x0
	s_waitcnt lgkmcnt(0)
	v_cmp_eq_f32_e64 s[6:7], s8, 0
	v_cmp_eq_f32_e64 s[8:9], s9, 0
	s_and_b64 s[6:7], s[6:7], s[8:9]
	s_andn2_b64 vcc, exec, s[6:7]
	s_cbranch_vccnz .LBB202_4
; %bb.1:
	s_load_dwordx2 s[8:9], s[0:1], 0x0
	v_and_b32_e32 v1, 0x3ff, v0
	v_mov_b32_e32 v3, 0
	v_bfe_u32 v0, v0, 10, 10
	v_lshl_add_u32 v2, s2, 4, v1
	v_lshl_add_u32 v0, s3, 4, v0
	v_mov_b32_e32 v1, v3
	s_waitcnt lgkmcnt(0)
	s_ashr_i32 s3, s8, 31
	s_mov_b32 s2, s8
	s_ashr_i32 s7, s9, 31
	s_mov_b32 s6, s9
	v_cmp_gt_i64_e32 vcc, s[2:3], v[2:3]
	v_cmp_gt_i64_e64 s[2:3], s[6:7], v[0:1]
	s_and_b64 s[2:3], vcc, s[2:3]
	s_and_saveexec_b64 s[8:9], s[2:3]
	s_cbranch_execz .LBB202_4
; %bb.2:
	s_load_dword s5, s[0:1], 0x3c
	s_load_dwordx2 s[2:3], s[0:1], 0x28
	s_mov_b32 s1, 0
	s_waitcnt lgkmcnt(0)
	s_lshl_b32 s0, s5, 4
	s_mul_i32 s3, s3, s4
	s_mul_hi_u32 s5, s2, s4
	s_add_i32 s3, s5, s3
	s_mul_i32 s2, s2, s4
	v_mad_u64_u32 v[4:5], s[4:5], s14, v0, 0
	v_mov_b32_e32 v6, v5
	v_mad_u64_u32 v[6:7], s[4:5], s15, v0, v[6:7]
	v_mov_b32_e32 v5, v6
	v_lshlrev_b64 v[4:5], 3, v[4:5]
	v_lshl_add_u64 v[4:5], s[2:3], 3, v[4:5]
	s_mul_i32 s2, s15, s0
	s_mul_hi_u32 s3, s14, s0
	v_lshl_add_u64 v[4:5], v[2:3], 3, v[4:5]
	s_add_i32 s3, s3, s2
	s_mul_i32 s2, s14, s0
	v_lshl_add_u64 v[4:5], s[12:13], 0, v[4:5]
	s_lshl_b64 s[2:3], s[2:3], 3
	s_mov_b64 s[4:5], 0
	v_mov_b32_e32 v2, v3
.LBB202_3:                              ; =>This Inner Loop Header: Depth=1
	v_lshl_add_u64 v[0:1], v[0:1], 0, s[0:1]
	v_cmp_le_i64_e32 vcc, s[6:7], v[0:1]
	global_store_dwordx2 v[4:5], v[2:3], off
	s_or_b64 s[4:5], vcc, s[4:5]
	v_lshl_add_u64 v[4:5], v[4:5], 0, s[2:3]
	s_andn2_b64 exec, exec, s[4:5]
	s_cbranch_execnz .LBB202_3
.LBB202_4:
	s_endpgm
	.section	.rodata,"a",@progbits
	.p2align	6, 0x0
	.amdhsa_kernel _ZL44rocblas_set_matrix_zero_if_alpha_zero_kernelILi16ELi16EPK19rocblas_complex_numIfEPS1_EviiT1_lT2_lli
		.amdhsa_group_segment_fixed_size 0
		.amdhsa_private_segment_fixed_size 0
		.amdhsa_kernarg_size 312
		.amdhsa_user_sgpr_count 2
		.amdhsa_user_sgpr_dispatch_ptr 0
		.amdhsa_user_sgpr_queue_ptr 0
		.amdhsa_user_sgpr_kernarg_segment_ptr 1
		.amdhsa_user_sgpr_dispatch_id 0
		.amdhsa_user_sgpr_kernarg_preload_length 0
		.amdhsa_user_sgpr_kernarg_preload_offset 0
		.amdhsa_user_sgpr_private_segment_size 0
		.amdhsa_uses_dynamic_stack 0
		.amdhsa_enable_private_segment 0
		.amdhsa_system_sgpr_workgroup_id_x 1
		.amdhsa_system_sgpr_workgroup_id_y 1
		.amdhsa_system_sgpr_workgroup_id_z 1
		.amdhsa_system_sgpr_workgroup_info 0
		.amdhsa_system_vgpr_workitem_id 1
		.amdhsa_next_free_vgpr 8
		.amdhsa_next_free_sgpr 16
		.amdhsa_accum_offset 8
		.amdhsa_reserve_vcc 1
		.amdhsa_float_round_mode_32 0
		.amdhsa_float_round_mode_16_64 0
		.amdhsa_float_denorm_mode_32 3
		.amdhsa_float_denorm_mode_16_64 3
		.amdhsa_dx10_clamp 1
		.amdhsa_ieee_mode 1
		.amdhsa_fp16_overflow 0
		.amdhsa_tg_split 0
		.amdhsa_exception_fp_ieee_invalid_op 0
		.amdhsa_exception_fp_denorm_src 0
		.amdhsa_exception_fp_ieee_div_zero 0
		.amdhsa_exception_fp_ieee_overflow 0
		.amdhsa_exception_fp_ieee_underflow 0
		.amdhsa_exception_fp_ieee_inexact 0
		.amdhsa_exception_int_div_zero 0
	.end_amdhsa_kernel
	.section	.text._ZL44rocblas_set_matrix_zero_if_alpha_zero_kernelILi16ELi16EPK19rocblas_complex_numIfEPS1_EviiT1_lT2_lli,"axG",@progbits,_ZL44rocblas_set_matrix_zero_if_alpha_zero_kernelILi16ELi16EPK19rocblas_complex_numIfEPS1_EviiT1_lT2_lli,comdat
.Lfunc_end202:
	.size	_ZL44rocblas_set_matrix_zero_if_alpha_zero_kernelILi16ELi16EPK19rocblas_complex_numIfEPS1_EviiT1_lT2_lli, .Lfunc_end202-_ZL44rocblas_set_matrix_zero_if_alpha_zero_kernelILi16ELi16EPK19rocblas_complex_numIfEPS1_EviiT1_lT2_lli
                                        ; -- End function
	.set _ZL44rocblas_set_matrix_zero_if_alpha_zero_kernelILi16ELi16EPK19rocblas_complex_numIfEPS1_EviiT1_lT2_lli.num_vgpr, 8
	.set _ZL44rocblas_set_matrix_zero_if_alpha_zero_kernelILi16ELi16EPK19rocblas_complex_numIfEPS1_EviiT1_lT2_lli.num_agpr, 0
	.set _ZL44rocblas_set_matrix_zero_if_alpha_zero_kernelILi16ELi16EPK19rocblas_complex_numIfEPS1_EviiT1_lT2_lli.numbered_sgpr, 16
	.set _ZL44rocblas_set_matrix_zero_if_alpha_zero_kernelILi16ELi16EPK19rocblas_complex_numIfEPS1_EviiT1_lT2_lli.num_named_barrier, 0
	.set _ZL44rocblas_set_matrix_zero_if_alpha_zero_kernelILi16ELi16EPK19rocblas_complex_numIfEPS1_EviiT1_lT2_lli.private_seg_size, 0
	.set _ZL44rocblas_set_matrix_zero_if_alpha_zero_kernelILi16ELi16EPK19rocblas_complex_numIfEPS1_EviiT1_lT2_lli.uses_vcc, 1
	.set _ZL44rocblas_set_matrix_zero_if_alpha_zero_kernelILi16ELi16EPK19rocblas_complex_numIfEPS1_EviiT1_lT2_lli.uses_flat_scratch, 0
	.set _ZL44rocblas_set_matrix_zero_if_alpha_zero_kernelILi16ELi16EPK19rocblas_complex_numIfEPS1_EviiT1_lT2_lli.has_dyn_sized_stack, 0
	.set _ZL44rocblas_set_matrix_zero_if_alpha_zero_kernelILi16ELi16EPK19rocblas_complex_numIfEPS1_EviiT1_lT2_lli.has_recursion, 0
	.set _ZL44rocblas_set_matrix_zero_if_alpha_zero_kernelILi16ELi16EPK19rocblas_complex_numIfEPS1_EviiT1_lT2_lli.has_indirect_call, 0
	.section	.AMDGPU.csdata,"",@progbits
; Kernel info:
; codeLenInByte = 344
; TotalNumSgprs: 22
; NumVgprs: 8
; NumAgprs: 0
; TotalNumVgprs: 8
; ScratchSize: 0
; MemoryBound: 0
; FloatMode: 240
; IeeeMode: 1
; LDSByteSize: 0 bytes/workgroup (compile time only)
; SGPRBlocks: 2
; VGPRBlocks: 0
; NumSGPRsForWavesPerEU: 22
; NumVGPRsForWavesPerEU: 8
; AccumOffset: 8
; Occupancy: 8
; WaveLimiterHint : 0
; COMPUTE_PGM_RSRC2:SCRATCH_EN: 0
; COMPUTE_PGM_RSRC2:USER_SGPR: 2
; COMPUTE_PGM_RSRC2:TRAP_HANDLER: 0
; COMPUTE_PGM_RSRC2:TGID_X_EN: 1
; COMPUTE_PGM_RSRC2:TGID_Y_EN: 1
; COMPUTE_PGM_RSRC2:TGID_Z_EN: 1
; COMPUTE_PGM_RSRC2:TIDIG_COMP_CNT: 1
; COMPUTE_PGM_RSRC3_GFX90A:ACCUM_OFFSET: 1
; COMPUTE_PGM_RSRC3_GFX90A:TG_SPLIT: 0
	.section	.text._ZL44rocblas_set_matrix_zero_if_alpha_zero_kernelILi16ELi16E19rocblas_complex_numIfEPS1_EviiT1_lT2_lli,"axG",@progbits,_ZL44rocblas_set_matrix_zero_if_alpha_zero_kernelILi16ELi16E19rocblas_complex_numIfEPS1_EviiT1_lT2_lli,comdat
	.globl	_ZL44rocblas_set_matrix_zero_if_alpha_zero_kernelILi16ELi16E19rocblas_complex_numIfEPS1_EviiT1_lT2_lli ; -- Begin function _ZL44rocblas_set_matrix_zero_if_alpha_zero_kernelILi16ELi16E19rocblas_complex_numIfEPS1_EviiT1_lT2_lli
	.p2align	8
	.type	_ZL44rocblas_set_matrix_zero_if_alpha_zero_kernelILi16ELi16E19rocblas_complex_numIfEPS1_EviiT1_lT2_lli,@function
_ZL44rocblas_set_matrix_zero_if_alpha_zero_kernelILi16ELi16E19rocblas_complex_numIfEPS1_EviiT1_lT2_lli: ; @_ZL44rocblas_set_matrix_zero_if_alpha_zero_kernelILi16ELi16E19rocblas_complex_numIfEPS1_EviiT1_lT2_lli
; %bb.0:
	s_load_dwordx4 s[8:11], s[0:1], 0x0
	s_waitcnt lgkmcnt(0)
	v_cmp_eq_f32_e64 s[6:7], s10, 0
	v_cmp_eq_f32_e64 s[10:11], s11, 0
	s_and_b64 s[6:7], s[6:7], s[10:11]
	s_andn2_b64 vcc, exec, s[6:7]
	s_cbranch_vccnz .LBB203_4
; %bb.1:
	v_and_b32_e32 v1, 0x3ff, v0
	v_mov_b32_e32 v3, 0
	v_bfe_u32 v0, v0, 10, 10
	v_lshl_add_u32 v2, s2, 4, v1
	v_lshl_add_u32 v0, s3, 4, v0
	v_mov_b32_e32 v1, v3
	s_ashr_i32 s3, s8, 31
	s_mov_b32 s2, s8
	s_ashr_i32 s7, s9, 31
	s_mov_b32 s6, s9
	v_cmp_gt_i64_e32 vcc, s[2:3], v[2:3]
	v_cmp_gt_i64_e64 s[2:3], s[6:7], v[0:1]
	s_and_b64 s[2:3], vcc, s[2:3]
	s_and_saveexec_b64 s[8:9], s[2:3]
	s_cbranch_execz .LBB203_4
; %bb.2:
	s_load_dword s5, s[0:1], 0x3c
	s_load_dwordx2 s[2:3], s[0:1], 0x28
	s_load_dwordx4 s[8:11], s[0:1], 0x18
	s_mov_b32 s1, 0
	s_waitcnt lgkmcnt(0)
	s_lshl_b32 s0, s5, 4
	s_mul_i32 s3, s3, s4
	s_mul_hi_u32 s5, s2, s4
	s_add_i32 s3, s5, s3
	s_mul_i32 s2, s2, s4
	v_mad_u64_u32 v[4:5], s[4:5], s10, v0, 0
	v_mov_b32_e32 v6, v5
	v_mad_u64_u32 v[6:7], s[4:5], s11, v0, v[6:7]
	v_mov_b32_e32 v5, v6
	v_lshlrev_b64 v[4:5], 3, v[4:5]
	v_lshl_add_u64 v[4:5], s[2:3], 3, v[4:5]
	s_mul_i32 s2, s11, s0
	s_mul_hi_u32 s3, s10, s0
	v_lshl_add_u64 v[4:5], v[2:3], 3, v[4:5]
	s_add_i32 s3, s3, s2
	s_mul_i32 s2, s10, s0
	v_lshl_add_u64 v[4:5], s[8:9], 0, v[4:5]
	s_lshl_b64 s[2:3], s[2:3], 3
	s_mov_b64 s[4:5], 0
	v_mov_b32_e32 v2, v3
.LBB203_3:                              ; =>This Inner Loop Header: Depth=1
	v_lshl_add_u64 v[0:1], v[0:1], 0, s[0:1]
	v_cmp_le_i64_e32 vcc, s[6:7], v[0:1]
	global_store_dwordx2 v[4:5], v[2:3], off
	s_or_b64 s[4:5], vcc, s[4:5]
	v_lshl_add_u64 v[4:5], v[4:5], 0, s[2:3]
	s_andn2_b64 exec, exec, s[4:5]
	s_cbranch_execnz .LBB203_3
.LBB203_4:
	s_endpgm
	.section	.rodata,"a",@progbits
	.p2align	6, 0x0
	.amdhsa_kernel _ZL44rocblas_set_matrix_zero_if_alpha_zero_kernelILi16ELi16E19rocblas_complex_numIfEPS1_EviiT1_lT2_lli
		.amdhsa_group_segment_fixed_size 0
		.amdhsa_private_segment_fixed_size 0
		.amdhsa_kernarg_size 312
		.amdhsa_user_sgpr_count 2
		.amdhsa_user_sgpr_dispatch_ptr 0
		.amdhsa_user_sgpr_queue_ptr 0
		.amdhsa_user_sgpr_kernarg_segment_ptr 1
		.amdhsa_user_sgpr_dispatch_id 0
		.amdhsa_user_sgpr_kernarg_preload_length 0
		.amdhsa_user_sgpr_kernarg_preload_offset 0
		.amdhsa_user_sgpr_private_segment_size 0
		.amdhsa_uses_dynamic_stack 0
		.amdhsa_enable_private_segment 0
		.amdhsa_system_sgpr_workgroup_id_x 1
		.amdhsa_system_sgpr_workgroup_id_y 1
		.amdhsa_system_sgpr_workgroup_id_z 1
		.amdhsa_system_sgpr_workgroup_info 0
		.amdhsa_system_vgpr_workitem_id 1
		.amdhsa_next_free_vgpr 8
		.amdhsa_next_free_sgpr 12
		.amdhsa_accum_offset 8
		.amdhsa_reserve_vcc 1
		.amdhsa_float_round_mode_32 0
		.amdhsa_float_round_mode_16_64 0
		.amdhsa_float_denorm_mode_32 3
		.amdhsa_float_denorm_mode_16_64 3
		.amdhsa_dx10_clamp 1
		.amdhsa_ieee_mode 1
		.amdhsa_fp16_overflow 0
		.amdhsa_tg_split 0
		.amdhsa_exception_fp_ieee_invalid_op 0
		.amdhsa_exception_fp_denorm_src 0
		.amdhsa_exception_fp_ieee_div_zero 0
		.amdhsa_exception_fp_ieee_overflow 0
		.amdhsa_exception_fp_ieee_underflow 0
		.amdhsa_exception_fp_ieee_inexact 0
		.amdhsa_exception_int_div_zero 0
	.end_amdhsa_kernel
	.section	.text._ZL44rocblas_set_matrix_zero_if_alpha_zero_kernelILi16ELi16E19rocblas_complex_numIfEPS1_EviiT1_lT2_lli,"axG",@progbits,_ZL44rocblas_set_matrix_zero_if_alpha_zero_kernelILi16ELi16E19rocblas_complex_numIfEPS1_EviiT1_lT2_lli,comdat
.Lfunc_end203:
	.size	_ZL44rocblas_set_matrix_zero_if_alpha_zero_kernelILi16ELi16E19rocblas_complex_numIfEPS1_EviiT1_lT2_lli, .Lfunc_end203-_ZL44rocblas_set_matrix_zero_if_alpha_zero_kernelILi16ELi16E19rocblas_complex_numIfEPS1_EviiT1_lT2_lli
                                        ; -- End function
	.set _ZL44rocblas_set_matrix_zero_if_alpha_zero_kernelILi16ELi16E19rocblas_complex_numIfEPS1_EviiT1_lT2_lli.num_vgpr, 8
	.set _ZL44rocblas_set_matrix_zero_if_alpha_zero_kernelILi16ELi16E19rocblas_complex_numIfEPS1_EviiT1_lT2_lli.num_agpr, 0
	.set _ZL44rocblas_set_matrix_zero_if_alpha_zero_kernelILi16ELi16E19rocblas_complex_numIfEPS1_EviiT1_lT2_lli.numbered_sgpr, 12
	.set _ZL44rocblas_set_matrix_zero_if_alpha_zero_kernelILi16ELi16E19rocblas_complex_numIfEPS1_EviiT1_lT2_lli.num_named_barrier, 0
	.set _ZL44rocblas_set_matrix_zero_if_alpha_zero_kernelILi16ELi16E19rocblas_complex_numIfEPS1_EviiT1_lT2_lli.private_seg_size, 0
	.set _ZL44rocblas_set_matrix_zero_if_alpha_zero_kernelILi16ELi16E19rocblas_complex_numIfEPS1_EviiT1_lT2_lli.uses_vcc, 1
	.set _ZL44rocblas_set_matrix_zero_if_alpha_zero_kernelILi16ELi16E19rocblas_complex_numIfEPS1_EviiT1_lT2_lli.uses_flat_scratch, 0
	.set _ZL44rocblas_set_matrix_zero_if_alpha_zero_kernelILi16ELi16E19rocblas_complex_numIfEPS1_EviiT1_lT2_lli.has_dyn_sized_stack, 0
	.set _ZL44rocblas_set_matrix_zero_if_alpha_zero_kernelILi16ELi16E19rocblas_complex_numIfEPS1_EviiT1_lT2_lli.has_recursion, 0
	.set _ZL44rocblas_set_matrix_zero_if_alpha_zero_kernelILi16ELi16E19rocblas_complex_numIfEPS1_EviiT1_lT2_lli.has_indirect_call, 0
	.section	.AMDGPU.csdata,"",@progbits
; Kernel info:
; codeLenInByte = 300
; TotalNumSgprs: 18
; NumVgprs: 8
; NumAgprs: 0
; TotalNumVgprs: 8
; ScratchSize: 0
; MemoryBound: 0
; FloatMode: 240
; IeeeMode: 1
; LDSByteSize: 0 bytes/workgroup (compile time only)
; SGPRBlocks: 2
; VGPRBlocks: 0
; NumSGPRsForWavesPerEU: 18
; NumVGPRsForWavesPerEU: 8
; AccumOffset: 8
; Occupancy: 8
; WaveLimiterHint : 0
; COMPUTE_PGM_RSRC2:SCRATCH_EN: 0
; COMPUTE_PGM_RSRC2:USER_SGPR: 2
; COMPUTE_PGM_RSRC2:TRAP_HANDLER: 0
; COMPUTE_PGM_RSRC2:TGID_X_EN: 1
; COMPUTE_PGM_RSRC2:TGID_Y_EN: 1
; COMPUTE_PGM_RSRC2:TGID_Z_EN: 1
; COMPUTE_PGM_RSRC2:TIDIG_COMP_CNT: 1
; COMPUTE_PGM_RSRC3_GFX90A:ACCUM_OFFSET: 1
; COMPUTE_PGM_RSRC3_GFX90A:TG_SPLIT: 0
	.section	.text._ZL44rocblas_set_matrix_zero_if_alpha_zero_kernelILi16ELi16EPK19rocblas_complex_numIdEPKPS1_EviiT1_lT2_lli,"axG",@progbits,_ZL44rocblas_set_matrix_zero_if_alpha_zero_kernelILi16ELi16EPK19rocblas_complex_numIdEPKPS1_EviiT1_lT2_lli,comdat
	.globl	_ZL44rocblas_set_matrix_zero_if_alpha_zero_kernelILi16ELi16EPK19rocblas_complex_numIdEPKPS1_EviiT1_lT2_lli ; -- Begin function _ZL44rocblas_set_matrix_zero_if_alpha_zero_kernelILi16ELi16EPK19rocblas_complex_numIdEPKPS1_EviiT1_lT2_lli
	.p2align	8
	.type	_ZL44rocblas_set_matrix_zero_if_alpha_zero_kernelILi16ELi16EPK19rocblas_complex_numIdEPKPS1_EviiT1_lT2_lli,@function
_ZL44rocblas_set_matrix_zero_if_alpha_zero_kernelILi16ELi16EPK19rocblas_complex_numIdEPKPS1_EviiT1_lT2_lli: ; @_ZL44rocblas_set_matrix_zero_if_alpha_zero_kernelILi16ELi16EPK19rocblas_complex_numIdEPKPS1_EviiT1_lT2_lli
; %bb.0:
	s_load_dwordx8 s[8:15], s[0:1], 0x8
	s_waitcnt lgkmcnt(0)
	s_mul_i32 s5, s11, s4
	s_mul_hi_u32 s6, s10, s4
	s_add_i32 s7, s6, s5
	s_mul_i32 s6, s10, s4
	s_lshl_b64 s[6:7], s[6:7], 4
	s_add_u32 s6, s8, s6
	s_addc_u32 s7, s9, s7
	s_load_dwordx4 s[8:11], s[6:7], 0x0
	s_waitcnt lgkmcnt(0)
	v_cmp_eq_f64_e64 s[6:7], s[8:9], 0
	v_cmp_eq_f64_e64 s[8:9], s[10:11], 0
	s_and_b64 s[6:7], s[6:7], s[8:9]
	s_andn2_b64 vcc, exec, s[6:7]
	s_cbranch_vccnz .LBB204_4
; %bb.1:
	s_load_dwordx2 s[8:9], s[0:1], 0x0
	v_and_b32_e32 v1, 0x3ff, v0
	v_mov_b32_e32 v3, 0
	v_bfe_u32 v0, v0, 10, 10
	v_lshl_add_u32 v2, s2, 4, v1
	v_lshl_add_u32 v0, s3, 4, v0
	v_mov_b32_e32 v1, v3
	s_waitcnt lgkmcnt(0)
	s_ashr_i32 s3, s8, 31
	s_mov_b32 s2, s8
	s_ashr_i32 s7, s9, 31
	s_mov_b32 s6, s9
	v_cmp_gt_i64_e32 vcc, s[2:3], v[2:3]
	v_cmp_gt_i64_e64 s[2:3], s[6:7], v[0:1]
	s_and_b64 s[2:3], vcc, s[2:3]
	s_and_saveexec_b64 s[8:9], s[2:3]
	s_cbranch_execz .LBB204_4
; %bb.2:
	s_load_dwordx2 s[2:3], s[0:1], 0x28
	s_load_dword s8, s[0:1], 0x3c
	s_mov_b32 s5, 0
	s_lshl_b64 s[0:1], s[4:5], 3
	s_add_u32 s0, s12, s0
	s_addc_u32 s1, s13, s1
	s_waitcnt lgkmcnt(0)
	s_lshl_b32 s4, s8, 4
	v_mad_u64_u32 v[4:5], s[8:9], s14, v0, 0
	s_load_dwordx2 s[0:1], s[0:1], 0x0
	v_mov_b32_e32 v6, v5
	v_mad_u64_u32 v[6:7], s[8:9], s15, v0, v[6:7]
	v_mov_b32_e32 v5, v6
	s_lshl_b64 s[2:3], s[2:3], 4
	v_lshl_add_u64 v[4:5], v[4:5], 4, s[2:3]
	v_lshl_add_u64 v[4:5], v[2:3], 4, v[4:5]
	s_waitcnt lgkmcnt(0)
	v_lshl_add_u64 v[6:7], s[0:1], 0, v[4:5]
	s_mul_i32 s0, s15, s4
	s_mul_hi_u32 s1, s14, s4
	s_add_i32 s1, s1, s0
	s_mul_i32 s0, s14, s4
	s_lshl_b64 s[0:1], s[0:1], 4
	s_mov_b64 s[2:3], 0
	v_mov_b32_e32 v2, v3
	v_mov_b32_e32 v4, v3
	;; [unrolled: 1-line block ×3, first 2 shown]
.LBB204_3:                              ; =>This Inner Loop Header: Depth=1
	v_lshl_add_u64 v[0:1], v[0:1], 0, s[4:5]
	v_cmp_le_i64_e32 vcc, s[6:7], v[0:1]
	flat_store_dwordx4 v[6:7], v[2:5]
	s_or_b64 s[2:3], vcc, s[2:3]
	v_lshl_add_u64 v[6:7], v[6:7], 0, s[0:1]
	s_andn2_b64 exec, exec, s[2:3]
	s_cbranch_execnz .LBB204_3
.LBB204_4:
	s_endpgm
	.section	.rodata,"a",@progbits
	.p2align	6, 0x0
	.amdhsa_kernel _ZL44rocblas_set_matrix_zero_if_alpha_zero_kernelILi16ELi16EPK19rocblas_complex_numIdEPKPS1_EviiT1_lT2_lli
		.amdhsa_group_segment_fixed_size 0
		.amdhsa_private_segment_fixed_size 0
		.amdhsa_kernarg_size 312
		.amdhsa_user_sgpr_count 2
		.amdhsa_user_sgpr_dispatch_ptr 0
		.amdhsa_user_sgpr_queue_ptr 0
		.amdhsa_user_sgpr_kernarg_segment_ptr 1
		.amdhsa_user_sgpr_dispatch_id 0
		.amdhsa_user_sgpr_kernarg_preload_length 0
		.amdhsa_user_sgpr_kernarg_preload_offset 0
		.amdhsa_user_sgpr_private_segment_size 0
		.amdhsa_uses_dynamic_stack 0
		.amdhsa_enable_private_segment 0
		.amdhsa_system_sgpr_workgroup_id_x 1
		.amdhsa_system_sgpr_workgroup_id_y 1
		.amdhsa_system_sgpr_workgroup_id_z 1
		.amdhsa_system_sgpr_workgroup_info 0
		.amdhsa_system_vgpr_workitem_id 1
		.amdhsa_next_free_vgpr 8
		.amdhsa_next_free_sgpr 16
		.amdhsa_accum_offset 8
		.amdhsa_reserve_vcc 1
		.amdhsa_float_round_mode_32 0
		.amdhsa_float_round_mode_16_64 0
		.amdhsa_float_denorm_mode_32 3
		.amdhsa_float_denorm_mode_16_64 3
		.amdhsa_dx10_clamp 1
		.amdhsa_ieee_mode 1
		.amdhsa_fp16_overflow 0
		.amdhsa_tg_split 0
		.amdhsa_exception_fp_ieee_invalid_op 0
		.amdhsa_exception_fp_denorm_src 0
		.amdhsa_exception_fp_ieee_div_zero 0
		.amdhsa_exception_fp_ieee_overflow 0
		.amdhsa_exception_fp_ieee_underflow 0
		.amdhsa_exception_fp_ieee_inexact 0
		.amdhsa_exception_int_div_zero 0
	.end_amdhsa_kernel
	.section	.text._ZL44rocblas_set_matrix_zero_if_alpha_zero_kernelILi16ELi16EPK19rocblas_complex_numIdEPKPS1_EviiT1_lT2_lli,"axG",@progbits,_ZL44rocblas_set_matrix_zero_if_alpha_zero_kernelILi16ELi16EPK19rocblas_complex_numIdEPKPS1_EviiT1_lT2_lli,comdat
.Lfunc_end204:
	.size	_ZL44rocblas_set_matrix_zero_if_alpha_zero_kernelILi16ELi16EPK19rocblas_complex_numIdEPKPS1_EviiT1_lT2_lli, .Lfunc_end204-_ZL44rocblas_set_matrix_zero_if_alpha_zero_kernelILi16ELi16EPK19rocblas_complex_numIdEPKPS1_EviiT1_lT2_lli
                                        ; -- End function
	.set _ZL44rocblas_set_matrix_zero_if_alpha_zero_kernelILi16ELi16EPK19rocblas_complex_numIdEPKPS1_EviiT1_lT2_lli.num_vgpr, 8
	.set _ZL44rocblas_set_matrix_zero_if_alpha_zero_kernelILi16ELi16EPK19rocblas_complex_numIdEPKPS1_EviiT1_lT2_lli.num_agpr, 0
	.set _ZL44rocblas_set_matrix_zero_if_alpha_zero_kernelILi16ELi16EPK19rocblas_complex_numIdEPKPS1_EviiT1_lT2_lli.numbered_sgpr, 16
	.set _ZL44rocblas_set_matrix_zero_if_alpha_zero_kernelILi16ELi16EPK19rocblas_complex_numIdEPKPS1_EviiT1_lT2_lli.num_named_barrier, 0
	.set _ZL44rocblas_set_matrix_zero_if_alpha_zero_kernelILi16ELi16EPK19rocblas_complex_numIdEPKPS1_EviiT1_lT2_lli.private_seg_size, 0
	.set _ZL44rocblas_set_matrix_zero_if_alpha_zero_kernelILi16ELi16EPK19rocblas_complex_numIdEPKPS1_EviiT1_lT2_lli.uses_vcc, 1
	.set _ZL44rocblas_set_matrix_zero_if_alpha_zero_kernelILi16ELi16EPK19rocblas_complex_numIdEPKPS1_EviiT1_lT2_lli.uses_flat_scratch, 0
	.set _ZL44rocblas_set_matrix_zero_if_alpha_zero_kernelILi16ELi16EPK19rocblas_complex_numIdEPKPS1_EviiT1_lT2_lli.has_dyn_sized_stack, 0
	.set _ZL44rocblas_set_matrix_zero_if_alpha_zero_kernelILi16ELi16EPK19rocblas_complex_numIdEPKPS1_EviiT1_lT2_lli.has_recursion, 0
	.set _ZL44rocblas_set_matrix_zero_if_alpha_zero_kernelILi16ELi16EPK19rocblas_complex_numIdEPKPS1_EviiT1_lT2_lli.has_indirect_call, 0
	.section	.AMDGPU.csdata,"",@progbits
; Kernel info:
; codeLenInByte = 356
; TotalNumSgprs: 22
; NumVgprs: 8
; NumAgprs: 0
; TotalNumVgprs: 8
; ScratchSize: 0
; MemoryBound: 0
; FloatMode: 240
; IeeeMode: 1
; LDSByteSize: 0 bytes/workgroup (compile time only)
; SGPRBlocks: 2
; VGPRBlocks: 0
; NumSGPRsForWavesPerEU: 22
; NumVGPRsForWavesPerEU: 8
; AccumOffset: 8
; Occupancy: 8
; WaveLimiterHint : 0
; COMPUTE_PGM_RSRC2:SCRATCH_EN: 0
; COMPUTE_PGM_RSRC2:USER_SGPR: 2
; COMPUTE_PGM_RSRC2:TRAP_HANDLER: 0
; COMPUTE_PGM_RSRC2:TGID_X_EN: 1
; COMPUTE_PGM_RSRC2:TGID_Y_EN: 1
; COMPUTE_PGM_RSRC2:TGID_Z_EN: 1
; COMPUTE_PGM_RSRC2:TIDIG_COMP_CNT: 1
; COMPUTE_PGM_RSRC3_GFX90A:ACCUM_OFFSET: 1
; COMPUTE_PGM_RSRC3_GFX90A:TG_SPLIT: 0
	.section	.text._ZL44rocblas_set_matrix_zero_if_alpha_zero_kernelILi16ELi16E19rocblas_complex_numIdEPKPS1_EviiT1_lT2_lli,"axG",@progbits,_ZL44rocblas_set_matrix_zero_if_alpha_zero_kernelILi16ELi16E19rocblas_complex_numIdEPKPS1_EviiT1_lT2_lli,comdat
	.globl	_ZL44rocblas_set_matrix_zero_if_alpha_zero_kernelILi16ELi16E19rocblas_complex_numIdEPKPS1_EviiT1_lT2_lli ; -- Begin function _ZL44rocblas_set_matrix_zero_if_alpha_zero_kernelILi16ELi16E19rocblas_complex_numIdEPKPS1_EviiT1_lT2_lli
	.p2align	8
	.type	_ZL44rocblas_set_matrix_zero_if_alpha_zero_kernelILi16ELi16E19rocblas_complex_numIdEPKPS1_EviiT1_lT2_lli,@function
_ZL44rocblas_set_matrix_zero_if_alpha_zero_kernelILi16ELi16E19rocblas_complex_numIdEPKPS1_EviiT1_lT2_lli: ; @_ZL44rocblas_set_matrix_zero_if_alpha_zero_kernelILi16ELi16E19rocblas_complex_numIdEPKPS1_EviiT1_lT2_lli
; %bb.0:
	s_load_dwordx4 s[8:11], s[0:1], 0x8
	s_waitcnt lgkmcnt(0)
	v_cmp_eq_f64_e64 s[6:7], s[8:9], 0
	v_cmp_eq_f64_e64 s[8:9], s[10:11], 0
	s_and_b64 s[6:7], s[6:7], s[8:9]
	s_andn2_b64 vcc, exec, s[6:7]
	s_cbranch_vccnz .LBB205_4
; %bb.1:
	s_load_dwordx2 s[8:9], s[0:1], 0x0
	v_and_b32_e32 v1, 0x3ff, v0
	v_mov_b32_e32 v3, 0
	v_bfe_u32 v0, v0, 10, 10
	v_lshl_add_u32 v2, s2, 4, v1
	v_lshl_add_u32 v0, s3, 4, v0
	v_mov_b32_e32 v1, v3
	s_waitcnt lgkmcnt(0)
	s_ashr_i32 s3, s8, 31
	s_mov_b32 s2, s8
	s_ashr_i32 s7, s9, 31
	s_mov_b32 s6, s9
	v_cmp_gt_i64_e32 vcc, s[2:3], v[2:3]
	v_cmp_gt_i64_e64 s[2:3], s[6:7], v[0:1]
	s_and_b64 s[2:3], vcc, s[2:3]
	s_and_saveexec_b64 s[8:9], s[2:3]
	s_cbranch_execz .LBB205_4
; %bb.2:
	s_load_dwordx4 s[8:11], s[0:1], 0x20
	s_load_dwordx2 s[2:3], s[0:1], 0x30
	s_mov_b32 s5, 0
	s_load_dword s12, s[0:1], 0x44
	s_lshl_b64 s[0:1], s[4:5], 3
	s_waitcnt lgkmcnt(0)
	s_add_u32 s0, s8, s0
	s_addc_u32 s1, s9, s1
	v_mad_u64_u32 v[4:5], s[8:9], s10, v0, 0
	s_load_dwordx2 s[0:1], s[0:1], 0x0
	v_mov_b32_e32 v6, v5
	v_mad_u64_u32 v[6:7], s[8:9], s11, v0, v[6:7]
	v_mov_b32_e32 v5, v6
	s_lshl_b64 s[2:3], s[2:3], 4
	v_lshl_add_u64 v[4:5], v[4:5], 4, s[2:3]
	s_lshl_b32 s4, s12, 4
	v_lshl_add_u64 v[4:5], v[2:3], 4, v[4:5]
	s_waitcnt lgkmcnt(0)
	v_lshl_add_u64 v[6:7], s[0:1], 0, v[4:5]
	s_mul_i32 s0, s11, s4
	s_mul_hi_u32 s1, s10, s4
	s_add_i32 s1, s1, s0
	s_mul_i32 s0, s10, s4
	s_lshl_b64 s[0:1], s[0:1], 4
	s_mov_b64 s[2:3], 0
	v_mov_b32_e32 v2, v3
	v_mov_b32_e32 v4, v3
	;; [unrolled: 1-line block ×3, first 2 shown]
.LBB205_3:                              ; =>This Inner Loop Header: Depth=1
	v_lshl_add_u64 v[0:1], v[0:1], 0, s[4:5]
	v_cmp_le_i64_e32 vcc, s[6:7], v[0:1]
	flat_store_dwordx4 v[6:7], v[2:5]
	s_or_b64 s[2:3], vcc, s[2:3]
	v_lshl_add_u64 v[6:7], v[6:7], 0, s[0:1]
	s_andn2_b64 exec, exec, s[2:3]
	s_cbranch_execnz .LBB205_3
.LBB205_4:
	s_endpgm
	.section	.rodata,"a",@progbits
	.p2align	6, 0x0
	.amdhsa_kernel _ZL44rocblas_set_matrix_zero_if_alpha_zero_kernelILi16ELi16E19rocblas_complex_numIdEPKPS1_EviiT1_lT2_lli
		.amdhsa_group_segment_fixed_size 0
		.amdhsa_private_segment_fixed_size 0
		.amdhsa_kernarg_size 320
		.amdhsa_user_sgpr_count 2
		.amdhsa_user_sgpr_dispatch_ptr 0
		.amdhsa_user_sgpr_queue_ptr 0
		.amdhsa_user_sgpr_kernarg_segment_ptr 1
		.amdhsa_user_sgpr_dispatch_id 0
		.amdhsa_user_sgpr_kernarg_preload_length 0
		.amdhsa_user_sgpr_kernarg_preload_offset 0
		.amdhsa_user_sgpr_private_segment_size 0
		.amdhsa_uses_dynamic_stack 0
		.amdhsa_enable_private_segment 0
		.amdhsa_system_sgpr_workgroup_id_x 1
		.amdhsa_system_sgpr_workgroup_id_y 1
		.amdhsa_system_sgpr_workgroup_id_z 1
		.amdhsa_system_sgpr_workgroup_info 0
		.amdhsa_system_vgpr_workitem_id 1
		.amdhsa_next_free_vgpr 8
		.amdhsa_next_free_sgpr 13
		.amdhsa_accum_offset 8
		.amdhsa_reserve_vcc 1
		.amdhsa_float_round_mode_32 0
		.amdhsa_float_round_mode_16_64 0
		.amdhsa_float_denorm_mode_32 3
		.amdhsa_float_denorm_mode_16_64 3
		.amdhsa_dx10_clamp 1
		.amdhsa_ieee_mode 1
		.amdhsa_fp16_overflow 0
		.amdhsa_tg_split 0
		.amdhsa_exception_fp_ieee_invalid_op 0
		.amdhsa_exception_fp_denorm_src 0
		.amdhsa_exception_fp_ieee_div_zero 0
		.amdhsa_exception_fp_ieee_overflow 0
		.amdhsa_exception_fp_ieee_underflow 0
		.amdhsa_exception_fp_ieee_inexact 0
		.amdhsa_exception_int_div_zero 0
	.end_amdhsa_kernel
	.section	.text._ZL44rocblas_set_matrix_zero_if_alpha_zero_kernelILi16ELi16E19rocblas_complex_numIdEPKPS1_EviiT1_lT2_lli,"axG",@progbits,_ZL44rocblas_set_matrix_zero_if_alpha_zero_kernelILi16ELi16E19rocblas_complex_numIdEPKPS1_EviiT1_lT2_lli,comdat
.Lfunc_end205:
	.size	_ZL44rocblas_set_matrix_zero_if_alpha_zero_kernelILi16ELi16E19rocblas_complex_numIdEPKPS1_EviiT1_lT2_lli, .Lfunc_end205-_ZL44rocblas_set_matrix_zero_if_alpha_zero_kernelILi16ELi16E19rocblas_complex_numIdEPKPS1_EviiT1_lT2_lli
                                        ; -- End function
	.set _ZL44rocblas_set_matrix_zero_if_alpha_zero_kernelILi16ELi16E19rocblas_complex_numIdEPKPS1_EviiT1_lT2_lli.num_vgpr, 8
	.set _ZL44rocblas_set_matrix_zero_if_alpha_zero_kernelILi16ELi16E19rocblas_complex_numIdEPKPS1_EviiT1_lT2_lli.num_agpr, 0
	.set _ZL44rocblas_set_matrix_zero_if_alpha_zero_kernelILi16ELi16E19rocblas_complex_numIdEPKPS1_EviiT1_lT2_lli.numbered_sgpr, 13
	.set _ZL44rocblas_set_matrix_zero_if_alpha_zero_kernelILi16ELi16E19rocblas_complex_numIdEPKPS1_EviiT1_lT2_lli.num_named_barrier, 0
	.set _ZL44rocblas_set_matrix_zero_if_alpha_zero_kernelILi16ELi16E19rocblas_complex_numIdEPKPS1_EviiT1_lT2_lli.private_seg_size, 0
	.set _ZL44rocblas_set_matrix_zero_if_alpha_zero_kernelILi16ELi16E19rocblas_complex_numIdEPKPS1_EviiT1_lT2_lli.uses_vcc, 1
	.set _ZL44rocblas_set_matrix_zero_if_alpha_zero_kernelILi16ELi16E19rocblas_complex_numIdEPKPS1_EviiT1_lT2_lli.uses_flat_scratch, 0
	.set _ZL44rocblas_set_matrix_zero_if_alpha_zero_kernelILi16ELi16E19rocblas_complex_numIdEPKPS1_EviiT1_lT2_lli.has_dyn_sized_stack, 0
	.set _ZL44rocblas_set_matrix_zero_if_alpha_zero_kernelILi16ELi16E19rocblas_complex_numIdEPKPS1_EviiT1_lT2_lli.has_recursion, 0
	.set _ZL44rocblas_set_matrix_zero_if_alpha_zero_kernelILi16ELi16E19rocblas_complex_numIdEPKPS1_EviiT1_lT2_lli.has_indirect_call, 0
	.section	.AMDGPU.csdata,"",@progbits
; Kernel info:
; codeLenInByte = 324
; TotalNumSgprs: 19
; NumVgprs: 8
; NumAgprs: 0
; TotalNumVgprs: 8
; ScratchSize: 0
; MemoryBound: 0
; FloatMode: 240
; IeeeMode: 1
; LDSByteSize: 0 bytes/workgroup (compile time only)
; SGPRBlocks: 2
; VGPRBlocks: 0
; NumSGPRsForWavesPerEU: 19
; NumVGPRsForWavesPerEU: 8
; AccumOffset: 8
; Occupancy: 8
; WaveLimiterHint : 0
; COMPUTE_PGM_RSRC2:SCRATCH_EN: 0
; COMPUTE_PGM_RSRC2:USER_SGPR: 2
; COMPUTE_PGM_RSRC2:TRAP_HANDLER: 0
; COMPUTE_PGM_RSRC2:TGID_X_EN: 1
; COMPUTE_PGM_RSRC2:TGID_Y_EN: 1
; COMPUTE_PGM_RSRC2:TGID_Z_EN: 1
; COMPUTE_PGM_RSRC2:TIDIG_COMP_CNT: 1
; COMPUTE_PGM_RSRC3_GFX90A:ACCUM_OFFSET: 1
; COMPUTE_PGM_RSRC3_GFX90A:TG_SPLIT: 0
	.section	.text._ZL44rocblas_set_matrix_zero_if_alpha_zero_kernelILi16ELi16EPK19rocblas_complex_numIdEPS1_EviiT1_lT2_lli,"axG",@progbits,_ZL44rocblas_set_matrix_zero_if_alpha_zero_kernelILi16ELi16EPK19rocblas_complex_numIdEPS1_EviiT1_lT2_lli,comdat
	.globl	_ZL44rocblas_set_matrix_zero_if_alpha_zero_kernelILi16ELi16EPK19rocblas_complex_numIdEPS1_EviiT1_lT2_lli ; -- Begin function _ZL44rocblas_set_matrix_zero_if_alpha_zero_kernelILi16ELi16EPK19rocblas_complex_numIdEPS1_EviiT1_lT2_lli
	.p2align	8
	.type	_ZL44rocblas_set_matrix_zero_if_alpha_zero_kernelILi16ELi16EPK19rocblas_complex_numIdEPS1_EviiT1_lT2_lli,@function
_ZL44rocblas_set_matrix_zero_if_alpha_zero_kernelILi16ELi16EPK19rocblas_complex_numIdEPS1_EviiT1_lT2_lli: ; @_ZL44rocblas_set_matrix_zero_if_alpha_zero_kernelILi16ELi16EPK19rocblas_complex_numIdEPS1_EviiT1_lT2_lli
; %bb.0:
	s_load_dwordx8 s[8:15], s[0:1], 0x8
	s_waitcnt lgkmcnt(0)
	s_mul_i32 s5, s11, s4
	s_mul_hi_u32 s6, s10, s4
	s_add_i32 s7, s6, s5
	s_mul_i32 s6, s10, s4
	s_lshl_b64 s[6:7], s[6:7], 4
	s_add_u32 s6, s8, s6
	s_addc_u32 s7, s9, s7
	s_load_dwordx4 s[8:11], s[6:7], 0x0
	s_waitcnt lgkmcnt(0)
	v_cmp_eq_f64_e64 s[6:7], s[8:9], 0
	v_cmp_eq_f64_e64 s[8:9], s[10:11], 0
	s_and_b64 s[6:7], s[6:7], s[8:9]
	s_andn2_b64 vcc, exec, s[6:7]
	s_cbranch_vccnz .LBB206_4
; %bb.1:
	s_load_dwordx2 s[8:9], s[0:1], 0x0
	v_and_b32_e32 v1, 0x3ff, v0
	v_mov_b32_e32 v3, 0
	v_bfe_u32 v0, v0, 10, 10
	v_lshl_add_u32 v2, s2, 4, v1
	v_lshl_add_u32 v0, s3, 4, v0
	v_mov_b32_e32 v1, v3
	s_waitcnt lgkmcnt(0)
	s_ashr_i32 s3, s8, 31
	s_mov_b32 s2, s8
	s_ashr_i32 s7, s9, 31
	s_mov_b32 s6, s9
	v_cmp_gt_i64_e32 vcc, s[2:3], v[2:3]
	v_cmp_gt_i64_e64 s[2:3], s[6:7], v[0:1]
	s_and_b64 s[2:3], vcc, s[2:3]
	s_and_saveexec_b64 s[8:9], s[2:3]
	s_cbranch_execz .LBB206_4
; %bb.2:
	s_load_dword s5, s[0:1], 0x3c
	s_load_dwordx2 s[2:3], s[0:1], 0x28
	s_mov_b32 s1, 0
	s_waitcnt lgkmcnt(0)
	s_lshl_b32 s0, s5, 4
	s_mul_i32 s3, s3, s4
	s_mul_hi_u32 s5, s2, s4
	s_add_i32 s3, s5, s3
	s_mul_i32 s2, s2, s4
	v_mad_u64_u32 v[4:5], s[4:5], s14, v0, 0
	v_mov_b32_e32 v6, v5
	v_mad_u64_u32 v[6:7], s[4:5], s15, v0, v[6:7]
	v_mov_b32_e32 v5, v6
	v_lshlrev_b64 v[4:5], 4, v[4:5]
	v_lshl_add_u64 v[4:5], s[2:3], 4, v[4:5]
	v_lshl_add_u64 v[4:5], v[2:3], 4, v[4:5]
	s_mul_i32 s2, s15, s0
	s_mul_hi_u32 s3, s14, s0
	v_lshl_add_u64 v[4:5], s[12:13], 0, v[4:5]
	s_add_i32 s3, s3, s2
	s_mul_i32 s2, s14, s0
	v_lshl_add_u64 v[6:7], v[4:5], 0, 8
	s_lshl_b64 s[2:3], s[2:3], 4
	s_mov_b64 s[4:5], 0
	v_mov_b32_e32 v2, v3
	v_mov_b32_e32 v4, v3
	;; [unrolled: 1-line block ×3, first 2 shown]
.LBB206_3:                              ; =>This Inner Loop Header: Depth=1
	v_lshl_add_u64 v[0:1], v[0:1], 0, s[0:1]
	v_cmp_le_i64_e32 vcc, s[6:7], v[0:1]
	global_store_dwordx4 v[6:7], v[2:5], off offset:-8
	s_or_b64 s[4:5], vcc, s[4:5]
	v_lshl_add_u64 v[6:7], v[6:7], 0, s[2:3]
	s_andn2_b64 exec, exec, s[4:5]
	s_cbranch_execnz .LBB206_3
.LBB206_4:
	s_endpgm
	.section	.rodata,"a",@progbits
	.p2align	6, 0x0
	.amdhsa_kernel _ZL44rocblas_set_matrix_zero_if_alpha_zero_kernelILi16ELi16EPK19rocblas_complex_numIdEPS1_EviiT1_lT2_lli
		.amdhsa_group_segment_fixed_size 0
		.amdhsa_private_segment_fixed_size 0
		.amdhsa_kernarg_size 312
		.amdhsa_user_sgpr_count 2
		.amdhsa_user_sgpr_dispatch_ptr 0
		.amdhsa_user_sgpr_queue_ptr 0
		.amdhsa_user_sgpr_kernarg_segment_ptr 1
		.amdhsa_user_sgpr_dispatch_id 0
		.amdhsa_user_sgpr_kernarg_preload_length 0
		.amdhsa_user_sgpr_kernarg_preload_offset 0
		.amdhsa_user_sgpr_private_segment_size 0
		.amdhsa_uses_dynamic_stack 0
		.amdhsa_enable_private_segment 0
		.amdhsa_system_sgpr_workgroup_id_x 1
		.amdhsa_system_sgpr_workgroup_id_y 1
		.amdhsa_system_sgpr_workgroup_id_z 1
		.amdhsa_system_sgpr_workgroup_info 0
		.amdhsa_system_vgpr_workitem_id 1
		.amdhsa_next_free_vgpr 8
		.amdhsa_next_free_sgpr 16
		.amdhsa_accum_offset 8
		.amdhsa_reserve_vcc 1
		.amdhsa_float_round_mode_32 0
		.amdhsa_float_round_mode_16_64 0
		.amdhsa_float_denorm_mode_32 3
		.amdhsa_float_denorm_mode_16_64 3
		.amdhsa_dx10_clamp 1
		.amdhsa_ieee_mode 1
		.amdhsa_fp16_overflow 0
		.amdhsa_tg_split 0
		.amdhsa_exception_fp_ieee_invalid_op 0
		.amdhsa_exception_fp_denorm_src 0
		.amdhsa_exception_fp_ieee_div_zero 0
		.amdhsa_exception_fp_ieee_overflow 0
		.amdhsa_exception_fp_ieee_underflow 0
		.amdhsa_exception_fp_ieee_inexact 0
		.amdhsa_exception_int_div_zero 0
	.end_amdhsa_kernel
	.section	.text._ZL44rocblas_set_matrix_zero_if_alpha_zero_kernelILi16ELi16EPK19rocblas_complex_numIdEPS1_EviiT1_lT2_lli,"axG",@progbits,_ZL44rocblas_set_matrix_zero_if_alpha_zero_kernelILi16ELi16EPK19rocblas_complex_numIdEPS1_EviiT1_lT2_lli,comdat
.Lfunc_end206:
	.size	_ZL44rocblas_set_matrix_zero_if_alpha_zero_kernelILi16ELi16EPK19rocblas_complex_numIdEPS1_EviiT1_lT2_lli, .Lfunc_end206-_ZL44rocblas_set_matrix_zero_if_alpha_zero_kernelILi16ELi16EPK19rocblas_complex_numIdEPS1_EviiT1_lT2_lli
                                        ; -- End function
	.set _ZL44rocblas_set_matrix_zero_if_alpha_zero_kernelILi16ELi16EPK19rocblas_complex_numIdEPS1_EviiT1_lT2_lli.num_vgpr, 8
	.set _ZL44rocblas_set_matrix_zero_if_alpha_zero_kernelILi16ELi16EPK19rocblas_complex_numIdEPS1_EviiT1_lT2_lli.num_agpr, 0
	.set _ZL44rocblas_set_matrix_zero_if_alpha_zero_kernelILi16ELi16EPK19rocblas_complex_numIdEPS1_EviiT1_lT2_lli.numbered_sgpr, 16
	.set _ZL44rocblas_set_matrix_zero_if_alpha_zero_kernelILi16ELi16EPK19rocblas_complex_numIdEPS1_EviiT1_lT2_lli.num_named_barrier, 0
	.set _ZL44rocblas_set_matrix_zero_if_alpha_zero_kernelILi16ELi16EPK19rocblas_complex_numIdEPS1_EviiT1_lT2_lli.private_seg_size, 0
	.set _ZL44rocblas_set_matrix_zero_if_alpha_zero_kernelILi16ELi16EPK19rocblas_complex_numIdEPS1_EviiT1_lT2_lli.uses_vcc, 1
	.set _ZL44rocblas_set_matrix_zero_if_alpha_zero_kernelILi16ELi16EPK19rocblas_complex_numIdEPS1_EviiT1_lT2_lli.uses_flat_scratch, 0
	.set _ZL44rocblas_set_matrix_zero_if_alpha_zero_kernelILi16ELi16EPK19rocblas_complex_numIdEPS1_EviiT1_lT2_lli.has_dyn_sized_stack, 0
	.set _ZL44rocblas_set_matrix_zero_if_alpha_zero_kernelILi16ELi16EPK19rocblas_complex_numIdEPS1_EviiT1_lT2_lli.has_recursion, 0
	.set _ZL44rocblas_set_matrix_zero_if_alpha_zero_kernelILi16ELi16EPK19rocblas_complex_numIdEPS1_EviiT1_lT2_lli.has_indirect_call, 0
	.section	.AMDGPU.csdata,"",@progbits
; Kernel info:
; codeLenInByte = 360
; TotalNumSgprs: 22
; NumVgprs: 8
; NumAgprs: 0
; TotalNumVgprs: 8
; ScratchSize: 0
; MemoryBound: 0
; FloatMode: 240
; IeeeMode: 1
; LDSByteSize: 0 bytes/workgroup (compile time only)
; SGPRBlocks: 2
; VGPRBlocks: 0
; NumSGPRsForWavesPerEU: 22
; NumVGPRsForWavesPerEU: 8
; AccumOffset: 8
; Occupancy: 8
; WaveLimiterHint : 0
; COMPUTE_PGM_RSRC2:SCRATCH_EN: 0
; COMPUTE_PGM_RSRC2:USER_SGPR: 2
; COMPUTE_PGM_RSRC2:TRAP_HANDLER: 0
; COMPUTE_PGM_RSRC2:TGID_X_EN: 1
; COMPUTE_PGM_RSRC2:TGID_Y_EN: 1
; COMPUTE_PGM_RSRC2:TGID_Z_EN: 1
; COMPUTE_PGM_RSRC2:TIDIG_COMP_CNT: 1
; COMPUTE_PGM_RSRC3_GFX90A:ACCUM_OFFSET: 1
; COMPUTE_PGM_RSRC3_GFX90A:TG_SPLIT: 0
	.section	.text._ZL44rocblas_set_matrix_zero_if_alpha_zero_kernelILi16ELi16E19rocblas_complex_numIdEPS1_EviiT1_lT2_lli,"axG",@progbits,_ZL44rocblas_set_matrix_zero_if_alpha_zero_kernelILi16ELi16E19rocblas_complex_numIdEPS1_EviiT1_lT2_lli,comdat
	.globl	_ZL44rocblas_set_matrix_zero_if_alpha_zero_kernelILi16ELi16E19rocblas_complex_numIdEPS1_EviiT1_lT2_lli ; -- Begin function _ZL44rocblas_set_matrix_zero_if_alpha_zero_kernelILi16ELi16E19rocblas_complex_numIdEPS1_EviiT1_lT2_lli
	.p2align	8
	.type	_ZL44rocblas_set_matrix_zero_if_alpha_zero_kernelILi16ELi16E19rocblas_complex_numIdEPS1_EviiT1_lT2_lli,@function
_ZL44rocblas_set_matrix_zero_if_alpha_zero_kernelILi16ELi16E19rocblas_complex_numIdEPS1_EviiT1_lT2_lli: ; @_ZL44rocblas_set_matrix_zero_if_alpha_zero_kernelILi16ELi16E19rocblas_complex_numIdEPS1_EviiT1_lT2_lli
; %bb.0:
	s_load_dwordx4 s[8:11], s[0:1], 0x8
	s_waitcnt lgkmcnt(0)
	v_cmp_eq_f64_e64 s[6:7], s[8:9], 0
	v_cmp_eq_f64_e64 s[8:9], s[10:11], 0
	s_and_b64 s[6:7], s[6:7], s[8:9]
	s_andn2_b64 vcc, exec, s[6:7]
	s_cbranch_vccnz .LBB207_4
; %bb.1:
	s_load_dwordx2 s[8:9], s[0:1], 0x0
	v_and_b32_e32 v1, 0x3ff, v0
	v_mov_b32_e32 v3, 0
	v_bfe_u32 v0, v0, 10, 10
	v_lshl_add_u32 v2, s2, 4, v1
	v_lshl_add_u32 v0, s3, 4, v0
	v_mov_b32_e32 v1, v3
	s_waitcnt lgkmcnt(0)
	s_ashr_i32 s3, s8, 31
	s_mov_b32 s2, s8
	s_ashr_i32 s7, s9, 31
	s_mov_b32 s6, s9
	v_cmp_gt_i64_e32 vcc, s[2:3], v[2:3]
	v_cmp_gt_i64_e64 s[2:3], s[6:7], v[0:1]
	s_and_b64 s[2:3], vcc, s[2:3]
	s_and_saveexec_b64 s[8:9], s[2:3]
	s_cbranch_execz .LBB207_4
; %bb.2:
	s_load_dword s5, s[0:1], 0x44
	s_load_dwordx2 s[2:3], s[0:1], 0x30
	s_load_dwordx4 s[8:11], s[0:1], 0x20
	s_mov_b32 s1, 0
	s_waitcnt lgkmcnt(0)
	s_lshl_b32 s0, s5, 4
	s_mul_i32 s3, s3, s4
	s_mul_hi_u32 s5, s2, s4
	s_add_i32 s3, s5, s3
	s_mul_i32 s2, s2, s4
	v_mad_u64_u32 v[4:5], s[4:5], s10, v0, 0
	v_mov_b32_e32 v6, v5
	v_mad_u64_u32 v[6:7], s[4:5], s11, v0, v[6:7]
	v_mov_b32_e32 v5, v6
	v_lshlrev_b64 v[4:5], 4, v[4:5]
	v_lshl_add_u64 v[4:5], s[2:3], 4, v[4:5]
	v_lshl_add_u64 v[4:5], v[2:3], 4, v[4:5]
	s_mul_i32 s2, s11, s0
	s_mul_hi_u32 s3, s10, s0
	v_lshl_add_u64 v[4:5], s[8:9], 0, v[4:5]
	s_add_i32 s3, s3, s2
	s_mul_i32 s2, s10, s0
	v_lshl_add_u64 v[6:7], v[4:5], 0, 8
	s_lshl_b64 s[2:3], s[2:3], 4
	s_mov_b64 s[4:5], 0
	v_mov_b32_e32 v2, v3
	v_mov_b32_e32 v4, v3
	;; [unrolled: 1-line block ×3, first 2 shown]
.LBB207_3:                              ; =>This Inner Loop Header: Depth=1
	v_lshl_add_u64 v[0:1], v[0:1], 0, s[0:1]
	v_cmp_le_i64_e32 vcc, s[6:7], v[0:1]
	global_store_dwordx4 v[6:7], v[2:5], off offset:-8
	s_or_b64 s[4:5], vcc, s[4:5]
	v_lshl_add_u64 v[6:7], v[6:7], 0, s[2:3]
	s_andn2_b64 exec, exec, s[4:5]
	s_cbranch_execnz .LBB207_3
.LBB207_4:
	s_endpgm
	.section	.rodata,"a",@progbits
	.p2align	6, 0x0
	.amdhsa_kernel _ZL44rocblas_set_matrix_zero_if_alpha_zero_kernelILi16ELi16E19rocblas_complex_numIdEPS1_EviiT1_lT2_lli
		.amdhsa_group_segment_fixed_size 0
		.amdhsa_private_segment_fixed_size 0
		.amdhsa_kernarg_size 320
		.amdhsa_user_sgpr_count 2
		.amdhsa_user_sgpr_dispatch_ptr 0
		.amdhsa_user_sgpr_queue_ptr 0
		.amdhsa_user_sgpr_kernarg_segment_ptr 1
		.amdhsa_user_sgpr_dispatch_id 0
		.amdhsa_user_sgpr_kernarg_preload_length 0
		.amdhsa_user_sgpr_kernarg_preload_offset 0
		.amdhsa_user_sgpr_private_segment_size 0
		.amdhsa_uses_dynamic_stack 0
		.amdhsa_enable_private_segment 0
		.amdhsa_system_sgpr_workgroup_id_x 1
		.amdhsa_system_sgpr_workgroup_id_y 1
		.amdhsa_system_sgpr_workgroup_id_z 1
		.amdhsa_system_sgpr_workgroup_info 0
		.amdhsa_system_vgpr_workitem_id 1
		.amdhsa_next_free_vgpr 8
		.amdhsa_next_free_sgpr 12
		.amdhsa_accum_offset 8
		.amdhsa_reserve_vcc 1
		.amdhsa_float_round_mode_32 0
		.amdhsa_float_round_mode_16_64 0
		.amdhsa_float_denorm_mode_32 3
		.amdhsa_float_denorm_mode_16_64 3
		.amdhsa_dx10_clamp 1
		.amdhsa_ieee_mode 1
		.amdhsa_fp16_overflow 0
		.amdhsa_tg_split 0
		.amdhsa_exception_fp_ieee_invalid_op 0
		.amdhsa_exception_fp_denorm_src 0
		.amdhsa_exception_fp_ieee_div_zero 0
		.amdhsa_exception_fp_ieee_overflow 0
		.amdhsa_exception_fp_ieee_underflow 0
		.amdhsa_exception_fp_ieee_inexact 0
		.amdhsa_exception_int_div_zero 0
	.end_amdhsa_kernel
	.section	.text._ZL44rocblas_set_matrix_zero_if_alpha_zero_kernelILi16ELi16E19rocblas_complex_numIdEPS1_EviiT1_lT2_lli,"axG",@progbits,_ZL44rocblas_set_matrix_zero_if_alpha_zero_kernelILi16ELi16E19rocblas_complex_numIdEPS1_EviiT1_lT2_lli,comdat
.Lfunc_end207:
	.size	_ZL44rocblas_set_matrix_zero_if_alpha_zero_kernelILi16ELi16E19rocblas_complex_numIdEPS1_EviiT1_lT2_lli, .Lfunc_end207-_ZL44rocblas_set_matrix_zero_if_alpha_zero_kernelILi16ELi16E19rocblas_complex_numIdEPS1_EviiT1_lT2_lli
                                        ; -- End function
	.set _ZL44rocblas_set_matrix_zero_if_alpha_zero_kernelILi16ELi16E19rocblas_complex_numIdEPS1_EviiT1_lT2_lli.num_vgpr, 8
	.set _ZL44rocblas_set_matrix_zero_if_alpha_zero_kernelILi16ELi16E19rocblas_complex_numIdEPS1_EviiT1_lT2_lli.num_agpr, 0
	.set _ZL44rocblas_set_matrix_zero_if_alpha_zero_kernelILi16ELi16E19rocblas_complex_numIdEPS1_EviiT1_lT2_lli.numbered_sgpr, 12
	.set _ZL44rocblas_set_matrix_zero_if_alpha_zero_kernelILi16ELi16E19rocblas_complex_numIdEPS1_EviiT1_lT2_lli.num_named_barrier, 0
	.set _ZL44rocblas_set_matrix_zero_if_alpha_zero_kernelILi16ELi16E19rocblas_complex_numIdEPS1_EviiT1_lT2_lli.private_seg_size, 0
	.set _ZL44rocblas_set_matrix_zero_if_alpha_zero_kernelILi16ELi16E19rocblas_complex_numIdEPS1_EviiT1_lT2_lli.uses_vcc, 1
	.set _ZL44rocblas_set_matrix_zero_if_alpha_zero_kernelILi16ELi16E19rocblas_complex_numIdEPS1_EviiT1_lT2_lli.uses_flat_scratch, 0
	.set _ZL44rocblas_set_matrix_zero_if_alpha_zero_kernelILi16ELi16E19rocblas_complex_numIdEPS1_EviiT1_lT2_lli.has_dyn_sized_stack, 0
	.set _ZL44rocblas_set_matrix_zero_if_alpha_zero_kernelILi16ELi16E19rocblas_complex_numIdEPS1_EviiT1_lT2_lli.has_recursion, 0
	.set _ZL44rocblas_set_matrix_zero_if_alpha_zero_kernelILi16ELi16E19rocblas_complex_numIdEPS1_EviiT1_lT2_lli.has_indirect_call, 0
	.section	.AMDGPU.csdata,"",@progbits
; Kernel info:
; codeLenInByte = 328
; TotalNumSgprs: 18
; NumVgprs: 8
; NumAgprs: 0
; TotalNumVgprs: 8
; ScratchSize: 0
; MemoryBound: 0
; FloatMode: 240
; IeeeMode: 1
; LDSByteSize: 0 bytes/workgroup (compile time only)
; SGPRBlocks: 2
; VGPRBlocks: 0
; NumSGPRsForWavesPerEU: 18
; NumVGPRsForWavesPerEU: 8
; AccumOffset: 8
; Occupancy: 8
; WaveLimiterHint : 0
; COMPUTE_PGM_RSRC2:SCRATCH_EN: 0
; COMPUTE_PGM_RSRC2:USER_SGPR: 2
; COMPUTE_PGM_RSRC2:TRAP_HANDLER: 0
; COMPUTE_PGM_RSRC2:TGID_X_EN: 1
; COMPUTE_PGM_RSRC2:TGID_Y_EN: 1
; COMPUTE_PGM_RSRC2:TGID_Z_EN: 1
; COMPUTE_PGM_RSRC2:TIDIG_COMP_CNT: 1
; COMPUTE_PGM_RSRC3_GFX90A:ACCUM_OFFSET: 1
; COMPUTE_PGM_RSRC3_GFX90A:TG_SPLIT: 0
	.section	.AMDGPU.gpr_maximums,"",@progbits
	.set amdgpu.max_num_vgpr, 0
	.set amdgpu.max_num_agpr, 0
	.set amdgpu.max_num_sgpr, 0
	.section	.AMDGPU.csdata,"",@progbits
	.type	__hip_cuid_5e15ad2b15c8b5b8,@object ; @__hip_cuid_5e15ad2b15c8b5b8
	.section	.bss,"aw",@nobits
	.globl	__hip_cuid_5e15ad2b15c8b5b8
__hip_cuid_5e15ad2b15c8b5b8:
	.byte	0                               ; 0x0
	.size	__hip_cuid_5e15ad2b15c8b5b8, 1

	.ident	"AMD clang version 22.0.0git (https://github.com/RadeonOpenCompute/llvm-project roc-7.2.4 26084 f58b06dce1f9c15707c5f808fd002e18c2accf7e)"
	.section	".note.GNU-stack","",@progbits
	.addrsig
	.addrsig_sym __hip_cuid_5e15ad2b15c8b5b8
	.amdgpu_metadata
---
amdhsa.kernels:
  - .agpr_count:     0
    .args:
      - .offset:         0
        .size:           4
        .value_kind:     by_value
      - .offset:         4
        .size:           4
        .value_kind:     by_value
      - .offset:         8
        .size:           4
        .value_kind:     by_value
      - .address_space:  global
        .offset:         16
        .size:           8
        .value_kind:     global_buffer
      - .offset:         24
        .size:           8
        .value_kind:     by_value
      - .address_space:  global
        .offset:         32
        .size:           8
        .value_kind:     global_buffer
      - .offset:         40
        .size:           8
        .value_kind:     by_value
      - .offset:         48
        .size:           8
        .value_kind:     by_value
      - .offset:         56
        .size:           8
        .value_kind:     by_value
      - .address_space:  global
        .offset:         64
        .size:           8
        .value_kind:     global_buffer
      - .offset:         72
        .size:           8
        .value_kind:     by_value
      - .offset:         80
        .size:           8
        .value_kind:     by_value
      - .offset:         88
        .size:           8
        .value_kind:     by_value
      - .address_space:  global
        .offset:         96
        .size:           8
        .value_kind:     global_buffer
      - .offset:         104
        .size:           8
        .value_kind:     by_value
      - .offset:         112
        .size:           8
        .value_kind:     by_value
      - .offset:         120
        .size:           8
        .value_kind:     by_value
      - .offset:         128
        .size:           4
        .value_kind:     by_value
      - .offset:         136
        .size:           4
        .value_kind:     hidden_block_count_x
      - .offset:         140
        .size:           4
        .value_kind:     hidden_block_count_y
      - .offset:         144
        .size:           4
        .value_kind:     hidden_block_count_z
      - .offset:         148
        .size:           2
        .value_kind:     hidden_group_size_x
      - .offset:         150
        .size:           2
        .value_kind:     hidden_group_size_y
      - .offset:         152
        .size:           2
        .value_kind:     hidden_group_size_z
      - .offset:         154
        .size:           2
        .value_kind:     hidden_remainder_x
      - .offset:         156
        .size:           2
        .value_kind:     hidden_remainder_y
      - .offset:         158
        .size:           2
        .value_kind:     hidden_remainder_z
      - .offset:         176
        .size:           8
        .value_kind:     hidden_global_offset_x
      - .offset:         184
        .size:           8
        .value_kind:     hidden_global_offset_y
      - .offset:         192
        .size:           8
        .value_kind:     hidden_global_offset_z
      - .offset:         200
        .size:           2
        .value_kind:     hidden_grid_dims
    .group_segment_fixed_size: 8192
    .kernarg_segment_align: 8
    .kernarg_segment_size: 392
    .language:       OpenCL C
    .language_version:
      - 2
      - 0
    .max_flat_workgroup_size: 1024
    .name:           _ZL30rocblas_trmm_outofplace_kernelIfLi32ELi2ELb1ELb0ELb0ELb0EPKfS0_fEv17rocblas_diagonal_iiT6_lPT7_lllS5_lllPT8_llli
    .private_segment_fixed_size: 0
    .sgpr_count:     62
    .sgpr_spill_count: 0
    .symbol:         _ZL30rocblas_trmm_outofplace_kernelIfLi32ELi2ELb1ELb0ELb0ELb0EPKfS0_fEv17rocblas_diagonal_iiT6_lPT7_lllS5_lllPT8_llli.kd
    .uniform_work_group_size: 1
    .uses_dynamic_stack: false
    .vgpr_count:     92
    .vgpr_spill_count: 0
    .wavefront_size: 64
  - .agpr_count:     0
    .args:
      - .offset:         0
        .size:           4
        .value_kind:     by_value
      - .offset:         4
        .size:           4
        .value_kind:     by_value
      - .offset:         8
        .size:           4
        .value_kind:     by_value
      - .offset:         12
        .size:           4
        .value_kind:     by_value
      - .offset:         16
        .size:           8
        .value_kind:     by_value
      - .address_space:  global
        .offset:         24
        .size:           8
        .value_kind:     global_buffer
      - .offset:         32
        .size:           8
        .value_kind:     by_value
      - .offset:         40
        .size:           8
        .value_kind:     by_value
      - .offset:         48
        .size:           8
        .value_kind:     by_value
      - .address_space:  global
        .offset:         56
        .size:           8
        .value_kind:     global_buffer
      - .offset:         64
        .size:           8
        .value_kind:     by_value
      - .offset:         72
        .size:           8
        .value_kind:     by_value
      - .offset:         80
        .size:           8
        .value_kind:     by_value
      - .address_space:  global
        .offset:         88
        .size:           8
        .value_kind:     global_buffer
      - .offset:         96
        .size:           8
        .value_kind:     by_value
      - .offset:         104
        .size:           8
        .value_kind:     by_value
      - .offset:         112
        .size:           8
        .value_kind:     by_value
      - .offset:         120
        .size:           4
        .value_kind:     by_value
      - .offset:         128
        .size:           4
        .value_kind:     hidden_block_count_x
      - .offset:         132
        .size:           4
        .value_kind:     hidden_block_count_y
      - .offset:         136
        .size:           4
        .value_kind:     hidden_block_count_z
      - .offset:         140
        .size:           2
        .value_kind:     hidden_group_size_x
      - .offset:         142
        .size:           2
        .value_kind:     hidden_group_size_y
      - .offset:         144
        .size:           2
        .value_kind:     hidden_group_size_z
      - .offset:         146
        .size:           2
        .value_kind:     hidden_remainder_x
      - .offset:         148
        .size:           2
        .value_kind:     hidden_remainder_y
      - .offset:         150
        .size:           2
        .value_kind:     hidden_remainder_z
      - .offset:         168
        .size:           8
        .value_kind:     hidden_global_offset_x
      - .offset:         176
        .size:           8
        .value_kind:     hidden_global_offset_y
      - .offset:         184
        .size:           8
        .value_kind:     hidden_global_offset_z
      - .offset:         192
        .size:           2
        .value_kind:     hidden_grid_dims
    .group_segment_fixed_size: 8192
    .kernarg_segment_align: 8
    .kernarg_segment_size: 384
    .language:       OpenCL C
    .language_version:
      - 2
      - 0
    .max_flat_workgroup_size: 1024
    .name:           _ZL30rocblas_trmm_outofplace_kernelIfLi32ELi2ELb1ELb0ELb0ELb0EfKffEv17rocblas_diagonal_iiT6_lPT7_lllS4_lllPT8_llli
    .private_segment_fixed_size: 0
    .sgpr_count:     61
    .sgpr_spill_count: 0
    .symbol:         _ZL30rocblas_trmm_outofplace_kernelIfLi32ELi2ELb1ELb0ELb0ELb0EfKffEv17rocblas_diagonal_iiT6_lPT7_lllS4_lllPT8_llli.kd
    .uniform_work_group_size: 1
    .uses_dynamic_stack: false
    .vgpr_count:     92
    .vgpr_spill_count: 0
    .wavefront_size: 64
  - .agpr_count:     0
    .args:
      - .offset:         0
        .size:           4
        .value_kind:     by_value
      - .offset:         4
        .size:           4
        .value_kind:     by_value
      - .offset:         8
        .size:           4
        .value_kind:     by_value
      - .address_space:  global
        .offset:         16
        .size:           8
        .value_kind:     global_buffer
      - .offset:         24
        .size:           8
        .value_kind:     by_value
      - .address_space:  global
        .offset:         32
        .size:           8
        .value_kind:     global_buffer
      - .offset:         40
        .size:           8
        .value_kind:     by_value
      - .offset:         48
        .size:           8
        .value_kind:     by_value
      - .offset:         56
        .size:           8
        .value_kind:     by_value
      - .address_space:  global
        .offset:         64
        .size:           8
        .value_kind:     global_buffer
      - .offset:         72
        .size:           8
        .value_kind:     by_value
      - .offset:         80
        .size:           8
        .value_kind:     by_value
      - .offset:         88
        .size:           8
        .value_kind:     by_value
      - .address_space:  global
        .offset:         96
        .size:           8
        .value_kind:     global_buffer
      - .offset:         104
        .size:           8
        .value_kind:     by_value
      - .offset:         112
        .size:           8
        .value_kind:     by_value
      - .offset:         120
        .size:           8
        .value_kind:     by_value
      - .offset:         128
        .size:           4
        .value_kind:     by_value
      - .offset:         136
        .size:           4
        .value_kind:     hidden_block_count_x
      - .offset:         140
        .size:           4
        .value_kind:     hidden_block_count_y
      - .offset:         144
        .size:           4
        .value_kind:     hidden_block_count_z
      - .offset:         148
        .size:           2
        .value_kind:     hidden_group_size_x
      - .offset:         150
        .size:           2
        .value_kind:     hidden_group_size_y
      - .offset:         152
        .size:           2
        .value_kind:     hidden_group_size_z
      - .offset:         154
        .size:           2
        .value_kind:     hidden_remainder_x
      - .offset:         156
        .size:           2
        .value_kind:     hidden_remainder_y
      - .offset:         158
        .size:           2
        .value_kind:     hidden_remainder_z
      - .offset:         176
        .size:           8
        .value_kind:     hidden_global_offset_x
      - .offset:         184
        .size:           8
        .value_kind:     hidden_global_offset_y
      - .offset:         192
        .size:           8
        .value_kind:     hidden_global_offset_z
      - .offset:         200
        .size:           2
        .value_kind:     hidden_grid_dims
    .group_segment_fixed_size: 8192
    .kernarg_segment_align: 8
    .kernarg_segment_size: 392
    .language:       OpenCL C
    .language_version:
      - 2
      - 0
    .max_flat_workgroup_size: 1024
    .name:           _ZL30rocblas_trmm_outofplace_kernelIfLi32ELi2ELb1ELb1ELb0ELb0EPKfS0_fEv17rocblas_diagonal_iiT6_lPT7_lllS5_lllPT8_llli
    .private_segment_fixed_size: 0
    .sgpr_count:     64
    .sgpr_spill_count: 0
    .symbol:         _ZL30rocblas_trmm_outofplace_kernelIfLi32ELi2ELb1ELb1ELb0ELb0EPKfS0_fEv17rocblas_diagonal_iiT6_lPT7_lllS5_lllPT8_llli.kd
    .uniform_work_group_size: 1
    .uses_dynamic_stack: false
    .vgpr_count:     90
    .vgpr_spill_count: 0
    .wavefront_size: 64
  - .agpr_count:     0
    .args:
      - .offset:         0
        .size:           4
        .value_kind:     by_value
      - .offset:         4
        .size:           4
        .value_kind:     by_value
      - .offset:         8
        .size:           4
        .value_kind:     by_value
      - .offset:         12
        .size:           4
        .value_kind:     by_value
      - .offset:         16
        .size:           8
        .value_kind:     by_value
      - .address_space:  global
        .offset:         24
        .size:           8
        .value_kind:     global_buffer
      - .offset:         32
        .size:           8
        .value_kind:     by_value
      - .offset:         40
        .size:           8
        .value_kind:     by_value
      - .offset:         48
        .size:           8
        .value_kind:     by_value
      - .address_space:  global
        .offset:         56
        .size:           8
        .value_kind:     global_buffer
      - .offset:         64
        .size:           8
        .value_kind:     by_value
      - .offset:         72
        .size:           8
        .value_kind:     by_value
      - .offset:         80
        .size:           8
        .value_kind:     by_value
      - .address_space:  global
        .offset:         88
        .size:           8
        .value_kind:     global_buffer
      - .offset:         96
        .size:           8
        .value_kind:     by_value
      - .offset:         104
        .size:           8
        .value_kind:     by_value
      - .offset:         112
        .size:           8
        .value_kind:     by_value
      - .offset:         120
        .size:           4
        .value_kind:     by_value
      - .offset:         128
        .size:           4
        .value_kind:     hidden_block_count_x
      - .offset:         132
        .size:           4
        .value_kind:     hidden_block_count_y
      - .offset:         136
        .size:           4
        .value_kind:     hidden_block_count_z
      - .offset:         140
        .size:           2
        .value_kind:     hidden_group_size_x
      - .offset:         142
        .size:           2
        .value_kind:     hidden_group_size_y
      - .offset:         144
        .size:           2
        .value_kind:     hidden_group_size_z
      - .offset:         146
        .size:           2
        .value_kind:     hidden_remainder_x
      - .offset:         148
        .size:           2
        .value_kind:     hidden_remainder_y
      - .offset:         150
        .size:           2
        .value_kind:     hidden_remainder_z
      - .offset:         168
        .size:           8
        .value_kind:     hidden_global_offset_x
      - .offset:         176
        .size:           8
        .value_kind:     hidden_global_offset_y
      - .offset:         184
        .size:           8
        .value_kind:     hidden_global_offset_z
      - .offset:         192
        .size:           2
        .value_kind:     hidden_grid_dims
    .group_segment_fixed_size: 8192
    .kernarg_segment_align: 8
    .kernarg_segment_size: 384
    .language:       OpenCL C
    .language_version:
      - 2
      - 0
    .max_flat_workgroup_size: 1024
    .name:           _ZL30rocblas_trmm_outofplace_kernelIfLi32ELi2ELb1ELb1ELb0ELb0EfKffEv17rocblas_diagonal_iiT6_lPT7_lllS4_lllPT8_llli
    .private_segment_fixed_size: 0
    .sgpr_count:     64
    .sgpr_spill_count: 0
    .symbol:         _ZL30rocblas_trmm_outofplace_kernelIfLi32ELi2ELb1ELb1ELb0ELb0EfKffEv17rocblas_diagonal_iiT6_lPT7_lllS4_lllPT8_llli.kd
    .uniform_work_group_size: 1
    .uses_dynamic_stack: false
    .vgpr_count:     90
    .vgpr_spill_count: 0
    .wavefront_size: 64
  - .agpr_count:     0
    .args:
      - .offset:         0
        .size:           4
        .value_kind:     by_value
      - .offset:         4
        .size:           4
        .value_kind:     by_value
      - .offset:         8
        .size:           4
        .value_kind:     by_value
      - .address_space:  global
        .offset:         16
        .size:           8
        .value_kind:     global_buffer
      - .offset:         24
        .size:           8
        .value_kind:     by_value
      - .address_space:  global
        .offset:         32
        .size:           8
        .value_kind:     global_buffer
      - .offset:         40
        .size:           8
        .value_kind:     by_value
      - .offset:         48
        .size:           8
        .value_kind:     by_value
      - .offset:         56
        .size:           8
        .value_kind:     by_value
      - .address_space:  global
        .offset:         64
        .size:           8
        .value_kind:     global_buffer
      - .offset:         72
        .size:           8
        .value_kind:     by_value
      - .offset:         80
        .size:           8
        .value_kind:     by_value
      - .offset:         88
        .size:           8
        .value_kind:     by_value
      - .address_space:  global
        .offset:         96
        .size:           8
        .value_kind:     global_buffer
      - .offset:         104
        .size:           8
        .value_kind:     by_value
      - .offset:         112
        .size:           8
        .value_kind:     by_value
      - .offset:         120
        .size:           8
        .value_kind:     by_value
      - .offset:         128
        .size:           4
        .value_kind:     by_value
      - .offset:         136
        .size:           4
        .value_kind:     hidden_block_count_x
      - .offset:         140
        .size:           4
        .value_kind:     hidden_block_count_y
      - .offset:         144
        .size:           4
        .value_kind:     hidden_block_count_z
      - .offset:         148
        .size:           2
        .value_kind:     hidden_group_size_x
      - .offset:         150
        .size:           2
        .value_kind:     hidden_group_size_y
      - .offset:         152
        .size:           2
        .value_kind:     hidden_group_size_z
      - .offset:         154
        .size:           2
        .value_kind:     hidden_remainder_x
      - .offset:         156
        .size:           2
        .value_kind:     hidden_remainder_y
      - .offset:         158
        .size:           2
        .value_kind:     hidden_remainder_z
      - .offset:         176
        .size:           8
        .value_kind:     hidden_global_offset_x
      - .offset:         184
        .size:           8
        .value_kind:     hidden_global_offset_y
      - .offset:         192
        .size:           8
        .value_kind:     hidden_global_offset_z
      - .offset:         200
        .size:           2
        .value_kind:     hidden_grid_dims
    .group_segment_fixed_size: 8192
    .kernarg_segment_align: 8
    .kernarg_segment_size: 392
    .language:       OpenCL C
    .language_version:
      - 2
      - 0
    .max_flat_workgroup_size: 1024
    .name:           _ZL30rocblas_trmm_outofplace_kernelIfLi32ELi2ELb1ELb0ELb1ELb0EPKfS0_fEv17rocblas_diagonal_iiT6_lPT7_lllS5_lllPT8_llli
    .private_segment_fixed_size: 0
    .sgpr_count:     59
    .sgpr_spill_count: 0
    .symbol:         _ZL30rocblas_trmm_outofplace_kernelIfLi32ELi2ELb1ELb0ELb1ELb0EPKfS0_fEv17rocblas_diagonal_iiT6_lPT7_lllS5_lllPT8_llli.kd
    .uniform_work_group_size: 1
    .uses_dynamic_stack: false
    .vgpr_count:     92
    .vgpr_spill_count: 0
    .wavefront_size: 64
  - .agpr_count:     0
    .args:
      - .offset:         0
        .size:           4
        .value_kind:     by_value
      - .offset:         4
        .size:           4
        .value_kind:     by_value
      - .offset:         8
        .size:           4
        .value_kind:     by_value
      - .offset:         12
        .size:           4
        .value_kind:     by_value
      - .offset:         16
        .size:           8
        .value_kind:     by_value
      - .address_space:  global
        .offset:         24
        .size:           8
        .value_kind:     global_buffer
      - .offset:         32
        .size:           8
        .value_kind:     by_value
      - .offset:         40
        .size:           8
        .value_kind:     by_value
      - .offset:         48
        .size:           8
        .value_kind:     by_value
      - .address_space:  global
        .offset:         56
        .size:           8
        .value_kind:     global_buffer
      - .offset:         64
        .size:           8
        .value_kind:     by_value
      - .offset:         72
        .size:           8
        .value_kind:     by_value
      - .offset:         80
        .size:           8
        .value_kind:     by_value
      - .address_space:  global
        .offset:         88
        .size:           8
        .value_kind:     global_buffer
      - .offset:         96
        .size:           8
        .value_kind:     by_value
      - .offset:         104
        .size:           8
        .value_kind:     by_value
      - .offset:         112
        .size:           8
        .value_kind:     by_value
      - .offset:         120
        .size:           4
        .value_kind:     by_value
      - .offset:         128
        .size:           4
        .value_kind:     hidden_block_count_x
      - .offset:         132
        .size:           4
        .value_kind:     hidden_block_count_y
      - .offset:         136
        .size:           4
        .value_kind:     hidden_block_count_z
      - .offset:         140
        .size:           2
        .value_kind:     hidden_group_size_x
      - .offset:         142
        .size:           2
        .value_kind:     hidden_group_size_y
      - .offset:         144
        .size:           2
        .value_kind:     hidden_group_size_z
      - .offset:         146
        .size:           2
        .value_kind:     hidden_remainder_x
      - .offset:         148
        .size:           2
        .value_kind:     hidden_remainder_y
      - .offset:         150
        .size:           2
        .value_kind:     hidden_remainder_z
      - .offset:         168
        .size:           8
        .value_kind:     hidden_global_offset_x
      - .offset:         176
        .size:           8
        .value_kind:     hidden_global_offset_y
      - .offset:         184
        .size:           8
        .value_kind:     hidden_global_offset_z
      - .offset:         192
        .size:           2
        .value_kind:     hidden_grid_dims
    .group_segment_fixed_size: 8192
    .kernarg_segment_align: 8
    .kernarg_segment_size: 384
    .language:       OpenCL C
    .language_version:
      - 2
      - 0
    .max_flat_workgroup_size: 1024
    .name:           _ZL30rocblas_trmm_outofplace_kernelIfLi32ELi2ELb1ELb0ELb1ELb0EfKffEv17rocblas_diagonal_iiT6_lPT7_lllS4_lllPT8_llli
    .private_segment_fixed_size: 0
    .sgpr_count:     61
    .sgpr_spill_count: 0
    .symbol:         _ZL30rocblas_trmm_outofplace_kernelIfLi32ELi2ELb1ELb0ELb1ELb0EfKffEv17rocblas_diagonal_iiT6_lPT7_lllS4_lllPT8_llli.kd
    .uniform_work_group_size: 1
    .uses_dynamic_stack: false
    .vgpr_count:     92
    .vgpr_spill_count: 0
    .wavefront_size: 64
  - .agpr_count:     0
    .args:
      - .offset:         0
        .size:           4
        .value_kind:     by_value
      - .offset:         4
        .size:           4
        .value_kind:     by_value
      - .offset:         8
        .size:           4
        .value_kind:     by_value
      - .address_space:  global
        .offset:         16
        .size:           8
        .value_kind:     global_buffer
      - .offset:         24
        .size:           8
        .value_kind:     by_value
      - .address_space:  global
        .offset:         32
        .size:           8
        .value_kind:     global_buffer
      - .offset:         40
        .size:           8
        .value_kind:     by_value
      - .offset:         48
        .size:           8
        .value_kind:     by_value
      - .offset:         56
        .size:           8
        .value_kind:     by_value
      - .address_space:  global
        .offset:         64
        .size:           8
        .value_kind:     global_buffer
      - .offset:         72
        .size:           8
        .value_kind:     by_value
      - .offset:         80
        .size:           8
        .value_kind:     by_value
      - .offset:         88
        .size:           8
        .value_kind:     by_value
      - .address_space:  global
        .offset:         96
        .size:           8
        .value_kind:     global_buffer
      - .offset:         104
        .size:           8
        .value_kind:     by_value
      - .offset:         112
        .size:           8
        .value_kind:     by_value
      - .offset:         120
        .size:           8
        .value_kind:     by_value
      - .offset:         128
        .size:           4
        .value_kind:     by_value
      - .offset:         136
        .size:           4
        .value_kind:     hidden_block_count_x
      - .offset:         140
        .size:           4
        .value_kind:     hidden_block_count_y
      - .offset:         144
        .size:           4
        .value_kind:     hidden_block_count_z
      - .offset:         148
        .size:           2
        .value_kind:     hidden_group_size_x
      - .offset:         150
        .size:           2
        .value_kind:     hidden_group_size_y
      - .offset:         152
        .size:           2
        .value_kind:     hidden_group_size_z
      - .offset:         154
        .size:           2
        .value_kind:     hidden_remainder_x
      - .offset:         156
        .size:           2
        .value_kind:     hidden_remainder_y
      - .offset:         158
        .size:           2
        .value_kind:     hidden_remainder_z
      - .offset:         176
        .size:           8
        .value_kind:     hidden_global_offset_x
      - .offset:         184
        .size:           8
        .value_kind:     hidden_global_offset_y
      - .offset:         192
        .size:           8
        .value_kind:     hidden_global_offset_z
      - .offset:         200
        .size:           2
        .value_kind:     hidden_grid_dims
    .group_segment_fixed_size: 8192
    .kernarg_segment_align: 8
    .kernarg_segment_size: 392
    .language:       OpenCL C
    .language_version:
      - 2
      - 0
    .max_flat_workgroup_size: 1024
    .name:           _ZL30rocblas_trmm_outofplace_kernelIfLi32ELi2ELb1ELb1ELb1ELb0EPKfS0_fEv17rocblas_diagonal_iiT6_lPT7_lllS5_lllPT8_llli
    .private_segment_fixed_size: 0
    .sgpr_count:     59
    .sgpr_spill_count: 0
    .symbol:         _ZL30rocblas_trmm_outofplace_kernelIfLi32ELi2ELb1ELb1ELb1ELb0EPKfS0_fEv17rocblas_diagonal_iiT6_lPT7_lllS5_lllPT8_llli.kd
    .uniform_work_group_size: 1
    .uses_dynamic_stack: false
    .vgpr_count:     92
    .vgpr_spill_count: 0
    .wavefront_size: 64
  - .agpr_count:     0
    .args:
      - .offset:         0
        .size:           4
        .value_kind:     by_value
      - .offset:         4
        .size:           4
        .value_kind:     by_value
      - .offset:         8
        .size:           4
        .value_kind:     by_value
      - .offset:         12
        .size:           4
        .value_kind:     by_value
      - .offset:         16
        .size:           8
        .value_kind:     by_value
      - .address_space:  global
        .offset:         24
        .size:           8
        .value_kind:     global_buffer
      - .offset:         32
        .size:           8
        .value_kind:     by_value
      - .offset:         40
        .size:           8
        .value_kind:     by_value
      - .offset:         48
        .size:           8
        .value_kind:     by_value
      - .address_space:  global
        .offset:         56
        .size:           8
        .value_kind:     global_buffer
      - .offset:         64
        .size:           8
        .value_kind:     by_value
      - .offset:         72
        .size:           8
        .value_kind:     by_value
      - .offset:         80
        .size:           8
        .value_kind:     by_value
      - .address_space:  global
        .offset:         88
        .size:           8
        .value_kind:     global_buffer
      - .offset:         96
        .size:           8
        .value_kind:     by_value
      - .offset:         104
        .size:           8
        .value_kind:     by_value
      - .offset:         112
        .size:           8
        .value_kind:     by_value
      - .offset:         120
        .size:           4
        .value_kind:     by_value
      - .offset:         128
        .size:           4
        .value_kind:     hidden_block_count_x
      - .offset:         132
        .size:           4
        .value_kind:     hidden_block_count_y
      - .offset:         136
        .size:           4
        .value_kind:     hidden_block_count_z
      - .offset:         140
        .size:           2
        .value_kind:     hidden_group_size_x
      - .offset:         142
        .size:           2
        .value_kind:     hidden_group_size_y
      - .offset:         144
        .size:           2
        .value_kind:     hidden_group_size_z
      - .offset:         146
        .size:           2
        .value_kind:     hidden_remainder_x
      - .offset:         148
        .size:           2
        .value_kind:     hidden_remainder_y
      - .offset:         150
        .size:           2
        .value_kind:     hidden_remainder_z
      - .offset:         168
        .size:           8
        .value_kind:     hidden_global_offset_x
      - .offset:         176
        .size:           8
        .value_kind:     hidden_global_offset_y
      - .offset:         184
        .size:           8
        .value_kind:     hidden_global_offset_z
      - .offset:         192
        .size:           2
        .value_kind:     hidden_grid_dims
    .group_segment_fixed_size: 8192
    .kernarg_segment_align: 8
    .kernarg_segment_size: 384
    .language:       OpenCL C
    .language_version:
      - 2
      - 0
    .max_flat_workgroup_size: 1024
    .name:           _ZL30rocblas_trmm_outofplace_kernelIfLi32ELi2ELb1ELb1ELb1ELb0EfKffEv17rocblas_diagonal_iiT6_lPT7_lllS4_lllPT8_llli
    .private_segment_fixed_size: 0
    .sgpr_count:     61
    .sgpr_spill_count: 0
    .symbol:         _ZL30rocblas_trmm_outofplace_kernelIfLi32ELi2ELb1ELb1ELb1ELb0EfKffEv17rocblas_diagonal_iiT6_lPT7_lllS4_lllPT8_llli.kd
    .uniform_work_group_size: 1
    .uses_dynamic_stack: false
    .vgpr_count:     92
    .vgpr_spill_count: 0
    .wavefront_size: 64
  - .agpr_count:     0
    .args:
      - .offset:         0
        .size:           4
        .value_kind:     by_value
      - .offset:         4
        .size:           4
        .value_kind:     by_value
      - .offset:         8
        .size:           4
        .value_kind:     by_value
      - .address_space:  global
        .offset:         16
        .size:           8
        .value_kind:     global_buffer
      - .offset:         24
        .size:           8
        .value_kind:     by_value
      - .address_space:  global
        .offset:         32
        .size:           8
        .value_kind:     global_buffer
      - .offset:         40
        .size:           8
        .value_kind:     by_value
      - .offset:         48
        .size:           8
        .value_kind:     by_value
      - .offset:         56
        .size:           8
        .value_kind:     by_value
      - .address_space:  global
        .offset:         64
        .size:           8
        .value_kind:     global_buffer
      - .offset:         72
        .size:           8
        .value_kind:     by_value
      - .offset:         80
        .size:           8
        .value_kind:     by_value
      - .offset:         88
        .size:           8
        .value_kind:     by_value
      - .address_space:  global
        .offset:         96
        .size:           8
        .value_kind:     global_buffer
      - .offset:         104
        .size:           8
        .value_kind:     by_value
      - .offset:         112
        .size:           8
        .value_kind:     by_value
      - .offset:         120
        .size:           8
        .value_kind:     by_value
      - .offset:         128
        .size:           4
        .value_kind:     by_value
      - .offset:         136
        .size:           4
        .value_kind:     hidden_block_count_x
      - .offset:         140
        .size:           4
        .value_kind:     hidden_block_count_y
      - .offset:         144
        .size:           4
        .value_kind:     hidden_block_count_z
      - .offset:         148
        .size:           2
        .value_kind:     hidden_group_size_x
      - .offset:         150
        .size:           2
        .value_kind:     hidden_group_size_y
      - .offset:         152
        .size:           2
        .value_kind:     hidden_group_size_z
      - .offset:         154
        .size:           2
        .value_kind:     hidden_remainder_x
      - .offset:         156
        .size:           2
        .value_kind:     hidden_remainder_y
      - .offset:         158
        .size:           2
        .value_kind:     hidden_remainder_z
      - .offset:         176
        .size:           8
        .value_kind:     hidden_global_offset_x
      - .offset:         184
        .size:           8
        .value_kind:     hidden_global_offset_y
      - .offset:         192
        .size:           8
        .value_kind:     hidden_global_offset_z
      - .offset:         200
        .size:           2
        .value_kind:     hidden_grid_dims
    .group_segment_fixed_size: 8192
    .kernarg_segment_align: 8
    .kernarg_segment_size: 392
    .language:       OpenCL C
    .language_version:
      - 2
      - 0
    .max_flat_workgroup_size: 1024
    .name:           _ZL30rocblas_trmm_outofplace_kernelIfLi32ELi2ELb1ELb0ELb1ELb1EPKfS0_fEv17rocblas_diagonal_iiT6_lPT7_lllS5_lllPT8_llli
    .private_segment_fixed_size: 0
    .sgpr_count:     59
    .sgpr_spill_count: 0
    .symbol:         _ZL30rocblas_trmm_outofplace_kernelIfLi32ELi2ELb1ELb0ELb1ELb1EPKfS0_fEv17rocblas_diagonal_iiT6_lPT7_lllS5_lllPT8_llli.kd
    .uniform_work_group_size: 1
    .uses_dynamic_stack: false
    .vgpr_count:     92
    .vgpr_spill_count: 0
    .wavefront_size: 64
  - .agpr_count:     0
    .args:
      - .offset:         0
        .size:           4
        .value_kind:     by_value
      - .offset:         4
        .size:           4
        .value_kind:     by_value
      - .offset:         8
        .size:           4
        .value_kind:     by_value
      - .offset:         12
        .size:           4
        .value_kind:     by_value
      - .offset:         16
        .size:           8
        .value_kind:     by_value
      - .address_space:  global
        .offset:         24
        .size:           8
        .value_kind:     global_buffer
      - .offset:         32
        .size:           8
        .value_kind:     by_value
      - .offset:         40
        .size:           8
        .value_kind:     by_value
      - .offset:         48
        .size:           8
        .value_kind:     by_value
      - .address_space:  global
        .offset:         56
        .size:           8
        .value_kind:     global_buffer
      - .offset:         64
        .size:           8
        .value_kind:     by_value
      - .offset:         72
        .size:           8
        .value_kind:     by_value
      - .offset:         80
        .size:           8
        .value_kind:     by_value
      - .address_space:  global
        .offset:         88
        .size:           8
        .value_kind:     global_buffer
      - .offset:         96
        .size:           8
        .value_kind:     by_value
      - .offset:         104
        .size:           8
        .value_kind:     by_value
      - .offset:         112
        .size:           8
        .value_kind:     by_value
      - .offset:         120
        .size:           4
        .value_kind:     by_value
      - .offset:         128
        .size:           4
        .value_kind:     hidden_block_count_x
      - .offset:         132
        .size:           4
        .value_kind:     hidden_block_count_y
      - .offset:         136
        .size:           4
        .value_kind:     hidden_block_count_z
      - .offset:         140
        .size:           2
        .value_kind:     hidden_group_size_x
      - .offset:         142
        .size:           2
        .value_kind:     hidden_group_size_y
      - .offset:         144
        .size:           2
        .value_kind:     hidden_group_size_z
      - .offset:         146
        .size:           2
        .value_kind:     hidden_remainder_x
      - .offset:         148
        .size:           2
        .value_kind:     hidden_remainder_y
      - .offset:         150
        .size:           2
        .value_kind:     hidden_remainder_z
      - .offset:         168
        .size:           8
        .value_kind:     hidden_global_offset_x
      - .offset:         176
        .size:           8
        .value_kind:     hidden_global_offset_y
      - .offset:         184
        .size:           8
        .value_kind:     hidden_global_offset_z
      - .offset:         192
        .size:           2
        .value_kind:     hidden_grid_dims
    .group_segment_fixed_size: 8192
    .kernarg_segment_align: 8
    .kernarg_segment_size: 384
    .language:       OpenCL C
    .language_version:
      - 2
      - 0
    .max_flat_workgroup_size: 1024
    .name:           _ZL30rocblas_trmm_outofplace_kernelIfLi32ELi2ELb1ELb0ELb1ELb1EfKffEv17rocblas_diagonal_iiT6_lPT7_lllS4_lllPT8_llli
    .private_segment_fixed_size: 0
    .sgpr_count:     61
    .sgpr_spill_count: 0
    .symbol:         _ZL30rocblas_trmm_outofplace_kernelIfLi32ELi2ELb1ELb0ELb1ELb1EfKffEv17rocblas_diagonal_iiT6_lPT7_lllS4_lllPT8_llli.kd
    .uniform_work_group_size: 1
    .uses_dynamic_stack: false
    .vgpr_count:     92
    .vgpr_spill_count: 0
    .wavefront_size: 64
  - .agpr_count:     0
    .args:
      - .offset:         0
        .size:           4
        .value_kind:     by_value
      - .offset:         4
        .size:           4
        .value_kind:     by_value
      - .offset:         8
        .size:           4
        .value_kind:     by_value
      - .address_space:  global
        .offset:         16
        .size:           8
        .value_kind:     global_buffer
      - .offset:         24
        .size:           8
        .value_kind:     by_value
      - .address_space:  global
        .offset:         32
        .size:           8
        .value_kind:     global_buffer
      - .offset:         40
        .size:           8
        .value_kind:     by_value
      - .offset:         48
        .size:           8
        .value_kind:     by_value
      - .offset:         56
        .size:           8
        .value_kind:     by_value
      - .address_space:  global
        .offset:         64
        .size:           8
        .value_kind:     global_buffer
      - .offset:         72
        .size:           8
        .value_kind:     by_value
      - .offset:         80
        .size:           8
        .value_kind:     by_value
      - .offset:         88
        .size:           8
        .value_kind:     by_value
      - .address_space:  global
        .offset:         96
        .size:           8
        .value_kind:     global_buffer
      - .offset:         104
        .size:           8
        .value_kind:     by_value
      - .offset:         112
        .size:           8
        .value_kind:     by_value
      - .offset:         120
        .size:           8
        .value_kind:     by_value
      - .offset:         128
        .size:           4
        .value_kind:     by_value
      - .offset:         136
        .size:           4
        .value_kind:     hidden_block_count_x
      - .offset:         140
        .size:           4
        .value_kind:     hidden_block_count_y
      - .offset:         144
        .size:           4
        .value_kind:     hidden_block_count_z
      - .offset:         148
        .size:           2
        .value_kind:     hidden_group_size_x
      - .offset:         150
        .size:           2
        .value_kind:     hidden_group_size_y
      - .offset:         152
        .size:           2
        .value_kind:     hidden_group_size_z
      - .offset:         154
        .size:           2
        .value_kind:     hidden_remainder_x
      - .offset:         156
        .size:           2
        .value_kind:     hidden_remainder_y
      - .offset:         158
        .size:           2
        .value_kind:     hidden_remainder_z
      - .offset:         176
        .size:           8
        .value_kind:     hidden_global_offset_x
      - .offset:         184
        .size:           8
        .value_kind:     hidden_global_offset_y
      - .offset:         192
        .size:           8
        .value_kind:     hidden_global_offset_z
      - .offset:         200
        .size:           2
        .value_kind:     hidden_grid_dims
    .group_segment_fixed_size: 8192
    .kernarg_segment_align: 8
    .kernarg_segment_size: 392
    .language:       OpenCL C
    .language_version:
      - 2
      - 0
    .max_flat_workgroup_size: 1024
    .name:           _ZL30rocblas_trmm_outofplace_kernelIfLi32ELi2ELb1ELb1ELb1ELb1EPKfS0_fEv17rocblas_diagonal_iiT6_lPT7_lllS5_lllPT8_llli
    .private_segment_fixed_size: 0
    .sgpr_count:     59
    .sgpr_spill_count: 0
    .symbol:         _ZL30rocblas_trmm_outofplace_kernelIfLi32ELi2ELb1ELb1ELb1ELb1EPKfS0_fEv17rocblas_diagonal_iiT6_lPT7_lllS5_lllPT8_llli.kd
    .uniform_work_group_size: 1
    .uses_dynamic_stack: false
    .vgpr_count:     92
    .vgpr_spill_count: 0
    .wavefront_size: 64
  - .agpr_count:     0
    .args:
      - .offset:         0
        .size:           4
        .value_kind:     by_value
      - .offset:         4
        .size:           4
        .value_kind:     by_value
      - .offset:         8
        .size:           4
        .value_kind:     by_value
      - .offset:         12
        .size:           4
        .value_kind:     by_value
      - .offset:         16
        .size:           8
        .value_kind:     by_value
      - .address_space:  global
        .offset:         24
        .size:           8
        .value_kind:     global_buffer
      - .offset:         32
        .size:           8
        .value_kind:     by_value
      - .offset:         40
        .size:           8
        .value_kind:     by_value
      - .offset:         48
        .size:           8
        .value_kind:     by_value
      - .address_space:  global
        .offset:         56
        .size:           8
        .value_kind:     global_buffer
      - .offset:         64
        .size:           8
        .value_kind:     by_value
      - .offset:         72
        .size:           8
        .value_kind:     by_value
      - .offset:         80
        .size:           8
        .value_kind:     by_value
      - .address_space:  global
        .offset:         88
        .size:           8
        .value_kind:     global_buffer
      - .offset:         96
        .size:           8
        .value_kind:     by_value
      - .offset:         104
        .size:           8
        .value_kind:     by_value
      - .offset:         112
        .size:           8
        .value_kind:     by_value
      - .offset:         120
        .size:           4
        .value_kind:     by_value
      - .offset:         128
        .size:           4
        .value_kind:     hidden_block_count_x
      - .offset:         132
        .size:           4
        .value_kind:     hidden_block_count_y
      - .offset:         136
        .size:           4
        .value_kind:     hidden_block_count_z
      - .offset:         140
        .size:           2
        .value_kind:     hidden_group_size_x
      - .offset:         142
        .size:           2
        .value_kind:     hidden_group_size_y
      - .offset:         144
        .size:           2
        .value_kind:     hidden_group_size_z
      - .offset:         146
        .size:           2
        .value_kind:     hidden_remainder_x
      - .offset:         148
        .size:           2
        .value_kind:     hidden_remainder_y
      - .offset:         150
        .size:           2
        .value_kind:     hidden_remainder_z
      - .offset:         168
        .size:           8
        .value_kind:     hidden_global_offset_x
      - .offset:         176
        .size:           8
        .value_kind:     hidden_global_offset_y
      - .offset:         184
        .size:           8
        .value_kind:     hidden_global_offset_z
      - .offset:         192
        .size:           2
        .value_kind:     hidden_grid_dims
    .group_segment_fixed_size: 8192
    .kernarg_segment_align: 8
    .kernarg_segment_size: 384
    .language:       OpenCL C
    .language_version:
      - 2
      - 0
    .max_flat_workgroup_size: 1024
    .name:           _ZL30rocblas_trmm_outofplace_kernelIfLi32ELi2ELb1ELb1ELb1ELb1EfKffEv17rocblas_diagonal_iiT6_lPT7_lllS4_lllPT8_llli
    .private_segment_fixed_size: 0
    .sgpr_count:     61
    .sgpr_spill_count: 0
    .symbol:         _ZL30rocblas_trmm_outofplace_kernelIfLi32ELi2ELb1ELb1ELb1ELb1EfKffEv17rocblas_diagonal_iiT6_lPT7_lllS4_lllPT8_llli.kd
    .uniform_work_group_size: 1
    .uses_dynamic_stack: false
    .vgpr_count:     92
    .vgpr_spill_count: 0
    .wavefront_size: 64
  - .agpr_count:     0
    .args:
      - .offset:         0
        .size:           4
        .value_kind:     by_value
      - .offset:         4
        .size:           4
        .value_kind:     by_value
      - .offset:         8
        .size:           4
        .value_kind:     by_value
      - .address_space:  global
        .offset:         16
        .size:           8
        .value_kind:     global_buffer
      - .offset:         24
        .size:           8
        .value_kind:     by_value
      - .address_space:  global
        .offset:         32
        .size:           8
        .value_kind:     global_buffer
      - .offset:         40
        .size:           8
        .value_kind:     by_value
      - .offset:         48
        .size:           8
        .value_kind:     by_value
      - .offset:         56
        .size:           8
        .value_kind:     by_value
      - .address_space:  global
        .offset:         64
        .size:           8
        .value_kind:     global_buffer
      - .offset:         72
        .size:           8
        .value_kind:     by_value
      - .offset:         80
        .size:           8
        .value_kind:     by_value
      - .offset:         88
        .size:           8
        .value_kind:     by_value
      - .address_space:  global
        .offset:         96
        .size:           8
        .value_kind:     global_buffer
      - .offset:         104
        .size:           8
        .value_kind:     by_value
      - .offset:         112
        .size:           8
        .value_kind:     by_value
      - .offset:         120
        .size:           8
        .value_kind:     by_value
      - .offset:         128
        .size:           4
        .value_kind:     by_value
      - .offset:         136
        .size:           4
        .value_kind:     hidden_block_count_x
      - .offset:         140
        .size:           4
        .value_kind:     hidden_block_count_y
      - .offset:         144
        .size:           4
        .value_kind:     hidden_block_count_z
      - .offset:         148
        .size:           2
        .value_kind:     hidden_group_size_x
      - .offset:         150
        .size:           2
        .value_kind:     hidden_group_size_y
      - .offset:         152
        .size:           2
        .value_kind:     hidden_group_size_z
      - .offset:         154
        .size:           2
        .value_kind:     hidden_remainder_x
      - .offset:         156
        .size:           2
        .value_kind:     hidden_remainder_y
      - .offset:         158
        .size:           2
        .value_kind:     hidden_remainder_z
      - .offset:         176
        .size:           8
        .value_kind:     hidden_global_offset_x
      - .offset:         184
        .size:           8
        .value_kind:     hidden_global_offset_y
      - .offset:         192
        .size:           8
        .value_kind:     hidden_global_offset_z
      - .offset:         200
        .size:           2
        .value_kind:     hidden_grid_dims
    .group_segment_fixed_size: 8192
    .kernarg_segment_align: 8
    .kernarg_segment_size: 392
    .language:       OpenCL C
    .language_version:
      - 2
      - 0
    .max_flat_workgroup_size: 1024
    .name:           _ZL30rocblas_trmm_outofplace_kernelIfLi32ELi2ELb0ELb0ELb0ELb0EPKfS0_fEv17rocblas_diagonal_iiT6_lPT7_lllS5_lllPT8_llli
    .private_segment_fixed_size: 0
    .sgpr_count:     68
    .sgpr_spill_count: 0
    .symbol:         _ZL30rocblas_trmm_outofplace_kernelIfLi32ELi2ELb0ELb0ELb0ELb0EPKfS0_fEv17rocblas_diagonal_iiT6_lPT7_lllS5_lllPT8_llli.kd
    .uniform_work_group_size: 1
    .uses_dynamic_stack: false
    .vgpr_count:     92
    .vgpr_spill_count: 0
    .wavefront_size: 64
  - .agpr_count:     0
    .args:
      - .offset:         0
        .size:           4
        .value_kind:     by_value
      - .offset:         4
        .size:           4
        .value_kind:     by_value
      - .offset:         8
        .size:           4
        .value_kind:     by_value
      - .offset:         12
        .size:           4
        .value_kind:     by_value
      - .offset:         16
        .size:           8
        .value_kind:     by_value
      - .address_space:  global
        .offset:         24
        .size:           8
        .value_kind:     global_buffer
      - .offset:         32
        .size:           8
        .value_kind:     by_value
      - .offset:         40
        .size:           8
        .value_kind:     by_value
      - .offset:         48
        .size:           8
        .value_kind:     by_value
      - .address_space:  global
        .offset:         56
        .size:           8
        .value_kind:     global_buffer
      - .offset:         64
        .size:           8
        .value_kind:     by_value
      - .offset:         72
        .size:           8
        .value_kind:     by_value
      - .offset:         80
        .size:           8
        .value_kind:     by_value
      - .address_space:  global
        .offset:         88
        .size:           8
        .value_kind:     global_buffer
      - .offset:         96
        .size:           8
        .value_kind:     by_value
      - .offset:         104
        .size:           8
        .value_kind:     by_value
      - .offset:         112
        .size:           8
        .value_kind:     by_value
      - .offset:         120
        .size:           4
        .value_kind:     by_value
      - .offset:         128
        .size:           4
        .value_kind:     hidden_block_count_x
      - .offset:         132
        .size:           4
        .value_kind:     hidden_block_count_y
      - .offset:         136
        .size:           4
        .value_kind:     hidden_block_count_z
      - .offset:         140
        .size:           2
        .value_kind:     hidden_group_size_x
      - .offset:         142
        .size:           2
        .value_kind:     hidden_group_size_y
      - .offset:         144
        .size:           2
        .value_kind:     hidden_group_size_z
      - .offset:         146
        .size:           2
        .value_kind:     hidden_remainder_x
      - .offset:         148
        .size:           2
        .value_kind:     hidden_remainder_y
      - .offset:         150
        .size:           2
        .value_kind:     hidden_remainder_z
      - .offset:         168
        .size:           8
        .value_kind:     hidden_global_offset_x
      - .offset:         176
        .size:           8
        .value_kind:     hidden_global_offset_y
      - .offset:         184
        .size:           8
        .value_kind:     hidden_global_offset_z
      - .offset:         192
        .size:           2
        .value_kind:     hidden_grid_dims
    .group_segment_fixed_size: 8192
    .kernarg_segment_align: 8
    .kernarg_segment_size: 384
    .language:       OpenCL C
    .language_version:
      - 2
      - 0
    .max_flat_workgroup_size: 1024
    .name:           _ZL30rocblas_trmm_outofplace_kernelIfLi32ELi2ELb0ELb0ELb0ELb0EfKffEv17rocblas_diagonal_iiT6_lPT7_lllS4_lllPT8_llli
    .private_segment_fixed_size: 0
    .sgpr_count:     68
    .sgpr_spill_count: 0
    .symbol:         _ZL30rocblas_trmm_outofplace_kernelIfLi32ELi2ELb0ELb0ELb0ELb0EfKffEv17rocblas_diagonal_iiT6_lPT7_lllS4_lllPT8_llli.kd
    .uniform_work_group_size: 1
    .uses_dynamic_stack: false
    .vgpr_count:     92
    .vgpr_spill_count: 0
    .wavefront_size: 64
  - .agpr_count:     0
    .args:
      - .offset:         0
        .size:           4
        .value_kind:     by_value
      - .offset:         4
        .size:           4
        .value_kind:     by_value
      - .offset:         8
        .size:           4
        .value_kind:     by_value
      - .address_space:  global
        .offset:         16
        .size:           8
        .value_kind:     global_buffer
      - .offset:         24
        .size:           8
        .value_kind:     by_value
      - .address_space:  global
        .offset:         32
        .size:           8
        .value_kind:     global_buffer
      - .offset:         40
        .size:           8
        .value_kind:     by_value
      - .offset:         48
        .size:           8
        .value_kind:     by_value
      - .offset:         56
        .size:           8
        .value_kind:     by_value
      - .address_space:  global
        .offset:         64
        .size:           8
        .value_kind:     global_buffer
      - .offset:         72
        .size:           8
        .value_kind:     by_value
      - .offset:         80
        .size:           8
        .value_kind:     by_value
      - .offset:         88
        .size:           8
        .value_kind:     by_value
      - .address_space:  global
        .offset:         96
        .size:           8
        .value_kind:     global_buffer
      - .offset:         104
        .size:           8
        .value_kind:     by_value
      - .offset:         112
        .size:           8
        .value_kind:     by_value
      - .offset:         120
        .size:           8
        .value_kind:     by_value
      - .offset:         128
        .size:           4
        .value_kind:     by_value
      - .offset:         136
        .size:           4
        .value_kind:     hidden_block_count_x
      - .offset:         140
        .size:           4
        .value_kind:     hidden_block_count_y
      - .offset:         144
        .size:           4
        .value_kind:     hidden_block_count_z
      - .offset:         148
        .size:           2
        .value_kind:     hidden_group_size_x
      - .offset:         150
        .size:           2
        .value_kind:     hidden_group_size_y
      - .offset:         152
        .size:           2
        .value_kind:     hidden_group_size_z
      - .offset:         154
        .size:           2
        .value_kind:     hidden_remainder_x
      - .offset:         156
        .size:           2
        .value_kind:     hidden_remainder_y
      - .offset:         158
        .size:           2
        .value_kind:     hidden_remainder_z
      - .offset:         176
        .size:           8
        .value_kind:     hidden_global_offset_x
      - .offset:         184
        .size:           8
        .value_kind:     hidden_global_offset_y
      - .offset:         192
        .size:           8
        .value_kind:     hidden_global_offset_z
      - .offset:         200
        .size:           2
        .value_kind:     hidden_grid_dims
    .group_segment_fixed_size: 8192
    .kernarg_segment_align: 8
    .kernarg_segment_size: 392
    .language:       OpenCL C
    .language_version:
      - 2
      - 0
    .max_flat_workgroup_size: 1024
    .name:           _ZL30rocblas_trmm_outofplace_kernelIfLi32ELi2ELb0ELb1ELb0ELb0EPKfS0_fEv17rocblas_diagonal_iiT6_lPT7_lllS5_lllPT8_llli
    .private_segment_fixed_size: 0
    .sgpr_count:     60
    .sgpr_spill_count: 0
    .symbol:         _ZL30rocblas_trmm_outofplace_kernelIfLi32ELi2ELb0ELb1ELb0ELb0EPKfS0_fEv17rocblas_diagonal_iiT6_lPT7_lllS5_lllPT8_llli.kd
    .uniform_work_group_size: 1
    .uses_dynamic_stack: false
    .vgpr_count:     94
    .vgpr_spill_count: 0
    .wavefront_size: 64
  - .agpr_count:     0
    .args:
      - .offset:         0
        .size:           4
        .value_kind:     by_value
      - .offset:         4
        .size:           4
        .value_kind:     by_value
      - .offset:         8
        .size:           4
        .value_kind:     by_value
      - .offset:         12
        .size:           4
        .value_kind:     by_value
      - .offset:         16
        .size:           8
        .value_kind:     by_value
      - .address_space:  global
        .offset:         24
        .size:           8
        .value_kind:     global_buffer
      - .offset:         32
        .size:           8
        .value_kind:     by_value
      - .offset:         40
        .size:           8
        .value_kind:     by_value
      - .offset:         48
        .size:           8
        .value_kind:     by_value
      - .address_space:  global
        .offset:         56
        .size:           8
        .value_kind:     global_buffer
      - .offset:         64
        .size:           8
        .value_kind:     by_value
      - .offset:         72
        .size:           8
        .value_kind:     by_value
      - .offset:         80
        .size:           8
        .value_kind:     by_value
      - .address_space:  global
        .offset:         88
        .size:           8
        .value_kind:     global_buffer
      - .offset:         96
        .size:           8
        .value_kind:     by_value
      - .offset:         104
        .size:           8
        .value_kind:     by_value
      - .offset:         112
        .size:           8
        .value_kind:     by_value
      - .offset:         120
        .size:           4
        .value_kind:     by_value
      - .offset:         128
        .size:           4
        .value_kind:     hidden_block_count_x
      - .offset:         132
        .size:           4
        .value_kind:     hidden_block_count_y
      - .offset:         136
        .size:           4
        .value_kind:     hidden_block_count_z
      - .offset:         140
        .size:           2
        .value_kind:     hidden_group_size_x
      - .offset:         142
        .size:           2
        .value_kind:     hidden_group_size_y
      - .offset:         144
        .size:           2
        .value_kind:     hidden_group_size_z
      - .offset:         146
        .size:           2
        .value_kind:     hidden_remainder_x
      - .offset:         148
        .size:           2
        .value_kind:     hidden_remainder_y
      - .offset:         150
        .size:           2
        .value_kind:     hidden_remainder_z
      - .offset:         168
        .size:           8
        .value_kind:     hidden_global_offset_x
      - .offset:         176
        .size:           8
        .value_kind:     hidden_global_offset_y
      - .offset:         184
        .size:           8
        .value_kind:     hidden_global_offset_z
      - .offset:         192
        .size:           2
        .value_kind:     hidden_grid_dims
    .group_segment_fixed_size: 8192
    .kernarg_segment_align: 8
    .kernarg_segment_size: 384
    .language:       OpenCL C
    .language_version:
      - 2
      - 0
    .max_flat_workgroup_size: 1024
    .name:           _ZL30rocblas_trmm_outofplace_kernelIfLi32ELi2ELb0ELb1ELb0ELb0EfKffEv17rocblas_diagonal_iiT6_lPT7_lllS4_lllPT8_llli
    .private_segment_fixed_size: 0
    .sgpr_count:     60
    .sgpr_spill_count: 0
    .symbol:         _ZL30rocblas_trmm_outofplace_kernelIfLi32ELi2ELb0ELb1ELb0ELb0EfKffEv17rocblas_diagonal_iiT6_lPT7_lllS4_lllPT8_llli.kd
    .uniform_work_group_size: 1
    .uses_dynamic_stack: false
    .vgpr_count:     94
    .vgpr_spill_count: 0
    .wavefront_size: 64
  - .agpr_count:     0
    .args:
      - .offset:         0
        .size:           4
        .value_kind:     by_value
      - .offset:         4
        .size:           4
        .value_kind:     by_value
      - .offset:         8
        .size:           4
        .value_kind:     by_value
      - .address_space:  global
        .offset:         16
        .size:           8
        .value_kind:     global_buffer
      - .offset:         24
        .size:           8
        .value_kind:     by_value
      - .address_space:  global
        .offset:         32
        .size:           8
        .value_kind:     global_buffer
      - .offset:         40
        .size:           8
        .value_kind:     by_value
      - .offset:         48
        .size:           8
        .value_kind:     by_value
      - .offset:         56
        .size:           8
        .value_kind:     by_value
      - .address_space:  global
        .offset:         64
        .size:           8
        .value_kind:     global_buffer
      - .offset:         72
        .size:           8
        .value_kind:     by_value
      - .offset:         80
        .size:           8
        .value_kind:     by_value
      - .offset:         88
        .size:           8
        .value_kind:     by_value
      - .address_space:  global
        .offset:         96
        .size:           8
        .value_kind:     global_buffer
      - .offset:         104
        .size:           8
        .value_kind:     by_value
      - .offset:         112
        .size:           8
        .value_kind:     by_value
      - .offset:         120
        .size:           8
        .value_kind:     by_value
      - .offset:         128
        .size:           4
        .value_kind:     by_value
      - .offset:         136
        .size:           4
        .value_kind:     hidden_block_count_x
      - .offset:         140
        .size:           4
        .value_kind:     hidden_block_count_y
      - .offset:         144
        .size:           4
        .value_kind:     hidden_block_count_z
      - .offset:         148
        .size:           2
        .value_kind:     hidden_group_size_x
      - .offset:         150
        .size:           2
        .value_kind:     hidden_group_size_y
      - .offset:         152
        .size:           2
        .value_kind:     hidden_group_size_z
      - .offset:         154
        .size:           2
        .value_kind:     hidden_remainder_x
      - .offset:         156
        .size:           2
        .value_kind:     hidden_remainder_y
      - .offset:         158
        .size:           2
        .value_kind:     hidden_remainder_z
      - .offset:         176
        .size:           8
        .value_kind:     hidden_global_offset_x
      - .offset:         184
        .size:           8
        .value_kind:     hidden_global_offset_y
      - .offset:         192
        .size:           8
        .value_kind:     hidden_global_offset_z
      - .offset:         200
        .size:           2
        .value_kind:     hidden_grid_dims
    .group_segment_fixed_size: 8192
    .kernarg_segment_align: 8
    .kernarg_segment_size: 392
    .language:       OpenCL C
    .language_version:
      - 2
      - 0
    .max_flat_workgroup_size: 1024
    .name:           _ZL30rocblas_trmm_outofplace_kernelIfLi32ELi2ELb0ELb0ELb1ELb0EPKfS0_fEv17rocblas_diagonal_iiT6_lPT7_lllS5_lllPT8_llli
    .private_segment_fixed_size: 0
    .sgpr_count:     54
    .sgpr_spill_count: 0
    .symbol:         _ZL30rocblas_trmm_outofplace_kernelIfLi32ELi2ELb0ELb0ELb1ELb0EPKfS0_fEv17rocblas_diagonal_iiT6_lPT7_lllS5_lllPT8_llli.kd
    .uniform_work_group_size: 1
    .uses_dynamic_stack: false
    .vgpr_count:     98
    .vgpr_spill_count: 0
    .wavefront_size: 64
  - .agpr_count:     0
    .args:
      - .offset:         0
        .size:           4
        .value_kind:     by_value
      - .offset:         4
        .size:           4
        .value_kind:     by_value
      - .offset:         8
        .size:           4
        .value_kind:     by_value
      - .offset:         12
        .size:           4
        .value_kind:     by_value
      - .offset:         16
        .size:           8
        .value_kind:     by_value
      - .address_space:  global
        .offset:         24
        .size:           8
        .value_kind:     global_buffer
      - .offset:         32
        .size:           8
        .value_kind:     by_value
      - .offset:         40
        .size:           8
        .value_kind:     by_value
      - .offset:         48
        .size:           8
        .value_kind:     by_value
      - .address_space:  global
        .offset:         56
        .size:           8
        .value_kind:     global_buffer
      - .offset:         64
        .size:           8
        .value_kind:     by_value
      - .offset:         72
        .size:           8
        .value_kind:     by_value
      - .offset:         80
        .size:           8
        .value_kind:     by_value
      - .address_space:  global
        .offset:         88
        .size:           8
        .value_kind:     global_buffer
      - .offset:         96
        .size:           8
        .value_kind:     by_value
      - .offset:         104
        .size:           8
        .value_kind:     by_value
      - .offset:         112
        .size:           8
        .value_kind:     by_value
      - .offset:         120
        .size:           4
        .value_kind:     by_value
      - .offset:         128
        .size:           4
        .value_kind:     hidden_block_count_x
      - .offset:         132
        .size:           4
        .value_kind:     hidden_block_count_y
      - .offset:         136
        .size:           4
        .value_kind:     hidden_block_count_z
      - .offset:         140
        .size:           2
        .value_kind:     hidden_group_size_x
      - .offset:         142
        .size:           2
        .value_kind:     hidden_group_size_y
      - .offset:         144
        .size:           2
        .value_kind:     hidden_group_size_z
      - .offset:         146
        .size:           2
        .value_kind:     hidden_remainder_x
      - .offset:         148
        .size:           2
        .value_kind:     hidden_remainder_y
      - .offset:         150
        .size:           2
        .value_kind:     hidden_remainder_z
      - .offset:         168
        .size:           8
        .value_kind:     hidden_global_offset_x
      - .offset:         176
        .size:           8
        .value_kind:     hidden_global_offset_y
      - .offset:         184
        .size:           8
        .value_kind:     hidden_global_offset_z
      - .offset:         192
        .size:           2
        .value_kind:     hidden_grid_dims
    .group_segment_fixed_size: 8192
    .kernarg_segment_align: 8
    .kernarg_segment_size: 384
    .language:       OpenCL C
    .language_version:
      - 2
      - 0
    .max_flat_workgroup_size: 1024
    .name:           _ZL30rocblas_trmm_outofplace_kernelIfLi32ELi2ELb0ELb0ELb1ELb0EfKffEv17rocblas_diagonal_iiT6_lPT7_lllS4_lllPT8_llli
    .private_segment_fixed_size: 0
    .sgpr_count:     54
    .sgpr_spill_count: 0
    .symbol:         _ZL30rocblas_trmm_outofplace_kernelIfLi32ELi2ELb0ELb0ELb1ELb0EfKffEv17rocblas_diagonal_iiT6_lPT7_lllS4_lllPT8_llli.kd
    .uniform_work_group_size: 1
    .uses_dynamic_stack: false
    .vgpr_count:     98
    .vgpr_spill_count: 0
    .wavefront_size: 64
  - .agpr_count:     0
    .args:
      - .offset:         0
        .size:           4
        .value_kind:     by_value
      - .offset:         4
        .size:           4
        .value_kind:     by_value
      - .offset:         8
        .size:           4
        .value_kind:     by_value
      - .address_space:  global
        .offset:         16
        .size:           8
        .value_kind:     global_buffer
      - .offset:         24
        .size:           8
        .value_kind:     by_value
      - .address_space:  global
        .offset:         32
        .size:           8
        .value_kind:     global_buffer
      - .offset:         40
        .size:           8
        .value_kind:     by_value
      - .offset:         48
        .size:           8
        .value_kind:     by_value
      - .offset:         56
        .size:           8
        .value_kind:     by_value
      - .address_space:  global
        .offset:         64
        .size:           8
        .value_kind:     global_buffer
      - .offset:         72
        .size:           8
        .value_kind:     by_value
      - .offset:         80
        .size:           8
        .value_kind:     by_value
      - .offset:         88
        .size:           8
        .value_kind:     by_value
      - .address_space:  global
        .offset:         96
        .size:           8
        .value_kind:     global_buffer
      - .offset:         104
        .size:           8
        .value_kind:     by_value
      - .offset:         112
        .size:           8
        .value_kind:     by_value
      - .offset:         120
        .size:           8
        .value_kind:     by_value
      - .offset:         128
        .size:           4
        .value_kind:     by_value
      - .offset:         136
        .size:           4
        .value_kind:     hidden_block_count_x
      - .offset:         140
        .size:           4
        .value_kind:     hidden_block_count_y
      - .offset:         144
        .size:           4
        .value_kind:     hidden_block_count_z
      - .offset:         148
        .size:           2
        .value_kind:     hidden_group_size_x
      - .offset:         150
        .size:           2
        .value_kind:     hidden_group_size_y
      - .offset:         152
        .size:           2
        .value_kind:     hidden_group_size_z
      - .offset:         154
        .size:           2
        .value_kind:     hidden_remainder_x
      - .offset:         156
        .size:           2
        .value_kind:     hidden_remainder_y
      - .offset:         158
        .size:           2
        .value_kind:     hidden_remainder_z
      - .offset:         176
        .size:           8
        .value_kind:     hidden_global_offset_x
      - .offset:         184
        .size:           8
        .value_kind:     hidden_global_offset_y
      - .offset:         192
        .size:           8
        .value_kind:     hidden_global_offset_z
      - .offset:         200
        .size:           2
        .value_kind:     hidden_grid_dims
    .group_segment_fixed_size: 8192
    .kernarg_segment_align: 8
    .kernarg_segment_size: 392
    .language:       OpenCL C
    .language_version:
      - 2
      - 0
    .max_flat_workgroup_size: 1024
    .name:           _ZL30rocblas_trmm_outofplace_kernelIfLi32ELi2ELb0ELb1ELb1ELb0EPKfS0_fEv17rocblas_diagonal_iiT6_lPT7_lllS5_lllPT8_llli
    .private_segment_fixed_size: 0
    .sgpr_count:     68
    .sgpr_spill_count: 0
    .symbol:         _ZL30rocblas_trmm_outofplace_kernelIfLi32ELi2ELb0ELb1ELb1ELb0EPKfS0_fEv17rocblas_diagonal_iiT6_lPT7_lllS5_lllPT8_llli.kd
    .uniform_work_group_size: 1
    .uses_dynamic_stack: false
    .vgpr_count:     92
    .vgpr_spill_count: 0
    .wavefront_size: 64
  - .agpr_count:     0
    .args:
      - .offset:         0
        .size:           4
        .value_kind:     by_value
      - .offset:         4
        .size:           4
        .value_kind:     by_value
      - .offset:         8
        .size:           4
        .value_kind:     by_value
      - .offset:         12
        .size:           4
        .value_kind:     by_value
      - .offset:         16
        .size:           8
        .value_kind:     by_value
      - .address_space:  global
        .offset:         24
        .size:           8
        .value_kind:     global_buffer
      - .offset:         32
        .size:           8
        .value_kind:     by_value
      - .offset:         40
        .size:           8
        .value_kind:     by_value
      - .offset:         48
        .size:           8
        .value_kind:     by_value
      - .address_space:  global
        .offset:         56
        .size:           8
        .value_kind:     global_buffer
      - .offset:         64
        .size:           8
        .value_kind:     by_value
      - .offset:         72
        .size:           8
        .value_kind:     by_value
      - .offset:         80
        .size:           8
        .value_kind:     by_value
      - .address_space:  global
        .offset:         88
        .size:           8
        .value_kind:     global_buffer
      - .offset:         96
        .size:           8
        .value_kind:     by_value
      - .offset:         104
        .size:           8
        .value_kind:     by_value
      - .offset:         112
        .size:           8
        .value_kind:     by_value
      - .offset:         120
        .size:           4
        .value_kind:     by_value
      - .offset:         128
        .size:           4
        .value_kind:     hidden_block_count_x
      - .offset:         132
        .size:           4
        .value_kind:     hidden_block_count_y
      - .offset:         136
        .size:           4
        .value_kind:     hidden_block_count_z
      - .offset:         140
        .size:           2
        .value_kind:     hidden_group_size_x
      - .offset:         142
        .size:           2
        .value_kind:     hidden_group_size_y
      - .offset:         144
        .size:           2
        .value_kind:     hidden_group_size_z
      - .offset:         146
        .size:           2
        .value_kind:     hidden_remainder_x
      - .offset:         148
        .size:           2
        .value_kind:     hidden_remainder_y
      - .offset:         150
        .size:           2
        .value_kind:     hidden_remainder_z
      - .offset:         168
        .size:           8
        .value_kind:     hidden_global_offset_x
      - .offset:         176
        .size:           8
        .value_kind:     hidden_global_offset_y
      - .offset:         184
        .size:           8
        .value_kind:     hidden_global_offset_z
      - .offset:         192
        .size:           2
        .value_kind:     hidden_grid_dims
    .group_segment_fixed_size: 8192
    .kernarg_segment_align: 8
    .kernarg_segment_size: 384
    .language:       OpenCL C
    .language_version:
      - 2
      - 0
    .max_flat_workgroup_size: 1024
    .name:           _ZL30rocblas_trmm_outofplace_kernelIfLi32ELi2ELb0ELb1ELb1ELb0EfKffEv17rocblas_diagonal_iiT6_lPT7_lllS4_lllPT8_llli
    .private_segment_fixed_size: 0
    .sgpr_count:     68
    .sgpr_spill_count: 0
    .symbol:         _ZL30rocblas_trmm_outofplace_kernelIfLi32ELi2ELb0ELb1ELb1ELb0EfKffEv17rocblas_diagonal_iiT6_lPT7_lllS4_lllPT8_llli.kd
    .uniform_work_group_size: 1
    .uses_dynamic_stack: false
    .vgpr_count:     92
    .vgpr_spill_count: 0
    .wavefront_size: 64
  - .agpr_count:     0
    .args:
      - .offset:         0
        .size:           4
        .value_kind:     by_value
      - .offset:         4
        .size:           4
        .value_kind:     by_value
      - .offset:         8
        .size:           4
        .value_kind:     by_value
      - .address_space:  global
        .offset:         16
        .size:           8
        .value_kind:     global_buffer
      - .offset:         24
        .size:           8
        .value_kind:     by_value
      - .address_space:  global
        .offset:         32
        .size:           8
        .value_kind:     global_buffer
      - .offset:         40
        .size:           8
        .value_kind:     by_value
      - .offset:         48
        .size:           8
        .value_kind:     by_value
      - .offset:         56
        .size:           8
        .value_kind:     by_value
      - .address_space:  global
        .offset:         64
        .size:           8
        .value_kind:     global_buffer
      - .offset:         72
        .size:           8
        .value_kind:     by_value
      - .offset:         80
        .size:           8
        .value_kind:     by_value
      - .offset:         88
        .size:           8
        .value_kind:     by_value
      - .address_space:  global
        .offset:         96
        .size:           8
        .value_kind:     global_buffer
      - .offset:         104
        .size:           8
        .value_kind:     by_value
      - .offset:         112
        .size:           8
        .value_kind:     by_value
      - .offset:         120
        .size:           8
        .value_kind:     by_value
      - .offset:         128
        .size:           4
        .value_kind:     by_value
      - .offset:         136
        .size:           4
        .value_kind:     hidden_block_count_x
      - .offset:         140
        .size:           4
        .value_kind:     hidden_block_count_y
      - .offset:         144
        .size:           4
        .value_kind:     hidden_block_count_z
      - .offset:         148
        .size:           2
        .value_kind:     hidden_group_size_x
      - .offset:         150
        .size:           2
        .value_kind:     hidden_group_size_y
      - .offset:         152
        .size:           2
        .value_kind:     hidden_group_size_z
      - .offset:         154
        .size:           2
        .value_kind:     hidden_remainder_x
      - .offset:         156
        .size:           2
        .value_kind:     hidden_remainder_y
      - .offset:         158
        .size:           2
        .value_kind:     hidden_remainder_z
      - .offset:         176
        .size:           8
        .value_kind:     hidden_global_offset_x
      - .offset:         184
        .size:           8
        .value_kind:     hidden_global_offset_y
      - .offset:         192
        .size:           8
        .value_kind:     hidden_global_offset_z
      - .offset:         200
        .size:           2
        .value_kind:     hidden_grid_dims
    .group_segment_fixed_size: 8192
    .kernarg_segment_align: 8
    .kernarg_segment_size: 392
    .language:       OpenCL C
    .language_version:
      - 2
      - 0
    .max_flat_workgroup_size: 1024
    .name:           _ZL30rocblas_trmm_outofplace_kernelIfLi32ELi2ELb0ELb0ELb1ELb1EPKfS0_fEv17rocblas_diagonal_iiT6_lPT7_lllS5_lllPT8_llli
    .private_segment_fixed_size: 0
    .sgpr_count:     54
    .sgpr_spill_count: 0
    .symbol:         _ZL30rocblas_trmm_outofplace_kernelIfLi32ELi2ELb0ELb0ELb1ELb1EPKfS0_fEv17rocblas_diagonal_iiT6_lPT7_lllS5_lllPT8_llli.kd
    .uniform_work_group_size: 1
    .uses_dynamic_stack: false
    .vgpr_count:     98
    .vgpr_spill_count: 0
    .wavefront_size: 64
  - .agpr_count:     0
    .args:
      - .offset:         0
        .size:           4
        .value_kind:     by_value
      - .offset:         4
        .size:           4
        .value_kind:     by_value
      - .offset:         8
        .size:           4
        .value_kind:     by_value
      - .offset:         12
        .size:           4
        .value_kind:     by_value
      - .offset:         16
        .size:           8
        .value_kind:     by_value
      - .address_space:  global
        .offset:         24
        .size:           8
        .value_kind:     global_buffer
      - .offset:         32
        .size:           8
        .value_kind:     by_value
      - .offset:         40
        .size:           8
        .value_kind:     by_value
      - .offset:         48
        .size:           8
        .value_kind:     by_value
      - .address_space:  global
        .offset:         56
        .size:           8
        .value_kind:     global_buffer
      - .offset:         64
        .size:           8
        .value_kind:     by_value
      - .offset:         72
        .size:           8
        .value_kind:     by_value
      - .offset:         80
        .size:           8
        .value_kind:     by_value
      - .address_space:  global
        .offset:         88
        .size:           8
        .value_kind:     global_buffer
      - .offset:         96
        .size:           8
        .value_kind:     by_value
      - .offset:         104
        .size:           8
        .value_kind:     by_value
      - .offset:         112
        .size:           8
        .value_kind:     by_value
      - .offset:         120
        .size:           4
        .value_kind:     by_value
      - .offset:         128
        .size:           4
        .value_kind:     hidden_block_count_x
      - .offset:         132
        .size:           4
        .value_kind:     hidden_block_count_y
      - .offset:         136
        .size:           4
        .value_kind:     hidden_block_count_z
      - .offset:         140
        .size:           2
        .value_kind:     hidden_group_size_x
      - .offset:         142
        .size:           2
        .value_kind:     hidden_group_size_y
      - .offset:         144
        .size:           2
        .value_kind:     hidden_group_size_z
      - .offset:         146
        .size:           2
        .value_kind:     hidden_remainder_x
      - .offset:         148
        .size:           2
        .value_kind:     hidden_remainder_y
      - .offset:         150
        .size:           2
        .value_kind:     hidden_remainder_z
      - .offset:         168
        .size:           8
        .value_kind:     hidden_global_offset_x
      - .offset:         176
        .size:           8
        .value_kind:     hidden_global_offset_y
      - .offset:         184
        .size:           8
        .value_kind:     hidden_global_offset_z
      - .offset:         192
        .size:           2
        .value_kind:     hidden_grid_dims
    .group_segment_fixed_size: 8192
    .kernarg_segment_align: 8
    .kernarg_segment_size: 384
    .language:       OpenCL C
    .language_version:
      - 2
      - 0
    .max_flat_workgroup_size: 1024
    .name:           _ZL30rocblas_trmm_outofplace_kernelIfLi32ELi2ELb0ELb0ELb1ELb1EfKffEv17rocblas_diagonal_iiT6_lPT7_lllS4_lllPT8_llli
    .private_segment_fixed_size: 0
    .sgpr_count:     54
    .sgpr_spill_count: 0
    .symbol:         _ZL30rocblas_trmm_outofplace_kernelIfLi32ELi2ELb0ELb0ELb1ELb1EfKffEv17rocblas_diagonal_iiT6_lPT7_lllS4_lllPT8_llli.kd
    .uniform_work_group_size: 1
    .uses_dynamic_stack: false
    .vgpr_count:     98
    .vgpr_spill_count: 0
    .wavefront_size: 64
  - .agpr_count:     0
    .args:
      - .offset:         0
        .size:           4
        .value_kind:     by_value
      - .offset:         4
        .size:           4
        .value_kind:     by_value
      - .offset:         8
        .size:           4
        .value_kind:     by_value
      - .address_space:  global
        .offset:         16
        .size:           8
        .value_kind:     global_buffer
      - .offset:         24
        .size:           8
        .value_kind:     by_value
      - .address_space:  global
        .offset:         32
        .size:           8
        .value_kind:     global_buffer
      - .offset:         40
        .size:           8
        .value_kind:     by_value
      - .offset:         48
        .size:           8
        .value_kind:     by_value
      - .offset:         56
        .size:           8
        .value_kind:     by_value
      - .address_space:  global
        .offset:         64
        .size:           8
        .value_kind:     global_buffer
      - .offset:         72
        .size:           8
        .value_kind:     by_value
      - .offset:         80
        .size:           8
        .value_kind:     by_value
      - .offset:         88
        .size:           8
        .value_kind:     by_value
      - .address_space:  global
        .offset:         96
        .size:           8
        .value_kind:     global_buffer
      - .offset:         104
        .size:           8
        .value_kind:     by_value
      - .offset:         112
        .size:           8
        .value_kind:     by_value
      - .offset:         120
        .size:           8
        .value_kind:     by_value
      - .offset:         128
        .size:           4
        .value_kind:     by_value
      - .offset:         136
        .size:           4
        .value_kind:     hidden_block_count_x
      - .offset:         140
        .size:           4
        .value_kind:     hidden_block_count_y
      - .offset:         144
        .size:           4
        .value_kind:     hidden_block_count_z
      - .offset:         148
        .size:           2
        .value_kind:     hidden_group_size_x
      - .offset:         150
        .size:           2
        .value_kind:     hidden_group_size_y
      - .offset:         152
        .size:           2
        .value_kind:     hidden_group_size_z
      - .offset:         154
        .size:           2
        .value_kind:     hidden_remainder_x
      - .offset:         156
        .size:           2
        .value_kind:     hidden_remainder_y
      - .offset:         158
        .size:           2
        .value_kind:     hidden_remainder_z
      - .offset:         176
        .size:           8
        .value_kind:     hidden_global_offset_x
      - .offset:         184
        .size:           8
        .value_kind:     hidden_global_offset_y
      - .offset:         192
        .size:           8
        .value_kind:     hidden_global_offset_z
      - .offset:         200
        .size:           2
        .value_kind:     hidden_grid_dims
    .group_segment_fixed_size: 8192
    .kernarg_segment_align: 8
    .kernarg_segment_size: 392
    .language:       OpenCL C
    .language_version:
      - 2
      - 0
    .max_flat_workgroup_size: 1024
    .name:           _ZL30rocblas_trmm_outofplace_kernelIfLi32ELi2ELb0ELb1ELb1ELb1EPKfS0_fEv17rocblas_diagonal_iiT6_lPT7_lllS5_lllPT8_llli
    .private_segment_fixed_size: 0
    .sgpr_count:     68
    .sgpr_spill_count: 0
    .symbol:         _ZL30rocblas_trmm_outofplace_kernelIfLi32ELi2ELb0ELb1ELb1ELb1EPKfS0_fEv17rocblas_diagonal_iiT6_lPT7_lllS5_lllPT8_llli.kd
    .uniform_work_group_size: 1
    .uses_dynamic_stack: false
    .vgpr_count:     92
    .vgpr_spill_count: 0
    .wavefront_size: 64
  - .agpr_count:     0
    .args:
      - .offset:         0
        .size:           4
        .value_kind:     by_value
      - .offset:         4
        .size:           4
        .value_kind:     by_value
      - .offset:         8
        .size:           4
        .value_kind:     by_value
      - .offset:         12
        .size:           4
        .value_kind:     by_value
      - .offset:         16
        .size:           8
        .value_kind:     by_value
      - .address_space:  global
        .offset:         24
        .size:           8
        .value_kind:     global_buffer
      - .offset:         32
        .size:           8
        .value_kind:     by_value
      - .offset:         40
        .size:           8
        .value_kind:     by_value
      - .offset:         48
        .size:           8
        .value_kind:     by_value
      - .address_space:  global
        .offset:         56
        .size:           8
        .value_kind:     global_buffer
      - .offset:         64
        .size:           8
        .value_kind:     by_value
      - .offset:         72
        .size:           8
        .value_kind:     by_value
      - .offset:         80
        .size:           8
        .value_kind:     by_value
      - .address_space:  global
        .offset:         88
        .size:           8
        .value_kind:     global_buffer
      - .offset:         96
        .size:           8
        .value_kind:     by_value
      - .offset:         104
        .size:           8
        .value_kind:     by_value
      - .offset:         112
        .size:           8
        .value_kind:     by_value
      - .offset:         120
        .size:           4
        .value_kind:     by_value
      - .offset:         128
        .size:           4
        .value_kind:     hidden_block_count_x
      - .offset:         132
        .size:           4
        .value_kind:     hidden_block_count_y
      - .offset:         136
        .size:           4
        .value_kind:     hidden_block_count_z
      - .offset:         140
        .size:           2
        .value_kind:     hidden_group_size_x
      - .offset:         142
        .size:           2
        .value_kind:     hidden_group_size_y
      - .offset:         144
        .size:           2
        .value_kind:     hidden_group_size_z
      - .offset:         146
        .size:           2
        .value_kind:     hidden_remainder_x
      - .offset:         148
        .size:           2
        .value_kind:     hidden_remainder_y
      - .offset:         150
        .size:           2
        .value_kind:     hidden_remainder_z
      - .offset:         168
        .size:           8
        .value_kind:     hidden_global_offset_x
      - .offset:         176
        .size:           8
        .value_kind:     hidden_global_offset_y
      - .offset:         184
        .size:           8
        .value_kind:     hidden_global_offset_z
      - .offset:         192
        .size:           2
        .value_kind:     hidden_grid_dims
    .group_segment_fixed_size: 8192
    .kernarg_segment_align: 8
    .kernarg_segment_size: 384
    .language:       OpenCL C
    .language_version:
      - 2
      - 0
    .max_flat_workgroup_size: 1024
    .name:           _ZL30rocblas_trmm_outofplace_kernelIfLi32ELi2ELb0ELb1ELb1ELb1EfKffEv17rocblas_diagonal_iiT6_lPT7_lllS4_lllPT8_llli
    .private_segment_fixed_size: 0
    .sgpr_count:     68
    .sgpr_spill_count: 0
    .symbol:         _ZL30rocblas_trmm_outofplace_kernelIfLi32ELi2ELb0ELb1ELb1ELb1EfKffEv17rocblas_diagonal_iiT6_lPT7_lllS4_lllPT8_llli.kd
    .uniform_work_group_size: 1
    .uses_dynamic_stack: false
    .vgpr_count:     92
    .vgpr_spill_count: 0
    .wavefront_size: 64
  - .agpr_count:     0
    .args:
      - .offset:         0
        .size:           4
        .value_kind:     by_value
      - .offset:         4
        .size:           4
        .value_kind:     by_value
      - .offset:         8
        .size:           4
        .value_kind:     by_value
      - .offset:         12
        .size:           4
        .value_kind:     by_value
      - .address_space:  global
        .offset:         16
        .size:           8
        .value_kind:     global_buffer
      - .offset:         24
        .size:           8
        .value_kind:     by_value
      - .address_space:  global
        .offset:         32
        .size:           8
        .value_kind:     global_buffer
      - .offset:         40
        .size:           8
        .value_kind:     by_value
      - .offset:         48
        .size:           8
        .value_kind:     by_value
      - .address_space:  global
        .offset:         56
        .size:           8
        .value_kind:     global_buffer
      - .offset:         64
        .size:           8
        .value_kind:     by_value
      - .offset:         72
        .size:           8
        .value_kind:     by_value
      - .address_space:  global
        .offset:         80
        .size:           8
        .value_kind:     global_buffer
      - .offset:         88
        .size:           8
        .value_kind:     by_value
      - .offset:         96
        .size:           8
        .value_kind:     by_value
      - .offset:         104
        .size:           4
        .value_kind:     by_value
    .group_segment_fixed_size: 8192
    .kernarg_segment_align: 8
    .kernarg_segment_size: 108
    .language:       OpenCL C
    .language_version:
      - 2
      - 0
    .max_flat_workgroup_size: 1024
    .name:           _ZL23rocblas_trmm_lNx_kernelILi32EfPKfS0_fEv13rocblas_fill_17rocblas_diagonal_iiT1_lPT2_llS6_llPT3_lli
    .private_segment_fixed_size: 0
    .sgpr_count:     31
    .sgpr_spill_count: 0
    .symbol:         _ZL23rocblas_trmm_lNx_kernelILi32EfPKfS0_fEv13rocblas_fill_17rocblas_diagonal_iiT1_lPT2_llS6_llPT3_lli.kd
    .uniform_work_group_size: 1
    .uses_dynamic_stack: false
    .vgpr_count:     26
    .vgpr_spill_count: 0
    .wavefront_size: 64
  - .agpr_count:     0
    .args:
      - .offset:         0
        .size:           4
        .value_kind:     by_value
      - .offset:         4
        .size:           4
        .value_kind:     by_value
      - .offset:         8
        .size:           4
        .value_kind:     by_value
      - .offset:         12
        .size:           4
        .value_kind:     by_value
      - .offset:         16
        .size:           4
        .value_kind:     by_value
      - .offset:         24
        .size:           8
        .value_kind:     by_value
      - .address_space:  global
        .offset:         32
        .size:           8
        .value_kind:     global_buffer
      - .offset:         40
        .size:           8
        .value_kind:     by_value
      - .offset:         48
        .size:           8
        .value_kind:     by_value
      - .address_space:  global
        .offset:         56
        .size:           8
        .value_kind:     global_buffer
      - .offset:         64
        .size:           8
        .value_kind:     by_value
      - .offset:         72
        .size:           8
        .value_kind:     by_value
      - .address_space:  global
        .offset:         80
        .size:           8
        .value_kind:     global_buffer
      - .offset:         88
        .size:           8
        .value_kind:     by_value
      - .offset:         96
        .size:           8
        .value_kind:     by_value
      - .offset:         104
        .size:           4
        .value_kind:     by_value
    .group_segment_fixed_size: 8192
    .kernarg_segment_align: 8
    .kernarg_segment_size: 108
    .language:       OpenCL C
    .language_version:
      - 2
      - 0
    .max_flat_workgroup_size: 1024
    .name:           _ZL23rocblas_trmm_lNx_kernelILi32EffKffEv13rocblas_fill_17rocblas_diagonal_iiT1_lPT2_llS5_llPT3_lli
    .private_segment_fixed_size: 0
    .sgpr_count:     35
    .sgpr_spill_count: 0
    .symbol:         _ZL23rocblas_trmm_lNx_kernelILi32EffKffEv13rocblas_fill_17rocblas_diagonal_iiT1_lPT2_llS5_llPT3_lli.kd
    .uniform_work_group_size: 1
    .uses_dynamic_stack: false
    .vgpr_count:     26
    .vgpr_spill_count: 0
    .wavefront_size: 64
  - .agpr_count:     0
    .args:
      - .offset:         0
        .size:           4
        .value_kind:     by_value
      - .offset:         4
        .size:           4
        .value_kind:     by_value
      - .offset:         8
        .size:           4
        .value_kind:     by_value
      - .offset:         12
        .size:           4
        .value_kind:     by_value
      - .address_space:  global
        .offset:         16
        .size:           8
        .value_kind:     global_buffer
      - .offset:         24
        .size:           8
        .value_kind:     by_value
      - .address_space:  global
        .offset:         32
        .size:           8
        .value_kind:     global_buffer
      - .offset:         40
        .size:           8
        .value_kind:     by_value
      - .offset:         48
        .size:           8
        .value_kind:     by_value
      - .address_space:  global
        .offset:         56
        .size:           8
        .value_kind:     global_buffer
      - .offset:         64
        .size:           8
        .value_kind:     by_value
      - .offset:         72
        .size:           8
        .value_kind:     by_value
      - .address_space:  global
        .offset:         80
        .size:           8
        .value_kind:     global_buffer
      - .offset:         88
        .size:           8
        .value_kind:     by_value
      - .offset:         96
        .size:           8
        .value_kind:     by_value
      - .offset:         104
        .size:           4
        .value_kind:     by_value
    .group_segment_fixed_size: 8192
    .kernarg_segment_align: 8
    .kernarg_segment_size: 108
    .language:       OpenCL C
    .language_version:
      - 2
      - 0
    .max_flat_workgroup_size: 1024
    .name:           _ZL23rocblas_trmm_lTx_kernelILi32ELb0EfPKfS0_fEv13rocblas_fill_17rocblas_diagonal_iiT2_lPT3_llS6_llPT4_lli
    .private_segment_fixed_size: 0
    .sgpr_count:     31
    .sgpr_spill_count: 0
    .symbol:         _ZL23rocblas_trmm_lTx_kernelILi32ELb0EfPKfS0_fEv13rocblas_fill_17rocblas_diagonal_iiT2_lPT3_llS6_llPT4_lli.kd
    .uniform_work_group_size: 1
    .uses_dynamic_stack: false
    .vgpr_count:     26
    .vgpr_spill_count: 0
    .wavefront_size: 64
  - .agpr_count:     0
    .args:
      - .offset:         0
        .size:           4
        .value_kind:     by_value
      - .offset:         4
        .size:           4
        .value_kind:     by_value
      - .offset:         8
        .size:           4
        .value_kind:     by_value
      - .offset:         12
        .size:           4
        .value_kind:     by_value
      - .offset:         16
        .size:           4
        .value_kind:     by_value
      - .offset:         24
        .size:           8
        .value_kind:     by_value
      - .address_space:  global
        .offset:         32
        .size:           8
        .value_kind:     global_buffer
      - .offset:         40
        .size:           8
        .value_kind:     by_value
      - .offset:         48
        .size:           8
        .value_kind:     by_value
      - .address_space:  global
        .offset:         56
        .size:           8
        .value_kind:     global_buffer
      - .offset:         64
        .size:           8
        .value_kind:     by_value
      - .offset:         72
        .size:           8
        .value_kind:     by_value
      - .address_space:  global
        .offset:         80
        .size:           8
        .value_kind:     global_buffer
      - .offset:         88
        .size:           8
        .value_kind:     by_value
      - .offset:         96
        .size:           8
        .value_kind:     by_value
      - .offset:         104
        .size:           4
        .value_kind:     by_value
    .group_segment_fixed_size: 8192
    .kernarg_segment_align: 8
    .kernarg_segment_size: 108
    .language:       OpenCL C
    .language_version:
      - 2
      - 0
    .max_flat_workgroup_size: 1024
    .name:           _ZL23rocblas_trmm_lTx_kernelILi32ELb0EffKffEv13rocblas_fill_17rocblas_diagonal_iiT2_lPT3_llS5_llPT4_lli
    .private_segment_fixed_size: 0
    .sgpr_count:     35
    .sgpr_spill_count: 0
    .symbol:         _ZL23rocblas_trmm_lTx_kernelILi32ELb0EffKffEv13rocblas_fill_17rocblas_diagonal_iiT2_lPT3_llS5_llPT4_lli.kd
    .uniform_work_group_size: 1
    .uses_dynamic_stack: false
    .vgpr_count:     26
    .vgpr_spill_count: 0
    .wavefront_size: 64
  - .agpr_count:     0
    .args:
      - .offset:         0
        .size:           4
        .value_kind:     by_value
      - .offset:         4
        .size:           4
        .value_kind:     by_value
      - .offset:         8
        .size:           4
        .value_kind:     by_value
      - .offset:         12
        .size:           4
        .value_kind:     by_value
      - .address_space:  global
        .offset:         16
        .size:           8
        .value_kind:     global_buffer
      - .offset:         24
        .size:           8
        .value_kind:     by_value
      - .address_space:  global
        .offset:         32
        .size:           8
        .value_kind:     global_buffer
      - .offset:         40
        .size:           8
        .value_kind:     by_value
      - .offset:         48
        .size:           8
        .value_kind:     by_value
      - .address_space:  global
        .offset:         56
        .size:           8
        .value_kind:     global_buffer
      - .offset:         64
        .size:           8
        .value_kind:     by_value
      - .offset:         72
        .size:           8
        .value_kind:     by_value
      - .address_space:  global
        .offset:         80
        .size:           8
        .value_kind:     global_buffer
      - .offset:         88
        .size:           8
        .value_kind:     by_value
      - .offset:         96
        .size:           8
        .value_kind:     by_value
      - .offset:         104
        .size:           4
        .value_kind:     by_value
    .group_segment_fixed_size: 8192
    .kernarg_segment_align: 8
    .kernarg_segment_size: 108
    .language:       OpenCL C
    .language_version:
      - 2
      - 0
    .max_flat_workgroup_size: 1024
    .name:           _ZL23rocblas_trmm_lTx_kernelILi32ELb1EfPKfS0_fEv13rocblas_fill_17rocblas_diagonal_iiT2_lPT3_llS6_llPT4_lli
    .private_segment_fixed_size: 0
    .sgpr_count:     31
    .sgpr_spill_count: 0
    .symbol:         _ZL23rocblas_trmm_lTx_kernelILi32ELb1EfPKfS0_fEv13rocblas_fill_17rocblas_diagonal_iiT2_lPT3_llS6_llPT4_lli.kd
    .uniform_work_group_size: 1
    .uses_dynamic_stack: false
    .vgpr_count:     26
    .vgpr_spill_count: 0
    .wavefront_size: 64
  - .agpr_count:     0
    .args:
      - .offset:         0
        .size:           4
        .value_kind:     by_value
      - .offset:         4
        .size:           4
        .value_kind:     by_value
      - .offset:         8
        .size:           4
        .value_kind:     by_value
      - .offset:         12
        .size:           4
        .value_kind:     by_value
      - .offset:         16
        .size:           4
        .value_kind:     by_value
      - .offset:         24
        .size:           8
        .value_kind:     by_value
      - .address_space:  global
        .offset:         32
        .size:           8
        .value_kind:     global_buffer
      - .offset:         40
        .size:           8
        .value_kind:     by_value
      - .offset:         48
        .size:           8
        .value_kind:     by_value
      - .address_space:  global
        .offset:         56
        .size:           8
        .value_kind:     global_buffer
      - .offset:         64
        .size:           8
        .value_kind:     by_value
      - .offset:         72
        .size:           8
        .value_kind:     by_value
      - .address_space:  global
        .offset:         80
        .size:           8
        .value_kind:     global_buffer
      - .offset:         88
        .size:           8
        .value_kind:     by_value
      - .offset:         96
        .size:           8
        .value_kind:     by_value
      - .offset:         104
        .size:           4
        .value_kind:     by_value
    .group_segment_fixed_size: 8192
    .kernarg_segment_align: 8
    .kernarg_segment_size: 108
    .language:       OpenCL C
    .language_version:
      - 2
      - 0
    .max_flat_workgroup_size: 1024
    .name:           _ZL23rocblas_trmm_lTx_kernelILi32ELb1EffKffEv13rocblas_fill_17rocblas_diagonal_iiT2_lPT3_llS5_llPT4_lli
    .private_segment_fixed_size: 0
    .sgpr_count:     35
    .sgpr_spill_count: 0
    .symbol:         _ZL23rocblas_trmm_lTx_kernelILi32ELb1EffKffEv13rocblas_fill_17rocblas_diagonal_iiT2_lPT3_llS5_llPT4_lli.kd
    .uniform_work_group_size: 1
    .uses_dynamic_stack: false
    .vgpr_count:     26
    .vgpr_spill_count: 0
    .wavefront_size: 64
  - .agpr_count:     0
    .args:
      - .offset:         0
        .size:           4
        .value_kind:     by_value
      - .offset:         4
        .size:           4
        .value_kind:     by_value
      - .offset:         8
        .size:           4
        .value_kind:     by_value
      - .offset:         12
        .size:           4
        .value_kind:     by_value
      - .address_space:  global
        .offset:         16
        .size:           8
        .value_kind:     global_buffer
      - .offset:         24
        .size:           8
        .value_kind:     by_value
      - .address_space:  global
        .offset:         32
        .size:           8
        .value_kind:     global_buffer
      - .offset:         40
        .size:           8
        .value_kind:     by_value
      - .offset:         48
        .size:           8
        .value_kind:     by_value
      - .address_space:  global
        .offset:         56
        .size:           8
        .value_kind:     global_buffer
      - .offset:         64
        .size:           8
        .value_kind:     by_value
      - .offset:         72
        .size:           8
        .value_kind:     by_value
      - .address_space:  global
        .offset:         80
        .size:           8
        .value_kind:     global_buffer
      - .offset:         88
        .size:           8
        .value_kind:     by_value
      - .offset:         96
        .size:           8
        .value_kind:     by_value
      - .offset:         104
        .size:           4
        .value_kind:     by_value
    .group_segment_fixed_size: 8192
    .kernarg_segment_align: 8
    .kernarg_segment_size: 108
    .language:       OpenCL C
    .language_version:
      - 2
      - 0
    .max_flat_workgroup_size: 1024
    .name:           _ZL23rocblas_trmm_rNx_kernelILi32EfPKfS0_fEv13rocblas_fill_17rocblas_diagonal_iiT1_lPT2_llS6_llPT3_lli
    .private_segment_fixed_size: 0
    .sgpr_count:     31
    .sgpr_spill_count: 0
    .symbol:         _ZL23rocblas_trmm_rNx_kernelILi32EfPKfS0_fEv13rocblas_fill_17rocblas_diagonal_iiT1_lPT2_llS6_llPT3_lli.kd
    .uniform_work_group_size: 1
    .uses_dynamic_stack: false
    .vgpr_count:     27
    .vgpr_spill_count: 0
    .wavefront_size: 64
  - .agpr_count:     0
    .args:
      - .offset:         0
        .size:           4
        .value_kind:     by_value
      - .offset:         4
        .size:           4
        .value_kind:     by_value
      - .offset:         8
        .size:           4
        .value_kind:     by_value
      - .offset:         12
        .size:           4
        .value_kind:     by_value
      - .offset:         16
        .size:           4
        .value_kind:     by_value
      - .offset:         24
        .size:           8
        .value_kind:     by_value
      - .address_space:  global
        .offset:         32
        .size:           8
        .value_kind:     global_buffer
      - .offset:         40
        .size:           8
        .value_kind:     by_value
      - .offset:         48
        .size:           8
        .value_kind:     by_value
      - .address_space:  global
        .offset:         56
        .size:           8
        .value_kind:     global_buffer
      - .offset:         64
        .size:           8
        .value_kind:     by_value
      - .offset:         72
        .size:           8
        .value_kind:     by_value
      - .address_space:  global
        .offset:         80
        .size:           8
        .value_kind:     global_buffer
      - .offset:         88
        .size:           8
        .value_kind:     by_value
      - .offset:         96
        .size:           8
        .value_kind:     by_value
      - .offset:         104
        .size:           4
        .value_kind:     by_value
    .group_segment_fixed_size: 8192
    .kernarg_segment_align: 8
    .kernarg_segment_size: 108
    .language:       OpenCL C
    .language_version:
      - 2
      - 0
    .max_flat_workgroup_size: 1024
    .name:           _ZL23rocblas_trmm_rNx_kernelILi32EffKffEv13rocblas_fill_17rocblas_diagonal_iiT1_lPT2_llS5_llPT3_lli
    .private_segment_fixed_size: 0
    .sgpr_count:     35
    .sgpr_spill_count: 0
    .symbol:         _ZL23rocblas_trmm_rNx_kernelILi32EffKffEv13rocblas_fill_17rocblas_diagonal_iiT1_lPT2_llS5_llPT3_lli.kd
    .uniform_work_group_size: 1
    .uses_dynamic_stack: false
    .vgpr_count:     27
    .vgpr_spill_count: 0
    .wavefront_size: 64
  - .agpr_count:     0
    .args:
      - .offset:         0
        .size:           4
        .value_kind:     by_value
      - .offset:         4
        .size:           4
        .value_kind:     by_value
      - .offset:         8
        .size:           4
        .value_kind:     by_value
      - .offset:         12
        .size:           4
        .value_kind:     by_value
      - .address_space:  global
        .offset:         16
        .size:           8
        .value_kind:     global_buffer
      - .offset:         24
        .size:           8
        .value_kind:     by_value
      - .address_space:  global
        .offset:         32
        .size:           8
        .value_kind:     global_buffer
      - .offset:         40
        .size:           8
        .value_kind:     by_value
      - .offset:         48
        .size:           8
        .value_kind:     by_value
      - .address_space:  global
        .offset:         56
        .size:           8
        .value_kind:     global_buffer
      - .offset:         64
        .size:           8
        .value_kind:     by_value
      - .offset:         72
        .size:           8
        .value_kind:     by_value
      - .address_space:  global
        .offset:         80
        .size:           8
        .value_kind:     global_buffer
      - .offset:         88
        .size:           8
        .value_kind:     by_value
      - .offset:         96
        .size:           8
        .value_kind:     by_value
      - .offset:         104
        .size:           4
        .value_kind:     by_value
    .group_segment_fixed_size: 8192
    .kernarg_segment_align: 8
    .kernarg_segment_size: 108
    .language:       OpenCL C
    .language_version:
      - 2
      - 0
    .max_flat_workgroup_size: 1024
    .name:           _ZL23rocblas_trmm_rTx_kernelILi32ELb0EfPKfS0_fEv13rocblas_fill_17rocblas_diagonal_iiT2_lPT3_llS6_llPT4_lli
    .private_segment_fixed_size: 0
    .sgpr_count:     31
    .sgpr_spill_count: 0
    .symbol:         _ZL23rocblas_trmm_rTx_kernelILi32ELb0EfPKfS0_fEv13rocblas_fill_17rocblas_diagonal_iiT2_lPT3_llS6_llPT4_lli.kd
    .uniform_work_group_size: 1
    .uses_dynamic_stack: false
    .vgpr_count:     19
    .vgpr_spill_count: 0
    .wavefront_size: 64
  - .agpr_count:     0
    .args:
      - .offset:         0
        .size:           4
        .value_kind:     by_value
      - .offset:         4
        .size:           4
        .value_kind:     by_value
      - .offset:         8
        .size:           4
        .value_kind:     by_value
      - .offset:         12
        .size:           4
        .value_kind:     by_value
      - .offset:         16
        .size:           4
        .value_kind:     by_value
      - .offset:         24
        .size:           8
        .value_kind:     by_value
      - .address_space:  global
        .offset:         32
        .size:           8
        .value_kind:     global_buffer
      - .offset:         40
        .size:           8
        .value_kind:     by_value
      - .offset:         48
        .size:           8
        .value_kind:     by_value
      - .address_space:  global
        .offset:         56
        .size:           8
        .value_kind:     global_buffer
      - .offset:         64
        .size:           8
        .value_kind:     by_value
      - .offset:         72
        .size:           8
        .value_kind:     by_value
      - .address_space:  global
        .offset:         80
        .size:           8
        .value_kind:     global_buffer
      - .offset:         88
        .size:           8
        .value_kind:     by_value
      - .offset:         96
        .size:           8
        .value_kind:     by_value
      - .offset:         104
        .size:           4
        .value_kind:     by_value
    .group_segment_fixed_size: 8192
    .kernarg_segment_align: 8
    .kernarg_segment_size: 108
    .language:       OpenCL C
    .language_version:
      - 2
      - 0
    .max_flat_workgroup_size: 1024
    .name:           _ZL23rocblas_trmm_rTx_kernelILi32ELb0EffKffEv13rocblas_fill_17rocblas_diagonal_iiT2_lPT3_llS5_llPT4_lli
    .private_segment_fixed_size: 0
    .sgpr_count:     35
    .sgpr_spill_count: 0
    .symbol:         _ZL23rocblas_trmm_rTx_kernelILi32ELb0EffKffEv13rocblas_fill_17rocblas_diagonal_iiT2_lPT3_llS5_llPT4_lli.kd
    .uniform_work_group_size: 1
    .uses_dynamic_stack: false
    .vgpr_count:     19
    .vgpr_spill_count: 0
    .wavefront_size: 64
  - .agpr_count:     0
    .args:
      - .offset:         0
        .size:           4
        .value_kind:     by_value
      - .offset:         4
        .size:           4
        .value_kind:     by_value
      - .offset:         8
        .size:           4
        .value_kind:     by_value
      - .offset:         12
        .size:           4
        .value_kind:     by_value
      - .address_space:  global
        .offset:         16
        .size:           8
        .value_kind:     global_buffer
      - .offset:         24
        .size:           8
        .value_kind:     by_value
      - .address_space:  global
        .offset:         32
        .size:           8
        .value_kind:     global_buffer
      - .offset:         40
        .size:           8
        .value_kind:     by_value
      - .offset:         48
        .size:           8
        .value_kind:     by_value
      - .address_space:  global
        .offset:         56
        .size:           8
        .value_kind:     global_buffer
      - .offset:         64
        .size:           8
        .value_kind:     by_value
      - .offset:         72
        .size:           8
        .value_kind:     by_value
      - .address_space:  global
        .offset:         80
        .size:           8
        .value_kind:     global_buffer
      - .offset:         88
        .size:           8
        .value_kind:     by_value
      - .offset:         96
        .size:           8
        .value_kind:     by_value
      - .offset:         104
        .size:           4
        .value_kind:     by_value
    .group_segment_fixed_size: 8192
    .kernarg_segment_align: 8
    .kernarg_segment_size: 108
    .language:       OpenCL C
    .language_version:
      - 2
      - 0
    .max_flat_workgroup_size: 1024
    .name:           _ZL23rocblas_trmm_rTx_kernelILi32ELb1EfPKfS0_fEv13rocblas_fill_17rocblas_diagonal_iiT2_lPT3_llS6_llPT4_lli
    .private_segment_fixed_size: 0
    .sgpr_count:     31
    .sgpr_spill_count: 0
    .symbol:         _ZL23rocblas_trmm_rTx_kernelILi32ELb1EfPKfS0_fEv13rocblas_fill_17rocblas_diagonal_iiT2_lPT3_llS6_llPT4_lli.kd
    .uniform_work_group_size: 1
    .uses_dynamic_stack: false
    .vgpr_count:     19
    .vgpr_spill_count: 0
    .wavefront_size: 64
  - .agpr_count:     0
    .args:
      - .offset:         0
        .size:           4
        .value_kind:     by_value
      - .offset:         4
        .size:           4
        .value_kind:     by_value
      - .offset:         8
        .size:           4
        .value_kind:     by_value
      - .offset:         12
        .size:           4
        .value_kind:     by_value
      - .offset:         16
        .size:           4
        .value_kind:     by_value
      - .offset:         24
        .size:           8
        .value_kind:     by_value
      - .address_space:  global
        .offset:         32
        .size:           8
        .value_kind:     global_buffer
      - .offset:         40
        .size:           8
        .value_kind:     by_value
      - .offset:         48
        .size:           8
        .value_kind:     by_value
      - .address_space:  global
        .offset:         56
        .size:           8
        .value_kind:     global_buffer
      - .offset:         64
        .size:           8
        .value_kind:     by_value
      - .offset:         72
        .size:           8
        .value_kind:     by_value
      - .address_space:  global
        .offset:         80
        .size:           8
        .value_kind:     global_buffer
      - .offset:         88
        .size:           8
        .value_kind:     by_value
      - .offset:         96
        .size:           8
        .value_kind:     by_value
      - .offset:         104
        .size:           4
        .value_kind:     by_value
    .group_segment_fixed_size: 8192
    .kernarg_segment_align: 8
    .kernarg_segment_size: 108
    .language:       OpenCL C
    .language_version:
      - 2
      - 0
    .max_flat_workgroup_size: 1024
    .name:           _ZL23rocblas_trmm_rTx_kernelILi32ELb1EffKffEv13rocblas_fill_17rocblas_diagonal_iiT2_lPT3_llS5_llPT4_lli
    .private_segment_fixed_size: 0
    .sgpr_count:     35
    .sgpr_spill_count: 0
    .symbol:         _ZL23rocblas_trmm_rTx_kernelILi32ELb1EffKffEv13rocblas_fill_17rocblas_diagonal_iiT2_lPT3_llS5_llPT4_lli.kd
    .uniform_work_group_size: 1
    .uses_dynamic_stack: false
    .vgpr_count:     19
    .vgpr_spill_count: 0
    .wavefront_size: 64
  - .agpr_count:     0
    .args:
      - .offset:         0
        .size:           4
        .value_kind:     by_value
      - .offset:         4
        .size:           4
        .value_kind:     by_value
      - .offset:         8
        .size:           4
        .value_kind:     by_value
      - .address_space:  global
        .offset:         16
        .size:           8
        .value_kind:     global_buffer
      - .offset:         24
        .size:           8
        .value_kind:     by_value
      - .address_space:  global
        .offset:         32
        .size:           8
        .value_kind:     global_buffer
      - .offset:         40
        .size:           8
        .value_kind:     by_value
      - .offset:         48
        .size:           8
        .value_kind:     by_value
      - .offset:         56
        .size:           8
        .value_kind:     by_value
      - .address_space:  global
        .offset:         64
        .size:           8
        .value_kind:     global_buffer
      - .offset:         72
        .size:           8
        .value_kind:     by_value
      - .offset:         80
        .size:           8
        .value_kind:     by_value
      - .offset:         88
        .size:           8
        .value_kind:     by_value
      - .address_space:  global
        .offset:         96
        .size:           8
        .value_kind:     global_buffer
      - .offset:         104
        .size:           8
        .value_kind:     by_value
      - .offset:         112
        .size:           8
        .value_kind:     by_value
      - .offset:         120
        .size:           8
        .value_kind:     by_value
      - .offset:         128
        .size:           4
        .value_kind:     by_value
      - .offset:         136
        .size:           4
        .value_kind:     hidden_block_count_x
      - .offset:         140
        .size:           4
        .value_kind:     hidden_block_count_y
      - .offset:         144
        .size:           4
        .value_kind:     hidden_block_count_z
      - .offset:         148
        .size:           2
        .value_kind:     hidden_group_size_x
      - .offset:         150
        .size:           2
        .value_kind:     hidden_group_size_y
      - .offset:         152
        .size:           2
        .value_kind:     hidden_group_size_z
      - .offset:         154
        .size:           2
        .value_kind:     hidden_remainder_x
      - .offset:         156
        .size:           2
        .value_kind:     hidden_remainder_y
      - .offset:         158
        .size:           2
        .value_kind:     hidden_remainder_z
      - .offset:         176
        .size:           8
        .value_kind:     hidden_global_offset_x
      - .offset:         184
        .size:           8
        .value_kind:     hidden_global_offset_y
      - .offset:         192
        .size:           8
        .value_kind:     hidden_global_offset_z
      - .offset:         200
        .size:           2
        .value_kind:     hidden_grid_dims
    .group_segment_fixed_size: 16384
    .kernarg_segment_align: 8
    .kernarg_segment_size: 392
    .language:       OpenCL C
    .language_version:
      - 2
      - 0
    .max_flat_workgroup_size: 1024
    .name:           _ZL30rocblas_trmm_outofplace_kernelIdLi32ELi2ELb1ELb0ELb0ELb0EPKdS0_dEv17rocblas_diagonal_iiT6_lPT7_lllS5_lllPT8_llli
    .private_segment_fixed_size: 0
    .sgpr_count:     63
    .sgpr_spill_count: 0
    .symbol:         _ZL30rocblas_trmm_outofplace_kernelIdLi32ELi2ELb1ELb0ELb0ELb0EPKdS0_dEv17rocblas_diagonal_iiT6_lPT7_lllS5_lllPT8_llli.kd
    .uniform_work_group_size: 1
    .uses_dynamic_stack: false
    .vgpr_count:     86
    .vgpr_spill_count: 0
    .wavefront_size: 64
  - .agpr_count:     0
    .args:
      - .offset:         0
        .size:           4
        .value_kind:     by_value
      - .offset:         4
        .size:           4
        .value_kind:     by_value
      - .offset:         8
        .size:           4
        .value_kind:     by_value
      - .offset:         16
        .size:           8
        .value_kind:     by_value
      - .offset:         24
        .size:           8
        .value_kind:     by_value
      - .address_space:  global
        .offset:         32
        .size:           8
        .value_kind:     global_buffer
      - .offset:         40
        .size:           8
        .value_kind:     by_value
      - .offset:         48
        .size:           8
        .value_kind:     by_value
      - .offset:         56
        .size:           8
        .value_kind:     by_value
      - .address_space:  global
        .offset:         64
        .size:           8
        .value_kind:     global_buffer
      - .offset:         72
        .size:           8
        .value_kind:     by_value
      - .offset:         80
        .size:           8
        .value_kind:     by_value
      - .offset:         88
        .size:           8
        .value_kind:     by_value
      - .address_space:  global
        .offset:         96
        .size:           8
        .value_kind:     global_buffer
      - .offset:         104
        .size:           8
        .value_kind:     by_value
      - .offset:         112
        .size:           8
        .value_kind:     by_value
      - .offset:         120
        .size:           8
        .value_kind:     by_value
      - .offset:         128
        .size:           4
        .value_kind:     by_value
      - .offset:         136
        .size:           4
        .value_kind:     hidden_block_count_x
      - .offset:         140
        .size:           4
        .value_kind:     hidden_block_count_y
      - .offset:         144
        .size:           4
        .value_kind:     hidden_block_count_z
      - .offset:         148
        .size:           2
        .value_kind:     hidden_group_size_x
      - .offset:         150
        .size:           2
        .value_kind:     hidden_group_size_y
      - .offset:         152
        .size:           2
        .value_kind:     hidden_group_size_z
      - .offset:         154
        .size:           2
        .value_kind:     hidden_remainder_x
      - .offset:         156
        .size:           2
        .value_kind:     hidden_remainder_y
      - .offset:         158
        .size:           2
        .value_kind:     hidden_remainder_z
      - .offset:         176
        .size:           8
        .value_kind:     hidden_global_offset_x
      - .offset:         184
        .size:           8
        .value_kind:     hidden_global_offset_y
      - .offset:         192
        .size:           8
        .value_kind:     hidden_global_offset_z
      - .offset:         200
        .size:           2
        .value_kind:     hidden_grid_dims
    .group_segment_fixed_size: 16384
    .kernarg_segment_align: 8
    .kernarg_segment_size: 392
    .language:       OpenCL C
    .language_version:
      - 2
      - 0
    .max_flat_workgroup_size: 1024
    .name:           _ZL30rocblas_trmm_outofplace_kernelIdLi32ELi2ELb1ELb0ELb0ELb0EdKddEv17rocblas_diagonal_iiT6_lPT7_lllS4_lllPT8_llli
    .private_segment_fixed_size: 0
    .sgpr_count:     63
    .sgpr_spill_count: 0
    .symbol:         _ZL30rocblas_trmm_outofplace_kernelIdLi32ELi2ELb1ELb0ELb0ELb0EdKddEv17rocblas_diagonal_iiT6_lPT7_lllS4_lllPT8_llli.kd
    .uniform_work_group_size: 1
    .uses_dynamic_stack: false
    .vgpr_count:     86
    .vgpr_spill_count: 0
    .wavefront_size: 64
  - .agpr_count:     0
    .args:
      - .offset:         0
        .size:           4
        .value_kind:     by_value
      - .offset:         4
        .size:           4
        .value_kind:     by_value
      - .offset:         8
        .size:           4
        .value_kind:     by_value
      - .address_space:  global
        .offset:         16
        .size:           8
        .value_kind:     global_buffer
      - .offset:         24
        .size:           8
        .value_kind:     by_value
      - .address_space:  global
        .offset:         32
        .size:           8
        .value_kind:     global_buffer
      - .offset:         40
        .size:           8
        .value_kind:     by_value
      - .offset:         48
        .size:           8
        .value_kind:     by_value
      - .offset:         56
        .size:           8
        .value_kind:     by_value
      - .address_space:  global
        .offset:         64
        .size:           8
        .value_kind:     global_buffer
      - .offset:         72
        .size:           8
        .value_kind:     by_value
      - .offset:         80
        .size:           8
        .value_kind:     by_value
      - .offset:         88
        .size:           8
        .value_kind:     by_value
      - .address_space:  global
        .offset:         96
        .size:           8
        .value_kind:     global_buffer
      - .offset:         104
        .size:           8
        .value_kind:     by_value
      - .offset:         112
        .size:           8
        .value_kind:     by_value
      - .offset:         120
        .size:           8
        .value_kind:     by_value
      - .offset:         128
        .size:           4
        .value_kind:     by_value
      - .offset:         136
        .size:           4
        .value_kind:     hidden_block_count_x
      - .offset:         140
        .size:           4
        .value_kind:     hidden_block_count_y
      - .offset:         144
        .size:           4
        .value_kind:     hidden_block_count_z
      - .offset:         148
        .size:           2
        .value_kind:     hidden_group_size_x
      - .offset:         150
        .size:           2
        .value_kind:     hidden_group_size_y
      - .offset:         152
        .size:           2
        .value_kind:     hidden_group_size_z
      - .offset:         154
        .size:           2
        .value_kind:     hidden_remainder_x
      - .offset:         156
        .size:           2
        .value_kind:     hidden_remainder_y
      - .offset:         158
        .size:           2
        .value_kind:     hidden_remainder_z
      - .offset:         176
        .size:           8
        .value_kind:     hidden_global_offset_x
      - .offset:         184
        .size:           8
        .value_kind:     hidden_global_offset_y
      - .offset:         192
        .size:           8
        .value_kind:     hidden_global_offset_z
      - .offset:         200
        .size:           2
        .value_kind:     hidden_grid_dims
    .group_segment_fixed_size: 16384
    .kernarg_segment_align: 8
    .kernarg_segment_size: 392
    .language:       OpenCL C
    .language_version:
      - 2
      - 0
    .max_flat_workgroup_size: 1024
    .name:           _ZL30rocblas_trmm_outofplace_kernelIdLi32ELi2ELb1ELb1ELb0ELb0EPKdS0_dEv17rocblas_diagonal_iiT6_lPT7_lllS5_lllPT8_llli
    .private_segment_fixed_size: 0
    .sgpr_count:     66
    .sgpr_spill_count: 0
    .symbol:         _ZL30rocblas_trmm_outofplace_kernelIdLi32ELi2ELb1ELb1ELb0ELb0EPKdS0_dEv17rocblas_diagonal_iiT6_lPT7_lllS5_lllPT8_llli.kd
    .uniform_work_group_size: 1
    .uses_dynamic_stack: false
    .vgpr_count:     82
    .vgpr_spill_count: 0
    .wavefront_size: 64
  - .agpr_count:     0
    .args:
      - .offset:         0
        .size:           4
        .value_kind:     by_value
      - .offset:         4
        .size:           4
        .value_kind:     by_value
      - .offset:         8
        .size:           4
        .value_kind:     by_value
      - .offset:         16
        .size:           8
        .value_kind:     by_value
      - .offset:         24
        .size:           8
        .value_kind:     by_value
      - .address_space:  global
        .offset:         32
        .size:           8
        .value_kind:     global_buffer
      - .offset:         40
        .size:           8
        .value_kind:     by_value
      - .offset:         48
        .size:           8
        .value_kind:     by_value
      - .offset:         56
        .size:           8
        .value_kind:     by_value
      - .address_space:  global
        .offset:         64
        .size:           8
        .value_kind:     global_buffer
      - .offset:         72
        .size:           8
        .value_kind:     by_value
      - .offset:         80
        .size:           8
        .value_kind:     by_value
      - .offset:         88
        .size:           8
        .value_kind:     by_value
      - .address_space:  global
        .offset:         96
        .size:           8
        .value_kind:     global_buffer
      - .offset:         104
        .size:           8
        .value_kind:     by_value
      - .offset:         112
        .size:           8
        .value_kind:     by_value
      - .offset:         120
        .size:           8
        .value_kind:     by_value
      - .offset:         128
        .size:           4
        .value_kind:     by_value
      - .offset:         136
        .size:           4
        .value_kind:     hidden_block_count_x
      - .offset:         140
        .size:           4
        .value_kind:     hidden_block_count_y
      - .offset:         144
        .size:           4
        .value_kind:     hidden_block_count_z
      - .offset:         148
        .size:           2
        .value_kind:     hidden_group_size_x
      - .offset:         150
        .size:           2
        .value_kind:     hidden_group_size_y
      - .offset:         152
        .size:           2
        .value_kind:     hidden_group_size_z
      - .offset:         154
        .size:           2
        .value_kind:     hidden_remainder_x
      - .offset:         156
        .size:           2
        .value_kind:     hidden_remainder_y
      - .offset:         158
        .size:           2
        .value_kind:     hidden_remainder_z
      - .offset:         176
        .size:           8
        .value_kind:     hidden_global_offset_x
      - .offset:         184
        .size:           8
        .value_kind:     hidden_global_offset_y
      - .offset:         192
        .size:           8
        .value_kind:     hidden_global_offset_z
      - .offset:         200
        .size:           2
        .value_kind:     hidden_grid_dims
    .group_segment_fixed_size: 16384
    .kernarg_segment_align: 8
    .kernarg_segment_size: 392
    .language:       OpenCL C
    .language_version:
      - 2
      - 0
    .max_flat_workgroup_size: 1024
    .name:           _ZL30rocblas_trmm_outofplace_kernelIdLi32ELi2ELb1ELb1ELb0ELb0EdKddEv17rocblas_diagonal_iiT6_lPT7_lllS4_lllPT8_llli
    .private_segment_fixed_size: 0
    .sgpr_count:     66
    .sgpr_spill_count: 0
    .symbol:         _ZL30rocblas_trmm_outofplace_kernelIdLi32ELi2ELb1ELb1ELb0ELb0EdKddEv17rocblas_diagonal_iiT6_lPT7_lllS4_lllPT8_llli.kd
    .uniform_work_group_size: 1
    .uses_dynamic_stack: false
    .vgpr_count:     82
    .vgpr_spill_count: 0
    .wavefront_size: 64
  - .agpr_count:     0
    .args:
      - .offset:         0
        .size:           4
        .value_kind:     by_value
      - .offset:         4
        .size:           4
        .value_kind:     by_value
      - .offset:         8
        .size:           4
        .value_kind:     by_value
      - .address_space:  global
        .offset:         16
        .size:           8
        .value_kind:     global_buffer
      - .offset:         24
        .size:           8
        .value_kind:     by_value
      - .address_space:  global
        .offset:         32
        .size:           8
        .value_kind:     global_buffer
      - .offset:         40
        .size:           8
        .value_kind:     by_value
      - .offset:         48
        .size:           8
        .value_kind:     by_value
      - .offset:         56
        .size:           8
        .value_kind:     by_value
      - .address_space:  global
        .offset:         64
        .size:           8
        .value_kind:     global_buffer
      - .offset:         72
        .size:           8
        .value_kind:     by_value
      - .offset:         80
        .size:           8
        .value_kind:     by_value
      - .offset:         88
        .size:           8
        .value_kind:     by_value
      - .address_space:  global
        .offset:         96
        .size:           8
        .value_kind:     global_buffer
      - .offset:         104
        .size:           8
        .value_kind:     by_value
      - .offset:         112
        .size:           8
        .value_kind:     by_value
      - .offset:         120
        .size:           8
        .value_kind:     by_value
      - .offset:         128
        .size:           4
        .value_kind:     by_value
      - .offset:         136
        .size:           4
        .value_kind:     hidden_block_count_x
      - .offset:         140
        .size:           4
        .value_kind:     hidden_block_count_y
      - .offset:         144
        .size:           4
        .value_kind:     hidden_block_count_z
      - .offset:         148
        .size:           2
        .value_kind:     hidden_group_size_x
      - .offset:         150
        .size:           2
        .value_kind:     hidden_group_size_y
      - .offset:         152
        .size:           2
        .value_kind:     hidden_group_size_z
      - .offset:         154
        .size:           2
        .value_kind:     hidden_remainder_x
      - .offset:         156
        .size:           2
        .value_kind:     hidden_remainder_y
      - .offset:         158
        .size:           2
        .value_kind:     hidden_remainder_z
      - .offset:         176
        .size:           8
        .value_kind:     hidden_global_offset_x
      - .offset:         184
        .size:           8
        .value_kind:     hidden_global_offset_y
      - .offset:         192
        .size:           8
        .value_kind:     hidden_global_offset_z
      - .offset:         200
        .size:           2
        .value_kind:     hidden_grid_dims
    .group_segment_fixed_size: 16384
    .kernarg_segment_align: 8
    .kernarg_segment_size: 392
    .language:       OpenCL C
    .language_version:
      - 2
      - 0
    .max_flat_workgroup_size: 1024
    .name:           _ZL30rocblas_trmm_outofplace_kernelIdLi32ELi2ELb1ELb0ELb1ELb0EPKdS0_dEv17rocblas_diagonal_iiT6_lPT7_lllS5_lllPT8_llli
    .private_segment_fixed_size: 0
    .sgpr_count:     62
    .sgpr_spill_count: 0
    .symbol:         _ZL30rocblas_trmm_outofplace_kernelIdLi32ELi2ELb1ELb0ELb1ELb0EPKdS0_dEv17rocblas_diagonal_iiT6_lPT7_lllS5_lllPT8_llli.kd
    .uniform_work_group_size: 1
    .uses_dynamic_stack: false
    .vgpr_count:     80
    .vgpr_spill_count: 0
    .wavefront_size: 64
  - .agpr_count:     0
    .args:
      - .offset:         0
        .size:           4
        .value_kind:     by_value
      - .offset:         4
        .size:           4
        .value_kind:     by_value
      - .offset:         8
        .size:           4
        .value_kind:     by_value
      - .offset:         16
        .size:           8
        .value_kind:     by_value
      - .offset:         24
        .size:           8
        .value_kind:     by_value
      - .address_space:  global
        .offset:         32
        .size:           8
        .value_kind:     global_buffer
      - .offset:         40
        .size:           8
        .value_kind:     by_value
      - .offset:         48
        .size:           8
        .value_kind:     by_value
      - .offset:         56
        .size:           8
        .value_kind:     by_value
      - .address_space:  global
        .offset:         64
        .size:           8
        .value_kind:     global_buffer
      - .offset:         72
        .size:           8
        .value_kind:     by_value
      - .offset:         80
        .size:           8
        .value_kind:     by_value
      - .offset:         88
        .size:           8
        .value_kind:     by_value
      - .address_space:  global
        .offset:         96
        .size:           8
        .value_kind:     global_buffer
      - .offset:         104
        .size:           8
        .value_kind:     by_value
      - .offset:         112
        .size:           8
        .value_kind:     by_value
      - .offset:         120
        .size:           8
        .value_kind:     by_value
      - .offset:         128
        .size:           4
        .value_kind:     by_value
      - .offset:         136
        .size:           4
        .value_kind:     hidden_block_count_x
      - .offset:         140
        .size:           4
        .value_kind:     hidden_block_count_y
      - .offset:         144
        .size:           4
        .value_kind:     hidden_block_count_z
      - .offset:         148
        .size:           2
        .value_kind:     hidden_group_size_x
      - .offset:         150
        .size:           2
        .value_kind:     hidden_group_size_y
      - .offset:         152
        .size:           2
        .value_kind:     hidden_group_size_z
      - .offset:         154
        .size:           2
        .value_kind:     hidden_remainder_x
      - .offset:         156
        .size:           2
        .value_kind:     hidden_remainder_y
      - .offset:         158
        .size:           2
        .value_kind:     hidden_remainder_z
      - .offset:         176
        .size:           8
        .value_kind:     hidden_global_offset_x
      - .offset:         184
        .size:           8
        .value_kind:     hidden_global_offset_y
      - .offset:         192
        .size:           8
        .value_kind:     hidden_global_offset_z
      - .offset:         200
        .size:           2
        .value_kind:     hidden_grid_dims
    .group_segment_fixed_size: 16384
    .kernarg_segment_align: 8
    .kernarg_segment_size: 392
    .language:       OpenCL C
    .language_version:
      - 2
      - 0
    .max_flat_workgroup_size: 1024
    .name:           _ZL30rocblas_trmm_outofplace_kernelIdLi32ELi2ELb1ELb0ELb1ELb0EdKddEv17rocblas_diagonal_iiT6_lPT7_lllS4_lllPT8_llli
    .private_segment_fixed_size: 0
    .sgpr_count:     61
    .sgpr_spill_count: 0
    .symbol:         _ZL30rocblas_trmm_outofplace_kernelIdLi32ELi2ELb1ELb0ELb1ELb0EdKddEv17rocblas_diagonal_iiT6_lPT7_lllS4_lllPT8_llli.kd
    .uniform_work_group_size: 1
    .uses_dynamic_stack: false
    .vgpr_count:     76
    .vgpr_spill_count: 0
    .wavefront_size: 64
  - .agpr_count:     0
    .args:
      - .offset:         0
        .size:           4
        .value_kind:     by_value
      - .offset:         4
        .size:           4
        .value_kind:     by_value
      - .offset:         8
        .size:           4
        .value_kind:     by_value
      - .address_space:  global
        .offset:         16
        .size:           8
        .value_kind:     global_buffer
      - .offset:         24
        .size:           8
        .value_kind:     by_value
      - .address_space:  global
        .offset:         32
        .size:           8
        .value_kind:     global_buffer
      - .offset:         40
        .size:           8
        .value_kind:     by_value
      - .offset:         48
        .size:           8
        .value_kind:     by_value
      - .offset:         56
        .size:           8
        .value_kind:     by_value
      - .address_space:  global
        .offset:         64
        .size:           8
        .value_kind:     global_buffer
      - .offset:         72
        .size:           8
        .value_kind:     by_value
      - .offset:         80
        .size:           8
        .value_kind:     by_value
      - .offset:         88
        .size:           8
        .value_kind:     by_value
      - .address_space:  global
        .offset:         96
        .size:           8
        .value_kind:     global_buffer
      - .offset:         104
        .size:           8
        .value_kind:     by_value
      - .offset:         112
        .size:           8
        .value_kind:     by_value
      - .offset:         120
        .size:           8
        .value_kind:     by_value
      - .offset:         128
        .size:           4
        .value_kind:     by_value
      - .offset:         136
        .size:           4
        .value_kind:     hidden_block_count_x
      - .offset:         140
        .size:           4
        .value_kind:     hidden_block_count_y
      - .offset:         144
        .size:           4
        .value_kind:     hidden_block_count_z
      - .offset:         148
        .size:           2
        .value_kind:     hidden_group_size_x
      - .offset:         150
        .size:           2
        .value_kind:     hidden_group_size_y
      - .offset:         152
        .size:           2
        .value_kind:     hidden_group_size_z
      - .offset:         154
        .size:           2
        .value_kind:     hidden_remainder_x
      - .offset:         156
        .size:           2
        .value_kind:     hidden_remainder_y
      - .offset:         158
        .size:           2
        .value_kind:     hidden_remainder_z
      - .offset:         176
        .size:           8
        .value_kind:     hidden_global_offset_x
      - .offset:         184
        .size:           8
        .value_kind:     hidden_global_offset_y
      - .offset:         192
        .size:           8
        .value_kind:     hidden_global_offset_z
      - .offset:         200
        .size:           2
        .value_kind:     hidden_grid_dims
    .group_segment_fixed_size: 16384
    .kernarg_segment_align: 8
    .kernarg_segment_size: 392
    .language:       OpenCL C
    .language_version:
      - 2
      - 0
    .max_flat_workgroup_size: 1024
    .name:           _ZL30rocblas_trmm_outofplace_kernelIdLi32ELi2ELb1ELb1ELb1ELb0EPKdS0_dEv17rocblas_diagonal_iiT6_lPT7_lllS5_lllPT8_llli
    .private_segment_fixed_size: 0
    .sgpr_count:     62
    .sgpr_spill_count: 0
    .symbol:         _ZL30rocblas_trmm_outofplace_kernelIdLi32ELi2ELb1ELb1ELb1ELb0EPKdS0_dEv17rocblas_diagonal_iiT6_lPT7_lllS5_lllPT8_llli.kd
    .uniform_work_group_size: 1
    .uses_dynamic_stack: false
    .vgpr_count:     82
    .vgpr_spill_count: 0
    .wavefront_size: 64
  - .agpr_count:     0
    .args:
      - .offset:         0
        .size:           4
        .value_kind:     by_value
      - .offset:         4
        .size:           4
        .value_kind:     by_value
      - .offset:         8
        .size:           4
        .value_kind:     by_value
      - .offset:         16
        .size:           8
        .value_kind:     by_value
      - .offset:         24
        .size:           8
        .value_kind:     by_value
      - .address_space:  global
        .offset:         32
        .size:           8
        .value_kind:     global_buffer
      - .offset:         40
        .size:           8
        .value_kind:     by_value
      - .offset:         48
        .size:           8
        .value_kind:     by_value
      - .offset:         56
        .size:           8
        .value_kind:     by_value
      - .address_space:  global
        .offset:         64
        .size:           8
        .value_kind:     global_buffer
      - .offset:         72
        .size:           8
        .value_kind:     by_value
      - .offset:         80
        .size:           8
        .value_kind:     by_value
      - .offset:         88
        .size:           8
        .value_kind:     by_value
      - .address_space:  global
        .offset:         96
        .size:           8
        .value_kind:     global_buffer
      - .offset:         104
        .size:           8
        .value_kind:     by_value
      - .offset:         112
        .size:           8
        .value_kind:     by_value
      - .offset:         120
        .size:           8
        .value_kind:     by_value
      - .offset:         128
        .size:           4
        .value_kind:     by_value
      - .offset:         136
        .size:           4
        .value_kind:     hidden_block_count_x
      - .offset:         140
        .size:           4
        .value_kind:     hidden_block_count_y
      - .offset:         144
        .size:           4
        .value_kind:     hidden_block_count_z
      - .offset:         148
        .size:           2
        .value_kind:     hidden_group_size_x
      - .offset:         150
        .size:           2
        .value_kind:     hidden_group_size_y
      - .offset:         152
        .size:           2
        .value_kind:     hidden_group_size_z
      - .offset:         154
        .size:           2
        .value_kind:     hidden_remainder_x
      - .offset:         156
        .size:           2
        .value_kind:     hidden_remainder_y
      - .offset:         158
        .size:           2
        .value_kind:     hidden_remainder_z
      - .offset:         176
        .size:           8
        .value_kind:     hidden_global_offset_x
      - .offset:         184
        .size:           8
        .value_kind:     hidden_global_offset_y
      - .offset:         192
        .size:           8
        .value_kind:     hidden_global_offset_z
      - .offset:         200
        .size:           2
        .value_kind:     hidden_grid_dims
    .group_segment_fixed_size: 16384
    .kernarg_segment_align: 8
    .kernarg_segment_size: 392
    .language:       OpenCL C
    .language_version:
      - 2
      - 0
    .max_flat_workgroup_size: 1024
    .name:           _ZL30rocblas_trmm_outofplace_kernelIdLi32ELi2ELb1ELb1ELb1ELb0EdKddEv17rocblas_diagonal_iiT6_lPT7_lllS4_lllPT8_llli
    .private_segment_fixed_size: 0
    .sgpr_count:     61
    .sgpr_spill_count: 0
    .symbol:         _ZL30rocblas_trmm_outofplace_kernelIdLi32ELi2ELb1ELb1ELb1ELb0EdKddEv17rocblas_diagonal_iiT6_lPT7_lllS4_lllPT8_llli.kd
    .uniform_work_group_size: 1
    .uses_dynamic_stack: false
    .vgpr_count:     82
    .vgpr_spill_count: 0
    .wavefront_size: 64
  - .agpr_count:     0
    .args:
      - .offset:         0
        .size:           4
        .value_kind:     by_value
      - .offset:         4
        .size:           4
        .value_kind:     by_value
      - .offset:         8
        .size:           4
        .value_kind:     by_value
      - .address_space:  global
        .offset:         16
        .size:           8
        .value_kind:     global_buffer
      - .offset:         24
        .size:           8
        .value_kind:     by_value
      - .address_space:  global
        .offset:         32
        .size:           8
        .value_kind:     global_buffer
      - .offset:         40
        .size:           8
        .value_kind:     by_value
      - .offset:         48
        .size:           8
        .value_kind:     by_value
      - .offset:         56
        .size:           8
        .value_kind:     by_value
      - .address_space:  global
        .offset:         64
        .size:           8
        .value_kind:     global_buffer
      - .offset:         72
        .size:           8
        .value_kind:     by_value
      - .offset:         80
        .size:           8
        .value_kind:     by_value
      - .offset:         88
        .size:           8
        .value_kind:     by_value
      - .address_space:  global
        .offset:         96
        .size:           8
        .value_kind:     global_buffer
      - .offset:         104
        .size:           8
        .value_kind:     by_value
      - .offset:         112
        .size:           8
        .value_kind:     by_value
      - .offset:         120
        .size:           8
        .value_kind:     by_value
      - .offset:         128
        .size:           4
        .value_kind:     by_value
      - .offset:         136
        .size:           4
        .value_kind:     hidden_block_count_x
      - .offset:         140
        .size:           4
        .value_kind:     hidden_block_count_y
      - .offset:         144
        .size:           4
        .value_kind:     hidden_block_count_z
      - .offset:         148
        .size:           2
        .value_kind:     hidden_group_size_x
      - .offset:         150
        .size:           2
        .value_kind:     hidden_group_size_y
      - .offset:         152
        .size:           2
        .value_kind:     hidden_group_size_z
      - .offset:         154
        .size:           2
        .value_kind:     hidden_remainder_x
      - .offset:         156
        .size:           2
        .value_kind:     hidden_remainder_y
      - .offset:         158
        .size:           2
        .value_kind:     hidden_remainder_z
      - .offset:         176
        .size:           8
        .value_kind:     hidden_global_offset_x
      - .offset:         184
        .size:           8
        .value_kind:     hidden_global_offset_y
      - .offset:         192
        .size:           8
        .value_kind:     hidden_global_offset_z
      - .offset:         200
        .size:           2
        .value_kind:     hidden_grid_dims
    .group_segment_fixed_size: 16384
    .kernarg_segment_align: 8
    .kernarg_segment_size: 392
    .language:       OpenCL C
    .language_version:
      - 2
      - 0
    .max_flat_workgroup_size: 1024
    .name:           _ZL30rocblas_trmm_outofplace_kernelIdLi32ELi2ELb1ELb0ELb1ELb1EPKdS0_dEv17rocblas_diagonal_iiT6_lPT7_lllS5_lllPT8_llli
    .private_segment_fixed_size: 0
    .sgpr_count:     62
    .sgpr_spill_count: 0
    .symbol:         _ZL30rocblas_trmm_outofplace_kernelIdLi32ELi2ELb1ELb0ELb1ELb1EPKdS0_dEv17rocblas_diagonal_iiT6_lPT7_lllS5_lllPT8_llli.kd
    .uniform_work_group_size: 1
    .uses_dynamic_stack: false
    .vgpr_count:     80
    .vgpr_spill_count: 0
    .wavefront_size: 64
  - .agpr_count:     0
    .args:
      - .offset:         0
        .size:           4
        .value_kind:     by_value
      - .offset:         4
        .size:           4
        .value_kind:     by_value
      - .offset:         8
        .size:           4
        .value_kind:     by_value
      - .offset:         16
        .size:           8
        .value_kind:     by_value
      - .offset:         24
        .size:           8
        .value_kind:     by_value
      - .address_space:  global
        .offset:         32
        .size:           8
        .value_kind:     global_buffer
      - .offset:         40
        .size:           8
        .value_kind:     by_value
      - .offset:         48
        .size:           8
        .value_kind:     by_value
      - .offset:         56
        .size:           8
        .value_kind:     by_value
      - .address_space:  global
        .offset:         64
        .size:           8
        .value_kind:     global_buffer
      - .offset:         72
        .size:           8
        .value_kind:     by_value
      - .offset:         80
        .size:           8
        .value_kind:     by_value
      - .offset:         88
        .size:           8
        .value_kind:     by_value
      - .address_space:  global
        .offset:         96
        .size:           8
        .value_kind:     global_buffer
      - .offset:         104
        .size:           8
        .value_kind:     by_value
      - .offset:         112
        .size:           8
        .value_kind:     by_value
      - .offset:         120
        .size:           8
        .value_kind:     by_value
      - .offset:         128
        .size:           4
        .value_kind:     by_value
      - .offset:         136
        .size:           4
        .value_kind:     hidden_block_count_x
      - .offset:         140
        .size:           4
        .value_kind:     hidden_block_count_y
      - .offset:         144
        .size:           4
        .value_kind:     hidden_block_count_z
      - .offset:         148
        .size:           2
        .value_kind:     hidden_group_size_x
      - .offset:         150
        .size:           2
        .value_kind:     hidden_group_size_y
      - .offset:         152
        .size:           2
        .value_kind:     hidden_group_size_z
      - .offset:         154
        .size:           2
        .value_kind:     hidden_remainder_x
      - .offset:         156
        .size:           2
        .value_kind:     hidden_remainder_y
      - .offset:         158
        .size:           2
        .value_kind:     hidden_remainder_z
      - .offset:         176
        .size:           8
        .value_kind:     hidden_global_offset_x
      - .offset:         184
        .size:           8
        .value_kind:     hidden_global_offset_y
      - .offset:         192
        .size:           8
        .value_kind:     hidden_global_offset_z
      - .offset:         200
        .size:           2
        .value_kind:     hidden_grid_dims
    .group_segment_fixed_size: 16384
    .kernarg_segment_align: 8
    .kernarg_segment_size: 392
    .language:       OpenCL C
    .language_version:
      - 2
      - 0
    .max_flat_workgroup_size: 1024
    .name:           _ZL30rocblas_trmm_outofplace_kernelIdLi32ELi2ELb1ELb0ELb1ELb1EdKddEv17rocblas_diagonal_iiT6_lPT7_lllS4_lllPT8_llli
    .private_segment_fixed_size: 0
    .sgpr_count:     61
    .sgpr_spill_count: 0
    .symbol:         _ZL30rocblas_trmm_outofplace_kernelIdLi32ELi2ELb1ELb0ELb1ELb1EdKddEv17rocblas_diagonal_iiT6_lPT7_lllS4_lllPT8_llli.kd
    .uniform_work_group_size: 1
    .uses_dynamic_stack: false
    .vgpr_count:     76
    .vgpr_spill_count: 0
    .wavefront_size: 64
  - .agpr_count:     0
    .args:
      - .offset:         0
        .size:           4
        .value_kind:     by_value
      - .offset:         4
        .size:           4
        .value_kind:     by_value
      - .offset:         8
        .size:           4
        .value_kind:     by_value
      - .address_space:  global
        .offset:         16
        .size:           8
        .value_kind:     global_buffer
      - .offset:         24
        .size:           8
        .value_kind:     by_value
      - .address_space:  global
        .offset:         32
        .size:           8
        .value_kind:     global_buffer
      - .offset:         40
        .size:           8
        .value_kind:     by_value
      - .offset:         48
        .size:           8
        .value_kind:     by_value
      - .offset:         56
        .size:           8
        .value_kind:     by_value
      - .address_space:  global
        .offset:         64
        .size:           8
        .value_kind:     global_buffer
      - .offset:         72
        .size:           8
        .value_kind:     by_value
      - .offset:         80
        .size:           8
        .value_kind:     by_value
      - .offset:         88
        .size:           8
        .value_kind:     by_value
      - .address_space:  global
        .offset:         96
        .size:           8
        .value_kind:     global_buffer
      - .offset:         104
        .size:           8
        .value_kind:     by_value
      - .offset:         112
        .size:           8
        .value_kind:     by_value
      - .offset:         120
        .size:           8
        .value_kind:     by_value
      - .offset:         128
        .size:           4
        .value_kind:     by_value
      - .offset:         136
        .size:           4
        .value_kind:     hidden_block_count_x
      - .offset:         140
        .size:           4
        .value_kind:     hidden_block_count_y
      - .offset:         144
        .size:           4
        .value_kind:     hidden_block_count_z
      - .offset:         148
        .size:           2
        .value_kind:     hidden_group_size_x
      - .offset:         150
        .size:           2
        .value_kind:     hidden_group_size_y
      - .offset:         152
        .size:           2
        .value_kind:     hidden_group_size_z
      - .offset:         154
        .size:           2
        .value_kind:     hidden_remainder_x
      - .offset:         156
        .size:           2
        .value_kind:     hidden_remainder_y
      - .offset:         158
        .size:           2
        .value_kind:     hidden_remainder_z
      - .offset:         176
        .size:           8
        .value_kind:     hidden_global_offset_x
      - .offset:         184
        .size:           8
        .value_kind:     hidden_global_offset_y
      - .offset:         192
        .size:           8
        .value_kind:     hidden_global_offset_z
      - .offset:         200
        .size:           2
        .value_kind:     hidden_grid_dims
    .group_segment_fixed_size: 16384
    .kernarg_segment_align: 8
    .kernarg_segment_size: 392
    .language:       OpenCL C
    .language_version:
      - 2
      - 0
    .max_flat_workgroup_size: 1024
    .name:           _ZL30rocblas_trmm_outofplace_kernelIdLi32ELi2ELb1ELb1ELb1ELb1EPKdS0_dEv17rocblas_diagonal_iiT6_lPT7_lllS5_lllPT8_llli
    .private_segment_fixed_size: 0
    .sgpr_count:     62
    .sgpr_spill_count: 0
    .symbol:         _ZL30rocblas_trmm_outofplace_kernelIdLi32ELi2ELb1ELb1ELb1ELb1EPKdS0_dEv17rocblas_diagonal_iiT6_lPT7_lllS5_lllPT8_llli.kd
    .uniform_work_group_size: 1
    .uses_dynamic_stack: false
    .vgpr_count:     82
    .vgpr_spill_count: 0
    .wavefront_size: 64
  - .agpr_count:     0
    .args:
      - .offset:         0
        .size:           4
        .value_kind:     by_value
      - .offset:         4
        .size:           4
        .value_kind:     by_value
      - .offset:         8
        .size:           4
        .value_kind:     by_value
      - .offset:         16
        .size:           8
        .value_kind:     by_value
      - .offset:         24
        .size:           8
        .value_kind:     by_value
      - .address_space:  global
        .offset:         32
        .size:           8
        .value_kind:     global_buffer
      - .offset:         40
        .size:           8
        .value_kind:     by_value
      - .offset:         48
        .size:           8
        .value_kind:     by_value
      - .offset:         56
        .size:           8
        .value_kind:     by_value
      - .address_space:  global
        .offset:         64
        .size:           8
        .value_kind:     global_buffer
      - .offset:         72
        .size:           8
        .value_kind:     by_value
      - .offset:         80
        .size:           8
        .value_kind:     by_value
      - .offset:         88
        .size:           8
        .value_kind:     by_value
      - .address_space:  global
        .offset:         96
        .size:           8
        .value_kind:     global_buffer
      - .offset:         104
        .size:           8
        .value_kind:     by_value
      - .offset:         112
        .size:           8
        .value_kind:     by_value
      - .offset:         120
        .size:           8
        .value_kind:     by_value
      - .offset:         128
        .size:           4
        .value_kind:     by_value
      - .offset:         136
        .size:           4
        .value_kind:     hidden_block_count_x
      - .offset:         140
        .size:           4
        .value_kind:     hidden_block_count_y
      - .offset:         144
        .size:           4
        .value_kind:     hidden_block_count_z
      - .offset:         148
        .size:           2
        .value_kind:     hidden_group_size_x
      - .offset:         150
        .size:           2
        .value_kind:     hidden_group_size_y
      - .offset:         152
        .size:           2
        .value_kind:     hidden_group_size_z
      - .offset:         154
        .size:           2
        .value_kind:     hidden_remainder_x
      - .offset:         156
        .size:           2
        .value_kind:     hidden_remainder_y
      - .offset:         158
        .size:           2
        .value_kind:     hidden_remainder_z
      - .offset:         176
        .size:           8
        .value_kind:     hidden_global_offset_x
      - .offset:         184
        .size:           8
        .value_kind:     hidden_global_offset_y
      - .offset:         192
        .size:           8
        .value_kind:     hidden_global_offset_z
      - .offset:         200
        .size:           2
        .value_kind:     hidden_grid_dims
    .group_segment_fixed_size: 16384
    .kernarg_segment_align: 8
    .kernarg_segment_size: 392
    .language:       OpenCL C
    .language_version:
      - 2
      - 0
    .max_flat_workgroup_size: 1024
    .name:           _ZL30rocblas_trmm_outofplace_kernelIdLi32ELi2ELb1ELb1ELb1ELb1EdKddEv17rocblas_diagonal_iiT6_lPT7_lllS4_lllPT8_llli
    .private_segment_fixed_size: 0
    .sgpr_count:     61
    .sgpr_spill_count: 0
    .symbol:         _ZL30rocblas_trmm_outofplace_kernelIdLi32ELi2ELb1ELb1ELb1ELb1EdKddEv17rocblas_diagonal_iiT6_lPT7_lllS4_lllPT8_llli.kd
    .uniform_work_group_size: 1
    .uses_dynamic_stack: false
    .vgpr_count:     82
    .vgpr_spill_count: 0
    .wavefront_size: 64
  - .agpr_count:     0
    .args:
      - .offset:         0
        .size:           4
        .value_kind:     by_value
      - .offset:         4
        .size:           4
        .value_kind:     by_value
      - .offset:         8
        .size:           4
        .value_kind:     by_value
      - .address_space:  global
        .offset:         16
        .size:           8
        .value_kind:     global_buffer
      - .offset:         24
        .size:           8
        .value_kind:     by_value
      - .address_space:  global
        .offset:         32
        .size:           8
        .value_kind:     global_buffer
      - .offset:         40
        .size:           8
        .value_kind:     by_value
      - .offset:         48
        .size:           8
        .value_kind:     by_value
      - .offset:         56
        .size:           8
        .value_kind:     by_value
      - .address_space:  global
        .offset:         64
        .size:           8
        .value_kind:     global_buffer
      - .offset:         72
        .size:           8
        .value_kind:     by_value
      - .offset:         80
        .size:           8
        .value_kind:     by_value
      - .offset:         88
        .size:           8
        .value_kind:     by_value
      - .address_space:  global
        .offset:         96
        .size:           8
        .value_kind:     global_buffer
      - .offset:         104
        .size:           8
        .value_kind:     by_value
      - .offset:         112
        .size:           8
        .value_kind:     by_value
      - .offset:         120
        .size:           8
        .value_kind:     by_value
      - .offset:         128
        .size:           4
        .value_kind:     by_value
      - .offset:         136
        .size:           4
        .value_kind:     hidden_block_count_x
      - .offset:         140
        .size:           4
        .value_kind:     hidden_block_count_y
      - .offset:         144
        .size:           4
        .value_kind:     hidden_block_count_z
      - .offset:         148
        .size:           2
        .value_kind:     hidden_group_size_x
      - .offset:         150
        .size:           2
        .value_kind:     hidden_group_size_y
      - .offset:         152
        .size:           2
        .value_kind:     hidden_group_size_z
      - .offset:         154
        .size:           2
        .value_kind:     hidden_remainder_x
      - .offset:         156
        .size:           2
        .value_kind:     hidden_remainder_y
      - .offset:         158
        .size:           2
        .value_kind:     hidden_remainder_z
      - .offset:         176
        .size:           8
        .value_kind:     hidden_global_offset_x
      - .offset:         184
        .size:           8
        .value_kind:     hidden_global_offset_y
      - .offset:         192
        .size:           8
        .value_kind:     hidden_global_offset_z
      - .offset:         200
        .size:           2
        .value_kind:     hidden_grid_dims
    .group_segment_fixed_size: 16384
    .kernarg_segment_align: 8
    .kernarg_segment_size: 392
    .language:       OpenCL C
    .language_version:
      - 2
      - 0
    .max_flat_workgroup_size: 1024
    .name:           _ZL30rocblas_trmm_outofplace_kernelIdLi32ELi2ELb0ELb0ELb0ELb0EPKdS0_dEv17rocblas_diagonal_iiT6_lPT7_lllS5_lllPT8_llli
    .private_segment_fixed_size: 0
    .sgpr_count:     68
    .sgpr_spill_count: 0
    .symbol:         _ZL30rocblas_trmm_outofplace_kernelIdLi32ELi2ELb0ELb0ELb0ELb0EPKdS0_dEv17rocblas_diagonal_iiT6_lPT7_lllS5_lllPT8_llli.kd
    .uniform_work_group_size: 1
    .uses_dynamic_stack: false
    .vgpr_count:     82
    .vgpr_spill_count: 0
    .wavefront_size: 64
  - .agpr_count:     0
    .args:
      - .offset:         0
        .size:           4
        .value_kind:     by_value
      - .offset:         4
        .size:           4
        .value_kind:     by_value
      - .offset:         8
        .size:           4
        .value_kind:     by_value
      - .offset:         16
        .size:           8
        .value_kind:     by_value
      - .offset:         24
        .size:           8
        .value_kind:     by_value
      - .address_space:  global
        .offset:         32
        .size:           8
        .value_kind:     global_buffer
      - .offset:         40
        .size:           8
        .value_kind:     by_value
      - .offset:         48
        .size:           8
        .value_kind:     by_value
      - .offset:         56
        .size:           8
        .value_kind:     by_value
      - .address_space:  global
        .offset:         64
        .size:           8
        .value_kind:     global_buffer
      - .offset:         72
        .size:           8
        .value_kind:     by_value
      - .offset:         80
        .size:           8
        .value_kind:     by_value
      - .offset:         88
        .size:           8
        .value_kind:     by_value
      - .address_space:  global
        .offset:         96
        .size:           8
        .value_kind:     global_buffer
      - .offset:         104
        .size:           8
        .value_kind:     by_value
      - .offset:         112
        .size:           8
        .value_kind:     by_value
      - .offset:         120
        .size:           8
        .value_kind:     by_value
      - .offset:         128
        .size:           4
        .value_kind:     by_value
      - .offset:         136
        .size:           4
        .value_kind:     hidden_block_count_x
      - .offset:         140
        .size:           4
        .value_kind:     hidden_block_count_y
      - .offset:         144
        .size:           4
        .value_kind:     hidden_block_count_z
      - .offset:         148
        .size:           2
        .value_kind:     hidden_group_size_x
      - .offset:         150
        .size:           2
        .value_kind:     hidden_group_size_y
      - .offset:         152
        .size:           2
        .value_kind:     hidden_group_size_z
      - .offset:         154
        .size:           2
        .value_kind:     hidden_remainder_x
      - .offset:         156
        .size:           2
        .value_kind:     hidden_remainder_y
      - .offset:         158
        .size:           2
        .value_kind:     hidden_remainder_z
      - .offset:         176
        .size:           8
        .value_kind:     hidden_global_offset_x
      - .offset:         184
        .size:           8
        .value_kind:     hidden_global_offset_y
      - .offset:         192
        .size:           8
        .value_kind:     hidden_global_offset_z
      - .offset:         200
        .size:           2
        .value_kind:     hidden_grid_dims
    .group_segment_fixed_size: 16384
    .kernarg_segment_align: 8
    .kernarg_segment_size: 392
    .language:       OpenCL C
    .language_version:
      - 2
      - 0
    .max_flat_workgroup_size: 1024
    .name:           _ZL30rocblas_trmm_outofplace_kernelIdLi32ELi2ELb0ELb0ELb0ELb0EdKddEv17rocblas_diagonal_iiT6_lPT7_lllS4_lllPT8_llli
    .private_segment_fixed_size: 0
    .sgpr_count:     68
    .sgpr_spill_count: 0
    .symbol:         _ZL30rocblas_trmm_outofplace_kernelIdLi32ELi2ELb0ELb0ELb0ELb0EdKddEv17rocblas_diagonal_iiT6_lPT7_lllS4_lllPT8_llli.kd
    .uniform_work_group_size: 1
    .uses_dynamic_stack: false
    .vgpr_count:     82
    .vgpr_spill_count: 0
    .wavefront_size: 64
  - .agpr_count:     0
    .args:
      - .offset:         0
        .size:           4
        .value_kind:     by_value
      - .offset:         4
        .size:           4
        .value_kind:     by_value
      - .offset:         8
        .size:           4
        .value_kind:     by_value
      - .address_space:  global
        .offset:         16
        .size:           8
        .value_kind:     global_buffer
      - .offset:         24
        .size:           8
        .value_kind:     by_value
      - .address_space:  global
        .offset:         32
        .size:           8
        .value_kind:     global_buffer
      - .offset:         40
        .size:           8
        .value_kind:     by_value
      - .offset:         48
        .size:           8
        .value_kind:     by_value
      - .offset:         56
        .size:           8
        .value_kind:     by_value
      - .address_space:  global
        .offset:         64
        .size:           8
        .value_kind:     global_buffer
      - .offset:         72
        .size:           8
        .value_kind:     by_value
      - .offset:         80
        .size:           8
        .value_kind:     by_value
      - .offset:         88
        .size:           8
        .value_kind:     by_value
      - .address_space:  global
        .offset:         96
        .size:           8
        .value_kind:     global_buffer
      - .offset:         104
        .size:           8
        .value_kind:     by_value
      - .offset:         112
        .size:           8
        .value_kind:     by_value
      - .offset:         120
        .size:           8
        .value_kind:     by_value
      - .offset:         128
        .size:           4
        .value_kind:     by_value
      - .offset:         136
        .size:           4
        .value_kind:     hidden_block_count_x
      - .offset:         140
        .size:           4
        .value_kind:     hidden_block_count_y
      - .offset:         144
        .size:           4
        .value_kind:     hidden_block_count_z
      - .offset:         148
        .size:           2
        .value_kind:     hidden_group_size_x
      - .offset:         150
        .size:           2
        .value_kind:     hidden_group_size_y
      - .offset:         152
        .size:           2
        .value_kind:     hidden_group_size_z
      - .offset:         154
        .size:           2
        .value_kind:     hidden_remainder_x
      - .offset:         156
        .size:           2
        .value_kind:     hidden_remainder_y
      - .offset:         158
        .size:           2
        .value_kind:     hidden_remainder_z
      - .offset:         176
        .size:           8
        .value_kind:     hidden_global_offset_x
      - .offset:         184
        .size:           8
        .value_kind:     hidden_global_offset_y
      - .offset:         192
        .size:           8
        .value_kind:     hidden_global_offset_z
      - .offset:         200
        .size:           2
        .value_kind:     hidden_grid_dims
    .group_segment_fixed_size: 16384
    .kernarg_segment_align: 8
    .kernarg_segment_size: 392
    .language:       OpenCL C
    .language_version:
      - 2
      - 0
    .max_flat_workgroup_size: 1024
    .name:           _ZL30rocblas_trmm_outofplace_kernelIdLi32ELi2ELb0ELb1ELb0ELb0EPKdS0_dEv17rocblas_diagonal_iiT6_lPT7_lllS5_lllPT8_llli
    .private_segment_fixed_size: 0
    .sgpr_count:     60
    .sgpr_spill_count: 0
    .symbol:         _ZL30rocblas_trmm_outofplace_kernelIdLi32ELi2ELb0ELb1ELb0ELb0EPKdS0_dEv17rocblas_diagonal_iiT6_lPT7_lllS5_lllPT8_llli.kd
    .uniform_work_group_size: 1
    .uses_dynamic_stack: false
    .vgpr_count:     86
    .vgpr_spill_count: 0
    .wavefront_size: 64
  - .agpr_count:     0
    .args:
      - .offset:         0
        .size:           4
        .value_kind:     by_value
      - .offset:         4
        .size:           4
        .value_kind:     by_value
      - .offset:         8
        .size:           4
        .value_kind:     by_value
      - .offset:         16
        .size:           8
        .value_kind:     by_value
      - .offset:         24
        .size:           8
        .value_kind:     by_value
      - .address_space:  global
        .offset:         32
        .size:           8
        .value_kind:     global_buffer
      - .offset:         40
        .size:           8
        .value_kind:     by_value
      - .offset:         48
        .size:           8
        .value_kind:     by_value
      - .offset:         56
        .size:           8
        .value_kind:     by_value
      - .address_space:  global
        .offset:         64
        .size:           8
        .value_kind:     global_buffer
      - .offset:         72
        .size:           8
        .value_kind:     by_value
      - .offset:         80
        .size:           8
        .value_kind:     by_value
      - .offset:         88
        .size:           8
        .value_kind:     by_value
      - .address_space:  global
        .offset:         96
        .size:           8
        .value_kind:     global_buffer
      - .offset:         104
        .size:           8
        .value_kind:     by_value
      - .offset:         112
        .size:           8
        .value_kind:     by_value
      - .offset:         120
        .size:           8
        .value_kind:     by_value
      - .offset:         128
        .size:           4
        .value_kind:     by_value
      - .offset:         136
        .size:           4
        .value_kind:     hidden_block_count_x
      - .offset:         140
        .size:           4
        .value_kind:     hidden_block_count_y
      - .offset:         144
        .size:           4
        .value_kind:     hidden_block_count_z
      - .offset:         148
        .size:           2
        .value_kind:     hidden_group_size_x
      - .offset:         150
        .size:           2
        .value_kind:     hidden_group_size_y
      - .offset:         152
        .size:           2
        .value_kind:     hidden_group_size_z
      - .offset:         154
        .size:           2
        .value_kind:     hidden_remainder_x
      - .offset:         156
        .size:           2
        .value_kind:     hidden_remainder_y
      - .offset:         158
        .size:           2
        .value_kind:     hidden_remainder_z
      - .offset:         176
        .size:           8
        .value_kind:     hidden_global_offset_x
      - .offset:         184
        .size:           8
        .value_kind:     hidden_global_offset_y
      - .offset:         192
        .size:           8
        .value_kind:     hidden_global_offset_z
      - .offset:         200
        .size:           2
        .value_kind:     hidden_grid_dims
    .group_segment_fixed_size: 16384
    .kernarg_segment_align: 8
    .kernarg_segment_size: 392
    .language:       OpenCL C
    .language_version:
      - 2
      - 0
    .max_flat_workgroup_size: 1024
    .name:           _ZL30rocblas_trmm_outofplace_kernelIdLi32ELi2ELb0ELb1ELb0ELb0EdKddEv17rocblas_diagonal_iiT6_lPT7_lllS4_lllPT8_llli
    .private_segment_fixed_size: 0
    .sgpr_count:     62
    .sgpr_spill_count: 0
    .symbol:         _ZL30rocblas_trmm_outofplace_kernelIdLi32ELi2ELb0ELb1ELb0ELb0EdKddEv17rocblas_diagonal_iiT6_lPT7_lllS4_lllPT8_llli.kd
    .uniform_work_group_size: 1
    .uses_dynamic_stack: false
    .vgpr_count:     86
    .vgpr_spill_count: 0
    .wavefront_size: 64
  - .agpr_count:     0
    .args:
      - .offset:         0
        .size:           4
        .value_kind:     by_value
      - .offset:         4
        .size:           4
        .value_kind:     by_value
      - .offset:         8
        .size:           4
        .value_kind:     by_value
      - .address_space:  global
        .offset:         16
        .size:           8
        .value_kind:     global_buffer
      - .offset:         24
        .size:           8
        .value_kind:     by_value
      - .address_space:  global
        .offset:         32
        .size:           8
        .value_kind:     global_buffer
      - .offset:         40
        .size:           8
        .value_kind:     by_value
      - .offset:         48
        .size:           8
        .value_kind:     by_value
      - .offset:         56
        .size:           8
        .value_kind:     by_value
      - .address_space:  global
        .offset:         64
        .size:           8
        .value_kind:     global_buffer
      - .offset:         72
        .size:           8
        .value_kind:     by_value
      - .offset:         80
        .size:           8
        .value_kind:     by_value
      - .offset:         88
        .size:           8
        .value_kind:     by_value
      - .address_space:  global
        .offset:         96
        .size:           8
        .value_kind:     global_buffer
      - .offset:         104
        .size:           8
        .value_kind:     by_value
      - .offset:         112
        .size:           8
        .value_kind:     by_value
      - .offset:         120
        .size:           8
        .value_kind:     by_value
      - .offset:         128
        .size:           4
        .value_kind:     by_value
      - .offset:         136
        .size:           4
        .value_kind:     hidden_block_count_x
      - .offset:         140
        .size:           4
        .value_kind:     hidden_block_count_y
      - .offset:         144
        .size:           4
        .value_kind:     hidden_block_count_z
      - .offset:         148
        .size:           2
        .value_kind:     hidden_group_size_x
      - .offset:         150
        .size:           2
        .value_kind:     hidden_group_size_y
      - .offset:         152
        .size:           2
        .value_kind:     hidden_group_size_z
      - .offset:         154
        .size:           2
        .value_kind:     hidden_remainder_x
      - .offset:         156
        .size:           2
        .value_kind:     hidden_remainder_y
      - .offset:         158
        .size:           2
        .value_kind:     hidden_remainder_z
      - .offset:         176
        .size:           8
        .value_kind:     hidden_global_offset_x
      - .offset:         184
        .size:           8
        .value_kind:     hidden_global_offset_y
      - .offset:         192
        .size:           8
        .value_kind:     hidden_global_offset_z
      - .offset:         200
        .size:           2
        .value_kind:     hidden_grid_dims
    .group_segment_fixed_size: 16384
    .kernarg_segment_align: 8
    .kernarg_segment_size: 392
    .language:       OpenCL C
    .language_version:
      - 2
      - 0
    .max_flat_workgroup_size: 1024
    .name:           _ZL30rocblas_trmm_outofplace_kernelIdLi32ELi2ELb0ELb0ELb1ELb0EPKdS0_dEv17rocblas_diagonal_iiT6_lPT7_lllS5_lllPT8_llli
    .private_segment_fixed_size: 0
    .sgpr_count:     56
    .sgpr_spill_count: 0
    .symbol:         _ZL30rocblas_trmm_outofplace_kernelIdLi32ELi2ELb0ELb0ELb1ELb0EPKdS0_dEv17rocblas_diagonal_iiT6_lPT7_lllS5_lllPT8_llli.kd
    .uniform_work_group_size: 1
    .uses_dynamic_stack: false
    .vgpr_count:     96
    .vgpr_spill_count: 0
    .wavefront_size: 64
  - .agpr_count:     0
    .args:
      - .offset:         0
        .size:           4
        .value_kind:     by_value
      - .offset:         4
        .size:           4
        .value_kind:     by_value
      - .offset:         8
        .size:           4
        .value_kind:     by_value
      - .offset:         16
        .size:           8
        .value_kind:     by_value
      - .offset:         24
        .size:           8
        .value_kind:     by_value
      - .address_space:  global
        .offset:         32
        .size:           8
        .value_kind:     global_buffer
      - .offset:         40
        .size:           8
        .value_kind:     by_value
      - .offset:         48
        .size:           8
        .value_kind:     by_value
      - .offset:         56
        .size:           8
        .value_kind:     by_value
      - .address_space:  global
        .offset:         64
        .size:           8
        .value_kind:     global_buffer
      - .offset:         72
        .size:           8
        .value_kind:     by_value
      - .offset:         80
        .size:           8
        .value_kind:     by_value
      - .offset:         88
        .size:           8
        .value_kind:     by_value
      - .address_space:  global
        .offset:         96
        .size:           8
        .value_kind:     global_buffer
      - .offset:         104
        .size:           8
        .value_kind:     by_value
      - .offset:         112
        .size:           8
        .value_kind:     by_value
      - .offset:         120
        .size:           8
        .value_kind:     by_value
      - .offset:         128
        .size:           4
        .value_kind:     by_value
      - .offset:         136
        .size:           4
        .value_kind:     hidden_block_count_x
      - .offset:         140
        .size:           4
        .value_kind:     hidden_block_count_y
      - .offset:         144
        .size:           4
        .value_kind:     hidden_block_count_z
      - .offset:         148
        .size:           2
        .value_kind:     hidden_group_size_x
      - .offset:         150
        .size:           2
        .value_kind:     hidden_group_size_y
      - .offset:         152
        .size:           2
        .value_kind:     hidden_group_size_z
      - .offset:         154
        .size:           2
        .value_kind:     hidden_remainder_x
      - .offset:         156
        .size:           2
        .value_kind:     hidden_remainder_y
      - .offset:         158
        .size:           2
        .value_kind:     hidden_remainder_z
      - .offset:         176
        .size:           8
        .value_kind:     hidden_global_offset_x
      - .offset:         184
        .size:           8
        .value_kind:     hidden_global_offset_y
      - .offset:         192
        .size:           8
        .value_kind:     hidden_global_offset_z
      - .offset:         200
        .size:           2
        .value_kind:     hidden_grid_dims
    .group_segment_fixed_size: 16384
    .kernarg_segment_align: 8
    .kernarg_segment_size: 392
    .language:       OpenCL C
    .language_version:
      - 2
      - 0
    .max_flat_workgroup_size: 1024
    .name:           _ZL30rocblas_trmm_outofplace_kernelIdLi32ELi2ELb0ELb0ELb1ELb0EdKddEv17rocblas_diagonal_iiT6_lPT7_lllS4_lllPT8_llli
    .private_segment_fixed_size: 0
    .sgpr_count:     54
    .sgpr_spill_count: 0
    .symbol:         _ZL30rocblas_trmm_outofplace_kernelIdLi32ELi2ELb0ELb0ELb1ELb0EdKddEv17rocblas_diagonal_iiT6_lPT7_lllS4_lllPT8_llli.kd
    .uniform_work_group_size: 1
    .uses_dynamic_stack: false
    .vgpr_count:     96
    .vgpr_spill_count: 0
    .wavefront_size: 64
  - .agpr_count:     0
    .args:
      - .offset:         0
        .size:           4
        .value_kind:     by_value
      - .offset:         4
        .size:           4
        .value_kind:     by_value
      - .offset:         8
        .size:           4
        .value_kind:     by_value
      - .address_space:  global
        .offset:         16
        .size:           8
        .value_kind:     global_buffer
      - .offset:         24
        .size:           8
        .value_kind:     by_value
      - .address_space:  global
        .offset:         32
        .size:           8
        .value_kind:     global_buffer
      - .offset:         40
        .size:           8
        .value_kind:     by_value
      - .offset:         48
        .size:           8
        .value_kind:     by_value
      - .offset:         56
        .size:           8
        .value_kind:     by_value
      - .address_space:  global
        .offset:         64
        .size:           8
        .value_kind:     global_buffer
      - .offset:         72
        .size:           8
        .value_kind:     by_value
      - .offset:         80
        .size:           8
        .value_kind:     by_value
      - .offset:         88
        .size:           8
        .value_kind:     by_value
      - .address_space:  global
        .offset:         96
        .size:           8
        .value_kind:     global_buffer
      - .offset:         104
        .size:           8
        .value_kind:     by_value
      - .offset:         112
        .size:           8
        .value_kind:     by_value
      - .offset:         120
        .size:           8
        .value_kind:     by_value
      - .offset:         128
        .size:           4
        .value_kind:     by_value
      - .offset:         136
        .size:           4
        .value_kind:     hidden_block_count_x
      - .offset:         140
        .size:           4
        .value_kind:     hidden_block_count_y
      - .offset:         144
        .size:           4
        .value_kind:     hidden_block_count_z
      - .offset:         148
        .size:           2
        .value_kind:     hidden_group_size_x
      - .offset:         150
        .size:           2
        .value_kind:     hidden_group_size_y
      - .offset:         152
        .size:           2
        .value_kind:     hidden_group_size_z
      - .offset:         154
        .size:           2
        .value_kind:     hidden_remainder_x
      - .offset:         156
        .size:           2
        .value_kind:     hidden_remainder_y
      - .offset:         158
        .size:           2
        .value_kind:     hidden_remainder_z
      - .offset:         176
        .size:           8
        .value_kind:     hidden_global_offset_x
      - .offset:         184
        .size:           8
        .value_kind:     hidden_global_offset_y
      - .offset:         192
        .size:           8
        .value_kind:     hidden_global_offset_z
      - .offset:         200
        .size:           2
        .value_kind:     hidden_grid_dims
    .group_segment_fixed_size: 16384
    .kernarg_segment_align: 8
    .kernarg_segment_size: 392
    .language:       OpenCL C
    .language_version:
      - 2
      - 0
    .max_flat_workgroup_size: 1024
    .name:           _ZL30rocblas_trmm_outofplace_kernelIdLi32ELi2ELb0ELb1ELb1ELb0EPKdS0_dEv17rocblas_diagonal_iiT6_lPT7_lllS5_lllPT8_llli
    .private_segment_fixed_size: 0
    .sgpr_count:     71
    .sgpr_spill_count: 0
    .symbol:         _ZL30rocblas_trmm_outofplace_kernelIdLi32ELi2ELb0ELb1ELb1ELb0EPKdS0_dEv17rocblas_diagonal_iiT6_lPT7_lllS5_lllPT8_llli.kd
    .uniform_work_group_size: 1
    .uses_dynamic_stack: false
    .vgpr_count:     82
    .vgpr_spill_count: 0
    .wavefront_size: 64
  - .agpr_count:     0
    .args:
      - .offset:         0
        .size:           4
        .value_kind:     by_value
      - .offset:         4
        .size:           4
        .value_kind:     by_value
      - .offset:         8
        .size:           4
        .value_kind:     by_value
      - .offset:         16
        .size:           8
        .value_kind:     by_value
      - .offset:         24
        .size:           8
        .value_kind:     by_value
      - .address_space:  global
        .offset:         32
        .size:           8
        .value_kind:     global_buffer
      - .offset:         40
        .size:           8
        .value_kind:     by_value
      - .offset:         48
        .size:           8
        .value_kind:     by_value
      - .offset:         56
        .size:           8
        .value_kind:     by_value
      - .address_space:  global
        .offset:         64
        .size:           8
        .value_kind:     global_buffer
      - .offset:         72
        .size:           8
        .value_kind:     by_value
      - .offset:         80
        .size:           8
        .value_kind:     by_value
      - .offset:         88
        .size:           8
        .value_kind:     by_value
      - .address_space:  global
        .offset:         96
        .size:           8
        .value_kind:     global_buffer
      - .offset:         104
        .size:           8
        .value_kind:     by_value
      - .offset:         112
        .size:           8
        .value_kind:     by_value
      - .offset:         120
        .size:           8
        .value_kind:     by_value
      - .offset:         128
        .size:           4
        .value_kind:     by_value
      - .offset:         136
        .size:           4
        .value_kind:     hidden_block_count_x
      - .offset:         140
        .size:           4
        .value_kind:     hidden_block_count_y
      - .offset:         144
        .size:           4
        .value_kind:     hidden_block_count_z
      - .offset:         148
        .size:           2
        .value_kind:     hidden_group_size_x
      - .offset:         150
        .size:           2
        .value_kind:     hidden_group_size_y
      - .offset:         152
        .size:           2
        .value_kind:     hidden_group_size_z
      - .offset:         154
        .size:           2
        .value_kind:     hidden_remainder_x
      - .offset:         156
        .size:           2
        .value_kind:     hidden_remainder_y
      - .offset:         158
        .size:           2
        .value_kind:     hidden_remainder_z
      - .offset:         176
        .size:           8
        .value_kind:     hidden_global_offset_x
      - .offset:         184
        .size:           8
        .value_kind:     hidden_global_offset_y
      - .offset:         192
        .size:           8
        .value_kind:     hidden_global_offset_z
      - .offset:         200
        .size:           2
        .value_kind:     hidden_grid_dims
    .group_segment_fixed_size: 16384
    .kernarg_segment_align: 8
    .kernarg_segment_size: 392
    .language:       OpenCL C
    .language_version:
      - 2
      - 0
    .max_flat_workgroup_size: 1024
    .name:           _ZL30rocblas_trmm_outofplace_kernelIdLi32ELi2ELb0ELb1ELb1ELb0EdKddEv17rocblas_diagonal_iiT6_lPT7_lllS4_lllPT8_llli
    .private_segment_fixed_size: 0
    .sgpr_count:     71
    .sgpr_spill_count: 0
    .symbol:         _ZL30rocblas_trmm_outofplace_kernelIdLi32ELi2ELb0ELb1ELb1ELb0EdKddEv17rocblas_diagonal_iiT6_lPT7_lllS4_lllPT8_llli.kd
    .uniform_work_group_size: 1
    .uses_dynamic_stack: false
    .vgpr_count:     82
    .vgpr_spill_count: 0
    .wavefront_size: 64
  - .agpr_count:     0
    .args:
      - .offset:         0
        .size:           4
        .value_kind:     by_value
      - .offset:         4
        .size:           4
        .value_kind:     by_value
      - .offset:         8
        .size:           4
        .value_kind:     by_value
      - .address_space:  global
        .offset:         16
        .size:           8
        .value_kind:     global_buffer
      - .offset:         24
        .size:           8
        .value_kind:     by_value
      - .address_space:  global
        .offset:         32
        .size:           8
        .value_kind:     global_buffer
      - .offset:         40
        .size:           8
        .value_kind:     by_value
      - .offset:         48
        .size:           8
        .value_kind:     by_value
      - .offset:         56
        .size:           8
        .value_kind:     by_value
      - .address_space:  global
        .offset:         64
        .size:           8
        .value_kind:     global_buffer
      - .offset:         72
        .size:           8
        .value_kind:     by_value
      - .offset:         80
        .size:           8
        .value_kind:     by_value
      - .offset:         88
        .size:           8
        .value_kind:     by_value
      - .address_space:  global
        .offset:         96
        .size:           8
        .value_kind:     global_buffer
      - .offset:         104
        .size:           8
        .value_kind:     by_value
      - .offset:         112
        .size:           8
        .value_kind:     by_value
      - .offset:         120
        .size:           8
        .value_kind:     by_value
      - .offset:         128
        .size:           4
        .value_kind:     by_value
      - .offset:         136
        .size:           4
        .value_kind:     hidden_block_count_x
      - .offset:         140
        .size:           4
        .value_kind:     hidden_block_count_y
      - .offset:         144
        .size:           4
        .value_kind:     hidden_block_count_z
      - .offset:         148
        .size:           2
        .value_kind:     hidden_group_size_x
      - .offset:         150
        .size:           2
        .value_kind:     hidden_group_size_y
      - .offset:         152
        .size:           2
        .value_kind:     hidden_group_size_z
      - .offset:         154
        .size:           2
        .value_kind:     hidden_remainder_x
      - .offset:         156
        .size:           2
        .value_kind:     hidden_remainder_y
      - .offset:         158
        .size:           2
        .value_kind:     hidden_remainder_z
      - .offset:         176
        .size:           8
        .value_kind:     hidden_global_offset_x
      - .offset:         184
        .size:           8
        .value_kind:     hidden_global_offset_y
      - .offset:         192
        .size:           8
        .value_kind:     hidden_global_offset_z
      - .offset:         200
        .size:           2
        .value_kind:     hidden_grid_dims
    .group_segment_fixed_size: 16384
    .kernarg_segment_align: 8
    .kernarg_segment_size: 392
    .language:       OpenCL C
    .language_version:
      - 2
      - 0
    .max_flat_workgroup_size: 1024
    .name:           _ZL30rocblas_trmm_outofplace_kernelIdLi32ELi2ELb0ELb0ELb1ELb1EPKdS0_dEv17rocblas_diagonal_iiT6_lPT7_lllS5_lllPT8_llli
    .private_segment_fixed_size: 0
    .sgpr_count:     56
    .sgpr_spill_count: 0
    .symbol:         _ZL30rocblas_trmm_outofplace_kernelIdLi32ELi2ELb0ELb0ELb1ELb1EPKdS0_dEv17rocblas_diagonal_iiT6_lPT7_lllS5_lllPT8_llli.kd
    .uniform_work_group_size: 1
    .uses_dynamic_stack: false
    .vgpr_count:     96
    .vgpr_spill_count: 0
    .wavefront_size: 64
  - .agpr_count:     0
    .args:
      - .offset:         0
        .size:           4
        .value_kind:     by_value
      - .offset:         4
        .size:           4
        .value_kind:     by_value
      - .offset:         8
        .size:           4
        .value_kind:     by_value
      - .offset:         16
        .size:           8
        .value_kind:     by_value
      - .offset:         24
        .size:           8
        .value_kind:     by_value
      - .address_space:  global
        .offset:         32
        .size:           8
        .value_kind:     global_buffer
      - .offset:         40
        .size:           8
        .value_kind:     by_value
      - .offset:         48
        .size:           8
        .value_kind:     by_value
      - .offset:         56
        .size:           8
        .value_kind:     by_value
      - .address_space:  global
        .offset:         64
        .size:           8
        .value_kind:     global_buffer
      - .offset:         72
        .size:           8
        .value_kind:     by_value
      - .offset:         80
        .size:           8
        .value_kind:     by_value
      - .offset:         88
        .size:           8
        .value_kind:     by_value
      - .address_space:  global
        .offset:         96
        .size:           8
        .value_kind:     global_buffer
      - .offset:         104
        .size:           8
        .value_kind:     by_value
      - .offset:         112
        .size:           8
        .value_kind:     by_value
      - .offset:         120
        .size:           8
        .value_kind:     by_value
      - .offset:         128
        .size:           4
        .value_kind:     by_value
      - .offset:         136
        .size:           4
        .value_kind:     hidden_block_count_x
      - .offset:         140
        .size:           4
        .value_kind:     hidden_block_count_y
      - .offset:         144
        .size:           4
        .value_kind:     hidden_block_count_z
      - .offset:         148
        .size:           2
        .value_kind:     hidden_group_size_x
      - .offset:         150
        .size:           2
        .value_kind:     hidden_group_size_y
      - .offset:         152
        .size:           2
        .value_kind:     hidden_group_size_z
      - .offset:         154
        .size:           2
        .value_kind:     hidden_remainder_x
      - .offset:         156
        .size:           2
        .value_kind:     hidden_remainder_y
      - .offset:         158
        .size:           2
        .value_kind:     hidden_remainder_z
      - .offset:         176
        .size:           8
        .value_kind:     hidden_global_offset_x
      - .offset:         184
        .size:           8
        .value_kind:     hidden_global_offset_y
      - .offset:         192
        .size:           8
        .value_kind:     hidden_global_offset_z
      - .offset:         200
        .size:           2
        .value_kind:     hidden_grid_dims
    .group_segment_fixed_size: 16384
    .kernarg_segment_align: 8
    .kernarg_segment_size: 392
    .language:       OpenCL C
    .language_version:
      - 2
      - 0
    .max_flat_workgroup_size: 1024
    .name:           _ZL30rocblas_trmm_outofplace_kernelIdLi32ELi2ELb0ELb0ELb1ELb1EdKddEv17rocblas_diagonal_iiT6_lPT7_lllS4_lllPT8_llli
    .private_segment_fixed_size: 0
    .sgpr_count:     54
    .sgpr_spill_count: 0
    .symbol:         _ZL30rocblas_trmm_outofplace_kernelIdLi32ELi2ELb0ELb0ELb1ELb1EdKddEv17rocblas_diagonal_iiT6_lPT7_lllS4_lllPT8_llli.kd
    .uniform_work_group_size: 1
    .uses_dynamic_stack: false
    .vgpr_count:     96
    .vgpr_spill_count: 0
    .wavefront_size: 64
  - .agpr_count:     0
    .args:
      - .offset:         0
        .size:           4
        .value_kind:     by_value
      - .offset:         4
        .size:           4
        .value_kind:     by_value
      - .offset:         8
        .size:           4
        .value_kind:     by_value
      - .address_space:  global
        .offset:         16
        .size:           8
        .value_kind:     global_buffer
      - .offset:         24
        .size:           8
        .value_kind:     by_value
      - .address_space:  global
        .offset:         32
        .size:           8
        .value_kind:     global_buffer
      - .offset:         40
        .size:           8
        .value_kind:     by_value
      - .offset:         48
        .size:           8
        .value_kind:     by_value
      - .offset:         56
        .size:           8
        .value_kind:     by_value
      - .address_space:  global
        .offset:         64
        .size:           8
        .value_kind:     global_buffer
      - .offset:         72
        .size:           8
        .value_kind:     by_value
      - .offset:         80
        .size:           8
        .value_kind:     by_value
      - .offset:         88
        .size:           8
        .value_kind:     by_value
      - .address_space:  global
        .offset:         96
        .size:           8
        .value_kind:     global_buffer
      - .offset:         104
        .size:           8
        .value_kind:     by_value
      - .offset:         112
        .size:           8
        .value_kind:     by_value
      - .offset:         120
        .size:           8
        .value_kind:     by_value
      - .offset:         128
        .size:           4
        .value_kind:     by_value
      - .offset:         136
        .size:           4
        .value_kind:     hidden_block_count_x
      - .offset:         140
        .size:           4
        .value_kind:     hidden_block_count_y
      - .offset:         144
        .size:           4
        .value_kind:     hidden_block_count_z
      - .offset:         148
        .size:           2
        .value_kind:     hidden_group_size_x
      - .offset:         150
        .size:           2
        .value_kind:     hidden_group_size_y
      - .offset:         152
        .size:           2
        .value_kind:     hidden_group_size_z
      - .offset:         154
        .size:           2
        .value_kind:     hidden_remainder_x
      - .offset:         156
        .size:           2
        .value_kind:     hidden_remainder_y
      - .offset:         158
        .size:           2
        .value_kind:     hidden_remainder_z
      - .offset:         176
        .size:           8
        .value_kind:     hidden_global_offset_x
      - .offset:         184
        .size:           8
        .value_kind:     hidden_global_offset_y
      - .offset:         192
        .size:           8
        .value_kind:     hidden_global_offset_z
      - .offset:         200
        .size:           2
        .value_kind:     hidden_grid_dims
    .group_segment_fixed_size: 16384
    .kernarg_segment_align: 8
    .kernarg_segment_size: 392
    .language:       OpenCL C
    .language_version:
      - 2
      - 0
    .max_flat_workgroup_size: 1024
    .name:           _ZL30rocblas_trmm_outofplace_kernelIdLi32ELi2ELb0ELb1ELb1ELb1EPKdS0_dEv17rocblas_diagonal_iiT6_lPT7_lllS5_lllPT8_llli
    .private_segment_fixed_size: 0
    .sgpr_count:     71
    .sgpr_spill_count: 0
    .symbol:         _ZL30rocblas_trmm_outofplace_kernelIdLi32ELi2ELb0ELb1ELb1ELb1EPKdS0_dEv17rocblas_diagonal_iiT6_lPT7_lllS5_lllPT8_llli.kd
    .uniform_work_group_size: 1
    .uses_dynamic_stack: false
    .vgpr_count:     82
    .vgpr_spill_count: 0
    .wavefront_size: 64
  - .agpr_count:     0
    .args:
      - .offset:         0
        .size:           4
        .value_kind:     by_value
      - .offset:         4
        .size:           4
        .value_kind:     by_value
      - .offset:         8
        .size:           4
        .value_kind:     by_value
      - .offset:         16
        .size:           8
        .value_kind:     by_value
      - .offset:         24
        .size:           8
        .value_kind:     by_value
      - .address_space:  global
        .offset:         32
        .size:           8
        .value_kind:     global_buffer
      - .offset:         40
        .size:           8
        .value_kind:     by_value
      - .offset:         48
        .size:           8
        .value_kind:     by_value
      - .offset:         56
        .size:           8
        .value_kind:     by_value
      - .address_space:  global
        .offset:         64
        .size:           8
        .value_kind:     global_buffer
      - .offset:         72
        .size:           8
        .value_kind:     by_value
      - .offset:         80
        .size:           8
        .value_kind:     by_value
      - .offset:         88
        .size:           8
        .value_kind:     by_value
      - .address_space:  global
        .offset:         96
        .size:           8
        .value_kind:     global_buffer
      - .offset:         104
        .size:           8
        .value_kind:     by_value
      - .offset:         112
        .size:           8
        .value_kind:     by_value
      - .offset:         120
        .size:           8
        .value_kind:     by_value
      - .offset:         128
        .size:           4
        .value_kind:     by_value
      - .offset:         136
        .size:           4
        .value_kind:     hidden_block_count_x
      - .offset:         140
        .size:           4
        .value_kind:     hidden_block_count_y
      - .offset:         144
        .size:           4
        .value_kind:     hidden_block_count_z
      - .offset:         148
        .size:           2
        .value_kind:     hidden_group_size_x
      - .offset:         150
        .size:           2
        .value_kind:     hidden_group_size_y
      - .offset:         152
        .size:           2
        .value_kind:     hidden_group_size_z
      - .offset:         154
        .size:           2
        .value_kind:     hidden_remainder_x
      - .offset:         156
        .size:           2
        .value_kind:     hidden_remainder_y
      - .offset:         158
        .size:           2
        .value_kind:     hidden_remainder_z
      - .offset:         176
        .size:           8
        .value_kind:     hidden_global_offset_x
      - .offset:         184
        .size:           8
        .value_kind:     hidden_global_offset_y
      - .offset:         192
        .size:           8
        .value_kind:     hidden_global_offset_z
      - .offset:         200
        .size:           2
        .value_kind:     hidden_grid_dims
    .group_segment_fixed_size: 16384
    .kernarg_segment_align: 8
    .kernarg_segment_size: 392
    .language:       OpenCL C
    .language_version:
      - 2
      - 0
    .max_flat_workgroup_size: 1024
    .name:           _ZL30rocblas_trmm_outofplace_kernelIdLi32ELi2ELb0ELb1ELb1ELb1EdKddEv17rocblas_diagonal_iiT6_lPT7_lllS4_lllPT8_llli
    .private_segment_fixed_size: 0
    .sgpr_count:     71
    .sgpr_spill_count: 0
    .symbol:         _ZL30rocblas_trmm_outofplace_kernelIdLi32ELi2ELb0ELb1ELb1ELb1EdKddEv17rocblas_diagonal_iiT6_lPT7_lllS4_lllPT8_llli.kd
    .uniform_work_group_size: 1
    .uses_dynamic_stack: false
    .vgpr_count:     82
    .vgpr_spill_count: 0
    .wavefront_size: 64
  - .agpr_count:     0
    .args:
      - .offset:         0
        .size:           4
        .value_kind:     by_value
      - .offset:         4
        .size:           4
        .value_kind:     by_value
      - .offset:         8
        .size:           4
        .value_kind:     by_value
      - .offset:         12
        .size:           4
        .value_kind:     by_value
      - .address_space:  global
        .offset:         16
        .size:           8
        .value_kind:     global_buffer
      - .offset:         24
        .size:           8
        .value_kind:     by_value
      - .address_space:  global
        .offset:         32
        .size:           8
        .value_kind:     global_buffer
      - .offset:         40
        .size:           8
        .value_kind:     by_value
      - .offset:         48
        .size:           8
        .value_kind:     by_value
      - .address_space:  global
        .offset:         56
        .size:           8
        .value_kind:     global_buffer
      - .offset:         64
        .size:           8
        .value_kind:     by_value
      - .offset:         72
        .size:           8
        .value_kind:     by_value
      - .address_space:  global
        .offset:         80
        .size:           8
        .value_kind:     global_buffer
      - .offset:         88
        .size:           8
        .value_kind:     by_value
      - .offset:         96
        .size:           8
        .value_kind:     by_value
      - .offset:         104
        .size:           4
        .value_kind:     by_value
    .group_segment_fixed_size: 16384
    .kernarg_segment_align: 8
    .kernarg_segment_size: 108
    .language:       OpenCL C
    .language_version:
      - 2
      - 0
    .max_flat_workgroup_size: 1024
    .name:           _ZL23rocblas_trmm_lNx_kernelILi32EdPKdS0_dEv13rocblas_fill_17rocblas_diagonal_iiT1_lPT2_llS6_llPT3_lli
    .private_segment_fixed_size: 0
    .sgpr_count:     32
    .sgpr_spill_count: 0
    .symbol:         _ZL23rocblas_trmm_lNx_kernelILi32EdPKdS0_dEv13rocblas_fill_17rocblas_diagonal_iiT1_lPT2_llS6_llPT3_lli.kd
    .uniform_work_group_size: 1
    .uses_dynamic_stack: false
    .vgpr_count:     34
    .vgpr_spill_count: 0
    .wavefront_size: 64
  - .agpr_count:     0
    .args:
      - .offset:         0
        .size:           4
        .value_kind:     by_value
      - .offset:         4
        .size:           4
        .value_kind:     by_value
      - .offset:         8
        .size:           4
        .value_kind:     by_value
      - .offset:         12
        .size:           4
        .value_kind:     by_value
      - .offset:         16
        .size:           8
        .value_kind:     by_value
      - .offset:         24
        .size:           8
        .value_kind:     by_value
      - .address_space:  global
        .offset:         32
        .size:           8
        .value_kind:     global_buffer
      - .offset:         40
        .size:           8
        .value_kind:     by_value
      - .offset:         48
        .size:           8
        .value_kind:     by_value
      - .address_space:  global
        .offset:         56
        .size:           8
        .value_kind:     global_buffer
      - .offset:         64
        .size:           8
        .value_kind:     by_value
      - .offset:         72
        .size:           8
        .value_kind:     by_value
      - .address_space:  global
        .offset:         80
        .size:           8
        .value_kind:     global_buffer
      - .offset:         88
        .size:           8
        .value_kind:     by_value
      - .offset:         96
        .size:           8
        .value_kind:     by_value
      - .offset:         104
        .size:           4
        .value_kind:     by_value
    .group_segment_fixed_size: 16384
    .kernarg_segment_align: 8
    .kernarg_segment_size: 108
    .language:       OpenCL C
    .language_version:
      - 2
      - 0
    .max_flat_workgroup_size: 1024
    .name:           _ZL23rocblas_trmm_lNx_kernelILi32EddKddEv13rocblas_fill_17rocblas_diagonal_iiT1_lPT2_llS5_llPT3_lli
    .private_segment_fixed_size: 0
    .sgpr_count:     36
    .sgpr_spill_count: 0
    .symbol:         _ZL23rocblas_trmm_lNx_kernelILi32EddKddEv13rocblas_fill_17rocblas_diagonal_iiT1_lPT2_llS5_llPT3_lli.kd
    .uniform_work_group_size: 1
    .uses_dynamic_stack: false
    .vgpr_count:     34
    .vgpr_spill_count: 0
    .wavefront_size: 64
  - .agpr_count:     0
    .args:
      - .offset:         0
        .size:           4
        .value_kind:     by_value
      - .offset:         4
        .size:           4
        .value_kind:     by_value
      - .offset:         8
        .size:           4
        .value_kind:     by_value
      - .offset:         12
        .size:           4
        .value_kind:     by_value
      - .address_space:  global
        .offset:         16
        .size:           8
        .value_kind:     global_buffer
      - .offset:         24
        .size:           8
        .value_kind:     by_value
      - .address_space:  global
        .offset:         32
        .size:           8
        .value_kind:     global_buffer
      - .offset:         40
        .size:           8
        .value_kind:     by_value
      - .offset:         48
        .size:           8
        .value_kind:     by_value
      - .address_space:  global
        .offset:         56
        .size:           8
        .value_kind:     global_buffer
      - .offset:         64
        .size:           8
        .value_kind:     by_value
      - .offset:         72
        .size:           8
        .value_kind:     by_value
      - .address_space:  global
        .offset:         80
        .size:           8
        .value_kind:     global_buffer
      - .offset:         88
        .size:           8
        .value_kind:     by_value
      - .offset:         96
        .size:           8
        .value_kind:     by_value
      - .offset:         104
        .size:           4
        .value_kind:     by_value
    .group_segment_fixed_size: 16384
    .kernarg_segment_align: 8
    .kernarg_segment_size: 108
    .language:       OpenCL C
    .language_version:
      - 2
      - 0
    .max_flat_workgroup_size: 1024
    .name:           _ZL23rocblas_trmm_lTx_kernelILi32ELb0EdPKdS0_dEv13rocblas_fill_17rocblas_diagonal_iiT2_lPT3_llS6_llPT4_lli
    .private_segment_fixed_size: 0
    .sgpr_count:     32
    .sgpr_spill_count: 0
    .symbol:         _ZL23rocblas_trmm_lTx_kernelILi32ELb0EdPKdS0_dEv13rocblas_fill_17rocblas_diagonal_iiT2_lPT3_llS6_llPT4_lli.kd
    .uniform_work_group_size: 1
    .uses_dynamic_stack: false
    .vgpr_count:     34
    .vgpr_spill_count: 0
    .wavefront_size: 64
  - .agpr_count:     0
    .args:
      - .offset:         0
        .size:           4
        .value_kind:     by_value
      - .offset:         4
        .size:           4
        .value_kind:     by_value
      - .offset:         8
        .size:           4
        .value_kind:     by_value
      - .offset:         12
        .size:           4
        .value_kind:     by_value
      - .offset:         16
        .size:           8
        .value_kind:     by_value
      - .offset:         24
        .size:           8
        .value_kind:     by_value
      - .address_space:  global
        .offset:         32
        .size:           8
        .value_kind:     global_buffer
      - .offset:         40
        .size:           8
        .value_kind:     by_value
      - .offset:         48
        .size:           8
        .value_kind:     by_value
      - .address_space:  global
        .offset:         56
        .size:           8
        .value_kind:     global_buffer
      - .offset:         64
        .size:           8
        .value_kind:     by_value
      - .offset:         72
        .size:           8
        .value_kind:     by_value
      - .address_space:  global
        .offset:         80
        .size:           8
        .value_kind:     global_buffer
      - .offset:         88
        .size:           8
        .value_kind:     by_value
      - .offset:         96
        .size:           8
        .value_kind:     by_value
      - .offset:         104
        .size:           4
        .value_kind:     by_value
    .group_segment_fixed_size: 16384
    .kernarg_segment_align: 8
    .kernarg_segment_size: 108
    .language:       OpenCL C
    .language_version:
      - 2
      - 0
    .max_flat_workgroup_size: 1024
    .name:           _ZL23rocblas_trmm_lTx_kernelILi32ELb0EddKddEv13rocblas_fill_17rocblas_diagonal_iiT2_lPT3_llS5_llPT4_lli
    .private_segment_fixed_size: 0
    .sgpr_count:     36
    .sgpr_spill_count: 0
    .symbol:         _ZL23rocblas_trmm_lTx_kernelILi32ELb0EddKddEv13rocblas_fill_17rocblas_diagonal_iiT2_lPT3_llS5_llPT4_lli.kd
    .uniform_work_group_size: 1
    .uses_dynamic_stack: false
    .vgpr_count:     34
    .vgpr_spill_count: 0
    .wavefront_size: 64
  - .agpr_count:     0
    .args:
      - .offset:         0
        .size:           4
        .value_kind:     by_value
      - .offset:         4
        .size:           4
        .value_kind:     by_value
      - .offset:         8
        .size:           4
        .value_kind:     by_value
      - .offset:         12
        .size:           4
        .value_kind:     by_value
      - .address_space:  global
        .offset:         16
        .size:           8
        .value_kind:     global_buffer
      - .offset:         24
        .size:           8
        .value_kind:     by_value
      - .address_space:  global
        .offset:         32
        .size:           8
        .value_kind:     global_buffer
      - .offset:         40
        .size:           8
        .value_kind:     by_value
      - .offset:         48
        .size:           8
        .value_kind:     by_value
      - .address_space:  global
        .offset:         56
        .size:           8
        .value_kind:     global_buffer
      - .offset:         64
        .size:           8
        .value_kind:     by_value
      - .offset:         72
        .size:           8
        .value_kind:     by_value
      - .address_space:  global
        .offset:         80
        .size:           8
        .value_kind:     global_buffer
      - .offset:         88
        .size:           8
        .value_kind:     by_value
      - .offset:         96
        .size:           8
        .value_kind:     by_value
      - .offset:         104
        .size:           4
        .value_kind:     by_value
    .group_segment_fixed_size: 16384
    .kernarg_segment_align: 8
    .kernarg_segment_size: 108
    .language:       OpenCL C
    .language_version:
      - 2
      - 0
    .max_flat_workgroup_size: 1024
    .name:           _ZL23rocblas_trmm_lTx_kernelILi32ELb1EdPKdS0_dEv13rocblas_fill_17rocblas_diagonal_iiT2_lPT3_llS6_llPT4_lli
    .private_segment_fixed_size: 0
    .sgpr_count:     32
    .sgpr_spill_count: 0
    .symbol:         _ZL23rocblas_trmm_lTx_kernelILi32ELb1EdPKdS0_dEv13rocblas_fill_17rocblas_diagonal_iiT2_lPT3_llS6_llPT4_lli.kd
    .uniform_work_group_size: 1
    .uses_dynamic_stack: false
    .vgpr_count:     34
    .vgpr_spill_count: 0
    .wavefront_size: 64
  - .agpr_count:     0
    .args:
      - .offset:         0
        .size:           4
        .value_kind:     by_value
      - .offset:         4
        .size:           4
        .value_kind:     by_value
      - .offset:         8
        .size:           4
        .value_kind:     by_value
      - .offset:         12
        .size:           4
        .value_kind:     by_value
      - .offset:         16
        .size:           8
        .value_kind:     by_value
      - .offset:         24
        .size:           8
        .value_kind:     by_value
      - .address_space:  global
        .offset:         32
        .size:           8
        .value_kind:     global_buffer
      - .offset:         40
        .size:           8
        .value_kind:     by_value
      - .offset:         48
        .size:           8
        .value_kind:     by_value
      - .address_space:  global
        .offset:         56
        .size:           8
        .value_kind:     global_buffer
      - .offset:         64
        .size:           8
        .value_kind:     by_value
      - .offset:         72
        .size:           8
        .value_kind:     by_value
      - .address_space:  global
        .offset:         80
        .size:           8
        .value_kind:     global_buffer
      - .offset:         88
        .size:           8
        .value_kind:     by_value
      - .offset:         96
        .size:           8
        .value_kind:     by_value
      - .offset:         104
        .size:           4
        .value_kind:     by_value
    .group_segment_fixed_size: 16384
    .kernarg_segment_align: 8
    .kernarg_segment_size: 108
    .language:       OpenCL C
    .language_version:
      - 2
      - 0
    .max_flat_workgroup_size: 1024
    .name:           _ZL23rocblas_trmm_lTx_kernelILi32ELb1EddKddEv13rocblas_fill_17rocblas_diagonal_iiT2_lPT3_llS5_llPT4_lli
    .private_segment_fixed_size: 0
    .sgpr_count:     36
    .sgpr_spill_count: 0
    .symbol:         _ZL23rocblas_trmm_lTx_kernelILi32ELb1EddKddEv13rocblas_fill_17rocblas_diagonal_iiT2_lPT3_llS5_llPT4_lli.kd
    .uniform_work_group_size: 1
    .uses_dynamic_stack: false
    .vgpr_count:     34
    .vgpr_spill_count: 0
    .wavefront_size: 64
  - .agpr_count:     0
    .args:
      - .offset:         0
        .size:           4
        .value_kind:     by_value
      - .offset:         4
        .size:           4
        .value_kind:     by_value
      - .offset:         8
        .size:           4
        .value_kind:     by_value
      - .offset:         12
        .size:           4
        .value_kind:     by_value
      - .address_space:  global
        .offset:         16
        .size:           8
        .value_kind:     global_buffer
      - .offset:         24
        .size:           8
        .value_kind:     by_value
      - .address_space:  global
        .offset:         32
        .size:           8
        .value_kind:     global_buffer
      - .offset:         40
        .size:           8
        .value_kind:     by_value
      - .offset:         48
        .size:           8
        .value_kind:     by_value
      - .address_space:  global
        .offset:         56
        .size:           8
        .value_kind:     global_buffer
      - .offset:         64
        .size:           8
        .value_kind:     by_value
      - .offset:         72
        .size:           8
        .value_kind:     by_value
      - .address_space:  global
        .offset:         80
        .size:           8
        .value_kind:     global_buffer
      - .offset:         88
        .size:           8
        .value_kind:     by_value
      - .offset:         96
        .size:           8
        .value_kind:     by_value
      - .offset:         104
        .size:           4
        .value_kind:     by_value
    .group_segment_fixed_size: 16384
    .kernarg_segment_align: 8
    .kernarg_segment_size: 108
    .language:       OpenCL C
    .language_version:
      - 2
      - 0
    .max_flat_workgroup_size: 1024
    .name:           _ZL23rocblas_trmm_rNx_kernelILi32EdPKdS0_dEv13rocblas_fill_17rocblas_diagonal_iiT1_lPT2_llS6_llPT3_lli
    .private_segment_fixed_size: 0
    .sgpr_count:     32
    .sgpr_spill_count: 0
    .symbol:         _ZL23rocblas_trmm_rNx_kernelILi32EdPKdS0_dEv13rocblas_fill_17rocblas_diagonal_iiT1_lPT2_llS6_llPT3_lli.kd
    .uniform_work_group_size: 1
    .uses_dynamic_stack: false
    .vgpr_count:     34
    .vgpr_spill_count: 0
    .wavefront_size: 64
  - .agpr_count:     0
    .args:
      - .offset:         0
        .size:           4
        .value_kind:     by_value
      - .offset:         4
        .size:           4
        .value_kind:     by_value
      - .offset:         8
        .size:           4
        .value_kind:     by_value
      - .offset:         12
        .size:           4
        .value_kind:     by_value
      - .offset:         16
        .size:           8
        .value_kind:     by_value
      - .offset:         24
        .size:           8
        .value_kind:     by_value
      - .address_space:  global
        .offset:         32
        .size:           8
        .value_kind:     global_buffer
      - .offset:         40
        .size:           8
        .value_kind:     by_value
      - .offset:         48
        .size:           8
        .value_kind:     by_value
      - .address_space:  global
        .offset:         56
        .size:           8
        .value_kind:     global_buffer
      - .offset:         64
        .size:           8
        .value_kind:     by_value
      - .offset:         72
        .size:           8
        .value_kind:     by_value
      - .address_space:  global
        .offset:         80
        .size:           8
        .value_kind:     global_buffer
      - .offset:         88
        .size:           8
        .value_kind:     by_value
      - .offset:         96
        .size:           8
        .value_kind:     by_value
      - .offset:         104
        .size:           4
        .value_kind:     by_value
    .group_segment_fixed_size: 16384
    .kernarg_segment_align: 8
    .kernarg_segment_size: 108
    .language:       OpenCL C
    .language_version:
      - 2
      - 0
    .max_flat_workgroup_size: 1024
    .name:           _ZL23rocblas_trmm_rNx_kernelILi32EddKddEv13rocblas_fill_17rocblas_diagonal_iiT1_lPT2_llS5_llPT3_lli
    .private_segment_fixed_size: 0
    .sgpr_count:     36
    .sgpr_spill_count: 0
    .symbol:         _ZL23rocblas_trmm_rNx_kernelILi32EddKddEv13rocblas_fill_17rocblas_diagonal_iiT1_lPT2_llS5_llPT3_lli.kd
    .uniform_work_group_size: 1
    .uses_dynamic_stack: false
    .vgpr_count:     34
    .vgpr_spill_count: 0
    .wavefront_size: 64
  - .agpr_count:     0
    .args:
      - .offset:         0
        .size:           4
        .value_kind:     by_value
      - .offset:         4
        .size:           4
        .value_kind:     by_value
      - .offset:         8
        .size:           4
        .value_kind:     by_value
      - .offset:         12
        .size:           4
        .value_kind:     by_value
      - .address_space:  global
        .offset:         16
        .size:           8
        .value_kind:     global_buffer
      - .offset:         24
        .size:           8
        .value_kind:     by_value
      - .address_space:  global
        .offset:         32
        .size:           8
        .value_kind:     global_buffer
      - .offset:         40
        .size:           8
        .value_kind:     by_value
      - .offset:         48
        .size:           8
        .value_kind:     by_value
      - .address_space:  global
        .offset:         56
        .size:           8
        .value_kind:     global_buffer
      - .offset:         64
        .size:           8
        .value_kind:     by_value
      - .offset:         72
        .size:           8
        .value_kind:     by_value
      - .address_space:  global
        .offset:         80
        .size:           8
        .value_kind:     global_buffer
      - .offset:         88
        .size:           8
        .value_kind:     by_value
      - .offset:         96
        .size:           8
        .value_kind:     by_value
      - .offset:         104
        .size:           4
        .value_kind:     by_value
    .group_segment_fixed_size: 16384
    .kernarg_segment_align: 8
    .kernarg_segment_size: 108
    .language:       OpenCL C
    .language_version:
      - 2
      - 0
    .max_flat_workgroup_size: 1024
    .name:           _ZL23rocblas_trmm_rTx_kernelILi32ELb0EdPKdS0_dEv13rocblas_fill_17rocblas_diagonal_iiT2_lPT3_llS6_llPT4_lli
    .private_segment_fixed_size: 0
    .sgpr_count:     32
    .sgpr_spill_count: 0
    .symbol:         _ZL23rocblas_trmm_rTx_kernelILi32ELb0EdPKdS0_dEv13rocblas_fill_17rocblas_diagonal_iiT2_lPT3_llS6_llPT4_lli.kd
    .uniform_work_group_size: 1
    .uses_dynamic_stack: false
    .vgpr_count:     31
    .vgpr_spill_count: 0
    .wavefront_size: 64
  - .agpr_count:     0
    .args:
      - .offset:         0
        .size:           4
        .value_kind:     by_value
      - .offset:         4
        .size:           4
        .value_kind:     by_value
      - .offset:         8
        .size:           4
        .value_kind:     by_value
      - .offset:         12
        .size:           4
        .value_kind:     by_value
      - .offset:         16
        .size:           8
        .value_kind:     by_value
      - .offset:         24
        .size:           8
        .value_kind:     by_value
      - .address_space:  global
        .offset:         32
        .size:           8
        .value_kind:     global_buffer
      - .offset:         40
        .size:           8
        .value_kind:     by_value
      - .offset:         48
        .size:           8
        .value_kind:     by_value
      - .address_space:  global
        .offset:         56
        .size:           8
        .value_kind:     global_buffer
      - .offset:         64
        .size:           8
        .value_kind:     by_value
      - .offset:         72
        .size:           8
        .value_kind:     by_value
      - .address_space:  global
        .offset:         80
        .size:           8
        .value_kind:     global_buffer
      - .offset:         88
        .size:           8
        .value_kind:     by_value
      - .offset:         96
        .size:           8
        .value_kind:     by_value
      - .offset:         104
        .size:           4
        .value_kind:     by_value
    .group_segment_fixed_size: 16384
    .kernarg_segment_align: 8
    .kernarg_segment_size: 108
    .language:       OpenCL C
    .language_version:
      - 2
      - 0
    .max_flat_workgroup_size: 1024
    .name:           _ZL23rocblas_trmm_rTx_kernelILi32ELb0EddKddEv13rocblas_fill_17rocblas_diagonal_iiT2_lPT3_llS5_llPT4_lli
    .private_segment_fixed_size: 0
    .sgpr_count:     36
    .sgpr_spill_count: 0
    .symbol:         _ZL23rocblas_trmm_rTx_kernelILi32ELb0EddKddEv13rocblas_fill_17rocblas_diagonal_iiT2_lPT3_llS5_llPT4_lli.kd
    .uniform_work_group_size: 1
    .uses_dynamic_stack: false
    .vgpr_count:     31
    .vgpr_spill_count: 0
    .wavefront_size: 64
  - .agpr_count:     0
    .args:
      - .offset:         0
        .size:           4
        .value_kind:     by_value
      - .offset:         4
        .size:           4
        .value_kind:     by_value
      - .offset:         8
        .size:           4
        .value_kind:     by_value
      - .offset:         12
        .size:           4
        .value_kind:     by_value
      - .address_space:  global
        .offset:         16
        .size:           8
        .value_kind:     global_buffer
      - .offset:         24
        .size:           8
        .value_kind:     by_value
      - .address_space:  global
        .offset:         32
        .size:           8
        .value_kind:     global_buffer
      - .offset:         40
        .size:           8
        .value_kind:     by_value
      - .offset:         48
        .size:           8
        .value_kind:     by_value
      - .address_space:  global
        .offset:         56
        .size:           8
        .value_kind:     global_buffer
      - .offset:         64
        .size:           8
        .value_kind:     by_value
      - .offset:         72
        .size:           8
        .value_kind:     by_value
      - .address_space:  global
        .offset:         80
        .size:           8
        .value_kind:     global_buffer
      - .offset:         88
        .size:           8
        .value_kind:     by_value
      - .offset:         96
        .size:           8
        .value_kind:     by_value
      - .offset:         104
        .size:           4
        .value_kind:     by_value
    .group_segment_fixed_size: 16384
    .kernarg_segment_align: 8
    .kernarg_segment_size: 108
    .language:       OpenCL C
    .language_version:
      - 2
      - 0
    .max_flat_workgroup_size: 1024
    .name:           _ZL23rocblas_trmm_rTx_kernelILi32ELb1EdPKdS0_dEv13rocblas_fill_17rocblas_diagonal_iiT2_lPT3_llS6_llPT4_lli
    .private_segment_fixed_size: 0
    .sgpr_count:     32
    .sgpr_spill_count: 0
    .symbol:         _ZL23rocblas_trmm_rTx_kernelILi32ELb1EdPKdS0_dEv13rocblas_fill_17rocblas_diagonal_iiT2_lPT3_llS6_llPT4_lli.kd
    .uniform_work_group_size: 1
    .uses_dynamic_stack: false
    .vgpr_count:     31
    .vgpr_spill_count: 0
    .wavefront_size: 64
  - .agpr_count:     0
    .args:
      - .offset:         0
        .size:           4
        .value_kind:     by_value
      - .offset:         4
        .size:           4
        .value_kind:     by_value
      - .offset:         8
        .size:           4
        .value_kind:     by_value
      - .offset:         12
        .size:           4
        .value_kind:     by_value
      - .offset:         16
        .size:           8
        .value_kind:     by_value
      - .offset:         24
        .size:           8
        .value_kind:     by_value
      - .address_space:  global
        .offset:         32
        .size:           8
        .value_kind:     global_buffer
      - .offset:         40
        .size:           8
        .value_kind:     by_value
      - .offset:         48
        .size:           8
        .value_kind:     by_value
      - .address_space:  global
        .offset:         56
        .size:           8
        .value_kind:     global_buffer
      - .offset:         64
        .size:           8
        .value_kind:     by_value
      - .offset:         72
        .size:           8
        .value_kind:     by_value
      - .address_space:  global
        .offset:         80
        .size:           8
        .value_kind:     global_buffer
      - .offset:         88
        .size:           8
        .value_kind:     by_value
      - .offset:         96
        .size:           8
        .value_kind:     by_value
      - .offset:         104
        .size:           4
        .value_kind:     by_value
    .group_segment_fixed_size: 16384
    .kernarg_segment_align: 8
    .kernarg_segment_size: 108
    .language:       OpenCL C
    .language_version:
      - 2
      - 0
    .max_flat_workgroup_size: 1024
    .name:           _ZL23rocblas_trmm_rTx_kernelILi32ELb1EddKddEv13rocblas_fill_17rocblas_diagonal_iiT2_lPT3_llS5_llPT4_lli
    .private_segment_fixed_size: 0
    .sgpr_count:     36
    .sgpr_spill_count: 0
    .symbol:         _ZL23rocblas_trmm_rTx_kernelILi32ELb1EddKddEv13rocblas_fill_17rocblas_diagonal_iiT2_lPT3_llS5_llPT4_lli.kd
    .uniform_work_group_size: 1
    .uses_dynamic_stack: false
    .vgpr_count:     31
    .vgpr_spill_count: 0
    .wavefront_size: 64
  - .agpr_count:     0
    .args:
      - .offset:         0
        .size:           4
        .value_kind:     by_value
      - .offset:         4
        .size:           4
        .value_kind:     by_value
      - .offset:         8
        .size:           4
        .value_kind:     by_value
      - .address_space:  global
        .offset:         16
        .size:           8
        .value_kind:     global_buffer
      - .offset:         24
        .size:           8
        .value_kind:     by_value
      - .address_space:  global
        .offset:         32
        .size:           8
        .value_kind:     global_buffer
      - .offset:         40
        .size:           8
        .value_kind:     by_value
      - .offset:         48
        .size:           8
        .value_kind:     by_value
      - .offset:         56
        .size:           8
        .value_kind:     by_value
      - .address_space:  global
        .offset:         64
        .size:           8
        .value_kind:     global_buffer
      - .offset:         72
        .size:           8
        .value_kind:     by_value
      - .offset:         80
        .size:           8
        .value_kind:     by_value
      - .offset:         88
        .size:           8
        .value_kind:     by_value
      - .address_space:  global
        .offset:         96
        .size:           8
        .value_kind:     global_buffer
      - .offset:         104
        .size:           8
        .value_kind:     by_value
      - .offset:         112
        .size:           8
        .value_kind:     by_value
      - .offset:         120
        .size:           8
        .value_kind:     by_value
      - .offset:         128
        .size:           4
        .value_kind:     by_value
      - .offset:         136
        .size:           4
        .value_kind:     hidden_block_count_x
      - .offset:         140
        .size:           4
        .value_kind:     hidden_block_count_y
      - .offset:         144
        .size:           4
        .value_kind:     hidden_block_count_z
      - .offset:         148
        .size:           2
        .value_kind:     hidden_group_size_x
      - .offset:         150
        .size:           2
        .value_kind:     hidden_group_size_y
      - .offset:         152
        .size:           2
        .value_kind:     hidden_group_size_z
      - .offset:         154
        .size:           2
        .value_kind:     hidden_remainder_x
      - .offset:         156
        .size:           2
        .value_kind:     hidden_remainder_y
      - .offset:         158
        .size:           2
        .value_kind:     hidden_remainder_z
      - .offset:         176
        .size:           8
        .value_kind:     hidden_global_offset_x
      - .offset:         184
        .size:           8
        .value_kind:     hidden_global_offset_y
      - .offset:         192
        .size:           8
        .value_kind:     hidden_global_offset_z
      - .offset:         200
        .size:           2
        .value_kind:     hidden_grid_dims
    .group_segment_fixed_size: 16384
    .kernarg_segment_align: 8
    .kernarg_segment_size: 392
    .language:       OpenCL C
    .language_version:
      - 2
      - 0
    .max_flat_workgroup_size: 1024
    .name:           _ZL30rocblas_trmm_outofplace_kernelI19rocblas_complex_numIfELi32ELi2ELb1ELb0ELb0ELb0EPKS1_S2_S1_Ev17rocblas_diagonal_iiT6_lPT7_lllS7_lllPT8_llli
    .private_segment_fixed_size: 0
    .sgpr_count:     66
    .sgpr_spill_count: 0
    .symbol:         _ZL30rocblas_trmm_outofplace_kernelI19rocblas_complex_numIfELi32ELi2ELb1ELb0ELb0ELb0EPKS1_S2_S1_Ev17rocblas_diagonal_iiT6_lPT7_lllS7_lllPT8_llli.kd
    .uniform_work_group_size: 1
    .uses_dynamic_stack: false
    .vgpr_count:     85
    .vgpr_spill_count: 0
    .wavefront_size: 64
  - .agpr_count:     0
    .args:
      - .offset:         0
        .size:           4
        .value_kind:     by_value
      - .offset:         4
        .size:           4
        .value_kind:     by_value
      - .offset:         8
        .size:           4
        .value_kind:     by_value
      - .offset:         12
        .size:           8
        .value_kind:     by_value
      - .offset:         24
        .size:           8
        .value_kind:     by_value
      - .address_space:  global
        .offset:         32
        .size:           8
        .value_kind:     global_buffer
      - .offset:         40
        .size:           8
        .value_kind:     by_value
      - .offset:         48
        .size:           8
        .value_kind:     by_value
      - .offset:         56
        .size:           8
        .value_kind:     by_value
      - .address_space:  global
        .offset:         64
        .size:           8
        .value_kind:     global_buffer
      - .offset:         72
        .size:           8
        .value_kind:     by_value
      - .offset:         80
        .size:           8
        .value_kind:     by_value
      - .offset:         88
        .size:           8
        .value_kind:     by_value
      - .address_space:  global
        .offset:         96
        .size:           8
        .value_kind:     global_buffer
      - .offset:         104
        .size:           8
        .value_kind:     by_value
      - .offset:         112
        .size:           8
        .value_kind:     by_value
      - .offset:         120
        .size:           8
        .value_kind:     by_value
      - .offset:         128
        .size:           4
        .value_kind:     by_value
      - .offset:         136
        .size:           4
        .value_kind:     hidden_block_count_x
      - .offset:         140
        .size:           4
        .value_kind:     hidden_block_count_y
      - .offset:         144
        .size:           4
        .value_kind:     hidden_block_count_z
      - .offset:         148
        .size:           2
        .value_kind:     hidden_group_size_x
      - .offset:         150
        .size:           2
        .value_kind:     hidden_group_size_y
      - .offset:         152
        .size:           2
        .value_kind:     hidden_group_size_z
      - .offset:         154
        .size:           2
        .value_kind:     hidden_remainder_x
      - .offset:         156
        .size:           2
        .value_kind:     hidden_remainder_y
      - .offset:         158
        .size:           2
        .value_kind:     hidden_remainder_z
      - .offset:         176
        .size:           8
        .value_kind:     hidden_global_offset_x
      - .offset:         184
        .size:           8
        .value_kind:     hidden_global_offset_y
      - .offset:         192
        .size:           8
        .value_kind:     hidden_global_offset_z
      - .offset:         200
        .size:           2
        .value_kind:     hidden_grid_dims
    .group_segment_fixed_size: 16384
    .kernarg_segment_align: 8
    .kernarg_segment_size: 392
    .language:       OpenCL C
    .language_version:
      - 2
      - 0
    .max_flat_workgroup_size: 1024
    .name:           _ZL30rocblas_trmm_outofplace_kernelI19rocblas_complex_numIfELi32ELi2ELb1ELb0ELb0ELb0ES1_KS1_S1_Ev17rocblas_diagonal_iiT6_lPT7_lllS6_lllPT8_llli
    .private_segment_fixed_size: 0
    .sgpr_count:     68
    .sgpr_spill_count: 0
    .symbol:         _ZL30rocblas_trmm_outofplace_kernelI19rocblas_complex_numIfELi32ELi2ELb1ELb0ELb0ELb0ES1_KS1_S1_Ev17rocblas_diagonal_iiT6_lPT7_lllS6_lllPT8_llli.kd
    .uniform_work_group_size: 1
    .uses_dynamic_stack: false
    .vgpr_count:     85
    .vgpr_spill_count: 0
    .wavefront_size: 64
  - .agpr_count:     0
    .args:
      - .offset:         0
        .size:           4
        .value_kind:     by_value
      - .offset:         4
        .size:           4
        .value_kind:     by_value
      - .offset:         8
        .size:           4
        .value_kind:     by_value
      - .address_space:  global
        .offset:         16
        .size:           8
        .value_kind:     global_buffer
      - .offset:         24
        .size:           8
        .value_kind:     by_value
      - .address_space:  global
        .offset:         32
        .size:           8
        .value_kind:     global_buffer
      - .offset:         40
        .size:           8
        .value_kind:     by_value
      - .offset:         48
        .size:           8
        .value_kind:     by_value
      - .offset:         56
        .size:           8
        .value_kind:     by_value
      - .address_space:  global
        .offset:         64
        .size:           8
        .value_kind:     global_buffer
      - .offset:         72
        .size:           8
        .value_kind:     by_value
      - .offset:         80
        .size:           8
        .value_kind:     by_value
      - .offset:         88
        .size:           8
        .value_kind:     by_value
      - .address_space:  global
        .offset:         96
        .size:           8
        .value_kind:     global_buffer
      - .offset:         104
        .size:           8
        .value_kind:     by_value
      - .offset:         112
        .size:           8
        .value_kind:     by_value
      - .offset:         120
        .size:           8
        .value_kind:     by_value
      - .offset:         128
        .size:           4
        .value_kind:     by_value
      - .offset:         136
        .size:           4
        .value_kind:     hidden_block_count_x
      - .offset:         140
        .size:           4
        .value_kind:     hidden_block_count_y
      - .offset:         144
        .size:           4
        .value_kind:     hidden_block_count_z
      - .offset:         148
        .size:           2
        .value_kind:     hidden_group_size_x
      - .offset:         150
        .size:           2
        .value_kind:     hidden_group_size_y
      - .offset:         152
        .size:           2
        .value_kind:     hidden_group_size_z
      - .offset:         154
        .size:           2
        .value_kind:     hidden_remainder_x
      - .offset:         156
        .size:           2
        .value_kind:     hidden_remainder_y
      - .offset:         158
        .size:           2
        .value_kind:     hidden_remainder_z
      - .offset:         176
        .size:           8
        .value_kind:     hidden_global_offset_x
      - .offset:         184
        .size:           8
        .value_kind:     hidden_global_offset_y
      - .offset:         192
        .size:           8
        .value_kind:     hidden_global_offset_z
      - .offset:         200
        .size:           2
        .value_kind:     hidden_grid_dims
    .group_segment_fixed_size: 16384
    .kernarg_segment_align: 8
    .kernarg_segment_size: 392
    .language:       OpenCL C
    .language_version:
      - 2
      - 0
    .max_flat_workgroup_size: 1024
    .name:           _ZL30rocblas_trmm_outofplace_kernelI19rocblas_complex_numIfELi32ELi2ELb1ELb1ELb0ELb0EPKS1_S2_S1_Ev17rocblas_diagonal_iiT6_lPT7_lllS7_lllPT8_llli
    .private_segment_fixed_size: 0
    .sgpr_count:     66
    .sgpr_spill_count: 0
    .symbol:         _ZL30rocblas_trmm_outofplace_kernelI19rocblas_complex_numIfELi32ELi2ELb1ELb1ELb0ELb0EPKS1_S2_S1_Ev17rocblas_diagonal_iiT6_lPT7_lllS7_lllPT8_llli.kd
    .uniform_work_group_size: 1
    .uses_dynamic_stack: false
    .vgpr_count:     86
    .vgpr_spill_count: 0
    .wavefront_size: 64
  - .agpr_count:     0
    .args:
      - .offset:         0
        .size:           4
        .value_kind:     by_value
      - .offset:         4
        .size:           4
        .value_kind:     by_value
      - .offset:         8
        .size:           4
        .value_kind:     by_value
      - .offset:         12
        .size:           8
        .value_kind:     by_value
      - .offset:         24
        .size:           8
        .value_kind:     by_value
      - .address_space:  global
        .offset:         32
        .size:           8
        .value_kind:     global_buffer
      - .offset:         40
        .size:           8
        .value_kind:     by_value
      - .offset:         48
        .size:           8
        .value_kind:     by_value
      - .offset:         56
        .size:           8
        .value_kind:     by_value
      - .address_space:  global
        .offset:         64
        .size:           8
        .value_kind:     global_buffer
      - .offset:         72
        .size:           8
        .value_kind:     by_value
      - .offset:         80
        .size:           8
        .value_kind:     by_value
      - .offset:         88
        .size:           8
        .value_kind:     by_value
      - .address_space:  global
        .offset:         96
        .size:           8
        .value_kind:     global_buffer
      - .offset:         104
        .size:           8
        .value_kind:     by_value
      - .offset:         112
        .size:           8
        .value_kind:     by_value
      - .offset:         120
        .size:           8
        .value_kind:     by_value
      - .offset:         128
        .size:           4
        .value_kind:     by_value
      - .offset:         136
        .size:           4
        .value_kind:     hidden_block_count_x
      - .offset:         140
        .size:           4
        .value_kind:     hidden_block_count_y
      - .offset:         144
        .size:           4
        .value_kind:     hidden_block_count_z
      - .offset:         148
        .size:           2
        .value_kind:     hidden_group_size_x
      - .offset:         150
        .size:           2
        .value_kind:     hidden_group_size_y
      - .offset:         152
        .size:           2
        .value_kind:     hidden_group_size_z
      - .offset:         154
        .size:           2
        .value_kind:     hidden_remainder_x
      - .offset:         156
        .size:           2
        .value_kind:     hidden_remainder_y
      - .offset:         158
        .size:           2
        .value_kind:     hidden_remainder_z
      - .offset:         176
        .size:           8
        .value_kind:     hidden_global_offset_x
      - .offset:         184
        .size:           8
        .value_kind:     hidden_global_offset_y
      - .offset:         192
        .size:           8
        .value_kind:     hidden_global_offset_z
      - .offset:         200
        .size:           2
        .value_kind:     hidden_grid_dims
    .group_segment_fixed_size: 16384
    .kernarg_segment_align: 8
    .kernarg_segment_size: 392
    .language:       OpenCL C
    .language_version:
      - 2
      - 0
    .max_flat_workgroup_size: 1024
    .name:           _ZL30rocblas_trmm_outofplace_kernelI19rocblas_complex_numIfELi32ELi2ELb1ELb1ELb0ELb0ES1_KS1_S1_Ev17rocblas_diagonal_iiT6_lPT7_lllS6_lllPT8_llli
    .private_segment_fixed_size: 0
    .sgpr_count:     68
    .sgpr_spill_count: 0
    .symbol:         _ZL30rocblas_trmm_outofplace_kernelI19rocblas_complex_numIfELi32ELi2ELb1ELb1ELb0ELb0ES1_KS1_S1_Ev17rocblas_diagonal_iiT6_lPT7_lllS6_lllPT8_llli.kd
    .uniform_work_group_size: 1
    .uses_dynamic_stack: false
    .vgpr_count:     86
    .vgpr_spill_count: 0
    .wavefront_size: 64
  - .agpr_count:     0
    .args:
      - .offset:         0
        .size:           4
        .value_kind:     by_value
      - .offset:         4
        .size:           4
        .value_kind:     by_value
      - .offset:         8
        .size:           4
        .value_kind:     by_value
      - .address_space:  global
        .offset:         16
        .size:           8
        .value_kind:     global_buffer
      - .offset:         24
        .size:           8
        .value_kind:     by_value
      - .address_space:  global
        .offset:         32
        .size:           8
        .value_kind:     global_buffer
      - .offset:         40
        .size:           8
        .value_kind:     by_value
      - .offset:         48
        .size:           8
        .value_kind:     by_value
      - .offset:         56
        .size:           8
        .value_kind:     by_value
      - .address_space:  global
        .offset:         64
        .size:           8
        .value_kind:     global_buffer
      - .offset:         72
        .size:           8
        .value_kind:     by_value
      - .offset:         80
        .size:           8
        .value_kind:     by_value
      - .offset:         88
        .size:           8
        .value_kind:     by_value
      - .address_space:  global
        .offset:         96
        .size:           8
        .value_kind:     global_buffer
      - .offset:         104
        .size:           8
        .value_kind:     by_value
      - .offset:         112
        .size:           8
        .value_kind:     by_value
      - .offset:         120
        .size:           8
        .value_kind:     by_value
      - .offset:         128
        .size:           4
        .value_kind:     by_value
      - .offset:         136
        .size:           4
        .value_kind:     hidden_block_count_x
      - .offset:         140
        .size:           4
        .value_kind:     hidden_block_count_y
      - .offset:         144
        .size:           4
        .value_kind:     hidden_block_count_z
      - .offset:         148
        .size:           2
        .value_kind:     hidden_group_size_x
      - .offset:         150
        .size:           2
        .value_kind:     hidden_group_size_y
      - .offset:         152
        .size:           2
        .value_kind:     hidden_group_size_z
      - .offset:         154
        .size:           2
        .value_kind:     hidden_remainder_x
      - .offset:         156
        .size:           2
        .value_kind:     hidden_remainder_y
      - .offset:         158
        .size:           2
        .value_kind:     hidden_remainder_z
      - .offset:         176
        .size:           8
        .value_kind:     hidden_global_offset_x
      - .offset:         184
        .size:           8
        .value_kind:     hidden_global_offset_y
      - .offset:         192
        .size:           8
        .value_kind:     hidden_global_offset_z
      - .offset:         200
        .size:           2
        .value_kind:     hidden_grid_dims
    .group_segment_fixed_size: 16384
    .kernarg_segment_align: 8
    .kernarg_segment_size: 392
    .language:       OpenCL C
    .language_version:
      - 2
      - 0
    .max_flat_workgroup_size: 1024
    .name:           _ZL30rocblas_trmm_outofplace_kernelI19rocblas_complex_numIfELi32ELi2ELb1ELb0ELb1ELb0EPKS1_S2_S1_Ev17rocblas_diagonal_iiT6_lPT7_lllS7_lllPT8_llli
    .private_segment_fixed_size: 0
    .sgpr_count:     62
    .sgpr_spill_count: 0
    .symbol:         _ZL30rocblas_trmm_outofplace_kernelI19rocblas_complex_numIfELi32ELi2ELb1ELb0ELb1ELb0EPKS1_S2_S1_Ev17rocblas_diagonal_iiT6_lPT7_lllS7_lllPT8_llli.kd
    .uniform_work_group_size: 1
    .uses_dynamic_stack: false
    .vgpr_count:     82
    .vgpr_spill_count: 0
    .wavefront_size: 64
  - .agpr_count:     0
    .args:
      - .offset:         0
        .size:           4
        .value_kind:     by_value
      - .offset:         4
        .size:           4
        .value_kind:     by_value
      - .offset:         8
        .size:           4
        .value_kind:     by_value
      - .offset:         12
        .size:           8
        .value_kind:     by_value
      - .offset:         24
        .size:           8
        .value_kind:     by_value
      - .address_space:  global
        .offset:         32
        .size:           8
        .value_kind:     global_buffer
      - .offset:         40
        .size:           8
        .value_kind:     by_value
      - .offset:         48
        .size:           8
        .value_kind:     by_value
      - .offset:         56
        .size:           8
        .value_kind:     by_value
      - .address_space:  global
        .offset:         64
        .size:           8
        .value_kind:     global_buffer
      - .offset:         72
        .size:           8
        .value_kind:     by_value
      - .offset:         80
        .size:           8
        .value_kind:     by_value
      - .offset:         88
        .size:           8
        .value_kind:     by_value
      - .address_space:  global
        .offset:         96
        .size:           8
        .value_kind:     global_buffer
      - .offset:         104
        .size:           8
        .value_kind:     by_value
      - .offset:         112
        .size:           8
        .value_kind:     by_value
      - .offset:         120
        .size:           8
        .value_kind:     by_value
      - .offset:         128
        .size:           4
        .value_kind:     by_value
      - .offset:         136
        .size:           4
        .value_kind:     hidden_block_count_x
      - .offset:         140
        .size:           4
        .value_kind:     hidden_block_count_y
      - .offset:         144
        .size:           4
        .value_kind:     hidden_block_count_z
      - .offset:         148
        .size:           2
        .value_kind:     hidden_group_size_x
      - .offset:         150
        .size:           2
        .value_kind:     hidden_group_size_y
      - .offset:         152
        .size:           2
        .value_kind:     hidden_group_size_z
      - .offset:         154
        .size:           2
        .value_kind:     hidden_remainder_x
      - .offset:         156
        .size:           2
        .value_kind:     hidden_remainder_y
      - .offset:         158
        .size:           2
        .value_kind:     hidden_remainder_z
      - .offset:         176
        .size:           8
        .value_kind:     hidden_global_offset_x
      - .offset:         184
        .size:           8
        .value_kind:     hidden_global_offset_y
      - .offset:         192
        .size:           8
        .value_kind:     hidden_global_offset_z
      - .offset:         200
        .size:           2
        .value_kind:     hidden_grid_dims
    .group_segment_fixed_size: 16384
    .kernarg_segment_align: 8
    .kernarg_segment_size: 392
    .language:       OpenCL C
    .language_version:
      - 2
      - 0
    .max_flat_workgroup_size: 1024
    .name:           _ZL30rocblas_trmm_outofplace_kernelI19rocblas_complex_numIfELi32ELi2ELb1ELb0ELb1ELb0ES1_KS1_S1_Ev17rocblas_diagonal_iiT6_lPT7_lllS6_lllPT8_llli
    .private_segment_fixed_size: 0
    .sgpr_count:     64
    .sgpr_spill_count: 0
    .symbol:         _ZL30rocblas_trmm_outofplace_kernelI19rocblas_complex_numIfELi32ELi2ELb1ELb0ELb1ELb0ES1_KS1_S1_Ev17rocblas_diagonal_iiT6_lPT7_lllS6_lllPT8_llli.kd
    .uniform_work_group_size: 1
    .uses_dynamic_stack: false
    .vgpr_count:     82
    .vgpr_spill_count: 0
    .wavefront_size: 64
  - .agpr_count:     0
    .args:
      - .offset:         0
        .size:           4
        .value_kind:     by_value
      - .offset:         4
        .size:           4
        .value_kind:     by_value
      - .offset:         8
        .size:           4
        .value_kind:     by_value
      - .address_space:  global
        .offset:         16
        .size:           8
        .value_kind:     global_buffer
      - .offset:         24
        .size:           8
        .value_kind:     by_value
      - .address_space:  global
        .offset:         32
        .size:           8
        .value_kind:     global_buffer
      - .offset:         40
        .size:           8
        .value_kind:     by_value
      - .offset:         48
        .size:           8
        .value_kind:     by_value
      - .offset:         56
        .size:           8
        .value_kind:     by_value
      - .address_space:  global
        .offset:         64
        .size:           8
        .value_kind:     global_buffer
      - .offset:         72
        .size:           8
        .value_kind:     by_value
      - .offset:         80
        .size:           8
        .value_kind:     by_value
      - .offset:         88
        .size:           8
        .value_kind:     by_value
      - .address_space:  global
        .offset:         96
        .size:           8
        .value_kind:     global_buffer
      - .offset:         104
        .size:           8
        .value_kind:     by_value
      - .offset:         112
        .size:           8
        .value_kind:     by_value
      - .offset:         120
        .size:           8
        .value_kind:     by_value
      - .offset:         128
        .size:           4
        .value_kind:     by_value
      - .offset:         136
        .size:           4
        .value_kind:     hidden_block_count_x
      - .offset:         140
        .size:           4
        .value_kind:     hidden_block_count_y
      - .offset:         144
        .size:           4
        .value_kind:     hidden_block_count_z
      - .offset:         148
        .size:           2
        .value_kind:     hidden_group_size_x
      - .offset:         150
        .size:           2
        .value_kind:     hidden_group_size_y
      - .offset:         152
        .size:           2
        .value_kind:     hidden_group_size_z
      - .offset:         154
        .size:           2
        .value_kind:     hidden_remainder_x
      - .offset:         156
        .size:           2
        .value_kind:     hidden_remainder_y
      - .offset:         158
        .size:           2
        .value_kind:     hidden_remainder_z
      - .offset:         176
        .size:           8
        .value_kind:     hidden_global_offset_x
      - .offset:         184
        .size:           8
        .value_kind:     hidden_global_offset_y
      - .offset:         192
        .size:           8
        .value_kind:     hidden_global_offset_z
      - .offset:         200
        .size:           2
        .value_kind:     hidden_grid_dims
    .group_segment_fixed_size: 16384
    .kernarg_segment_align: 8
    .kernarg_segment_size: 392
    .language:       OpenCL C
    .language_version:
      - 2
      - 0
    .max_flat_workgroup_size: 1024
    .name:           _ZL30rocblas_trmm_outofplace_kernelI19rocblas_complex_numIfELi32ELi2ELb1ELb1ELb1ELb0EPKS1_S2_S1_Ev17rocblas_diagonal_iiT6_lPT7_lllS7_lllPT8_llli
    .private_segment_fixed_size: 0
    .sgpr_count:     62
    .sgpr_spill_count: 0
    .symbol:         _ZL30rocblas_trmm_outofplace_kernelI19rocblas_complex_numIfELi32ELi2ELb1ELb1ELb1ELb0EPKS1_S2_S1_Ev17rocblas_diagonal_iiT6_lPT7_lllS7_lllPT8_llli.kd
    .uniform_work_group_size: 1
    .uses_dynamic_stack: false
    .vgpr_count:     82
    .vgpr_spill_count: 0
    .wavefront_size: 64
  - .agpr_count:     0
    .args:
      - .offset:         0
        .size:           4
        .value_kind:     by_value
      - .offset:         4
        .size:           4
        .value_kind:     by_value
      - .offset:         8
        .size:           4
        .value_kind:     by_value
      - .offset:         12
        .size:           8
        .value_kind:     by_value
      - .offset:         24
        .size:           8
        .value_kind:     by_value
      - .address_space:  global
        .offset:         32
        .size:           8
        .value_kind:     global_buffer
      - .offset:         40
        .size:           8
        .value_kind:     by_value
      - .offset:         48
        .size:           8
        .value_kind:     by_value
      - .offset:         56
        .size:           8
        .value_kind:     by_value
      - .address_space:  global
        .offset:         64
        .size:           8
        .value_kind:     global_buffer
      - .offset:         72
        .size:           8
        .value_kind:     by_value
      - .offset:         80
        .size:           8
        .value_kind:     by_value
      - .offset:         88
        .size:           8
        .value_kind:     by_value
      - .address_space:  global
        .offset:         96
        .size:           8
        .value_kind:     global_buffer
      - .offset:         104
        .size:           8
        .value_kind:     by_value
      - .offset:         112
        .size:           8
        .value_kind:     by_value
      - .offset:         120
        .size:           8
        .value_kind:     by_value
      - .offset:         128
        .size:           4
        .value_kind:     by_value
      - .offset:         136
        .size:           4
        .value_kind:     hidden_block_count_x
      - .offset:         140
        .size:           4
        .value_kind:     hidden_block_count_y
      - .offset:         144
        .size:           4
        .value_kind:     hidden_block_count_z
      - .offset:         148
        .size:           2
        .value_kind:     hidden_group_size_x
      - .offset:         150
        .size:           2
        .value_kind:     hidden_group_size_y
      - .offset:         152
        .size:           2
        .value_kind:     hidden_group_size_z
      - .offset:         154
        .size:           2
        .value_kind:     hidden_remainder_x
      - .offset:         156
        .size:           2
        .value_kind:     hidden_remainder_y
      - .offset:         158
        .size:           2
        .value_kind:     hidden_remainder_z
      - .offset:         176
        .size:           8
        .value_kind:     hidden_global_offset_x
      - .offset:         184
        .size:           8
        .value_kind:     hidden_global_offset_y
      - .offset:         192
        .size:           8
        .value_kind:     hidden_global_offset_z
      - .offset:         200
        .size:           2
        .value_kind:     hidden_grid_dims
    .group_segment_fixed_size: 16384
    .kernarg_segment_align: 8
    .kernarg_segment_size: 392
    .language:       OpenCL C
    .language_version:
      - 2
      - 0
    .max_flat_workgroup_size: 1024
    .name:           _ZL30rocblas_trmm_outofplace_kernelI19rocblas_complex_numIfELi32ELi2ELb1ELb1ELb1ELb0ES1_KS1_S1_Ev17rocblas_diagonal_iiT6_lPT7_lllS6_lllPT8_llli
    .private_segment_fixed_size: 0
    .sgpr_count:     64
    .sgpr_spill_count: 0
    .symbol:         _ZL30rocblas_trmm_outofplace_kernelI19rocblas_complex_numIfELi32ELi2ELb1ELb1ELb1ELb0ES1_KS1_S1_Ev17rocblas_diagonal_iiT6_lPT7_lllS6_lllPT8_llli.kd
    .uniform_work_group_size: 1
    .uses_dynamic_stack: false
    .vgpr_count:     82
    .vgpr_spill_count: 0
    .wavefront_size: 64
  - .agpr_count:     0
    .args:
      - .offset:         0
        .size:           4
        .value_kind:     by_value
      - .offset:         4
        .size:           4
        .value_kind:     by_value
      - .offset:         8
        .size:           4
        .value_kind:     by_value
      - .address_space:  global
        .offset:         16
        .size:           8
        .value_kind:     global_buffer
      - .offset:         24
        .size:           8
        .value_kind:     by_value
      - .address_space:  global
        .offset:         32
        .size:           8
        .value_kind:     global_buffer
      - .offset:         40
        .size:           8
        .value_kind:     by_value
      - .offset:         48
        .size:           8
        .value_kind:     by_value
      - .offset:         56
        .size:           8
        .value_kind:     by_value
      - .address_space:  global
        .offset:         64
        .size:           8
        .value_kind:     global_buffer
      - .offset:         72
        .size:           8
        .value_kind:     by_value
      - .offset:         80
        .size:           8
        .value_kind:     by_value
      - .offset:         88
        .size:           8
        .value_kind:     by_value
      - .address_space:  global
        .offset:         96
        .size:           8
        .value_kind:     global_buffer
      - .offset:         104
        .size:           8
        .value_kind:     by_value
      - .offset:         112
        .size:           8
        .value_kind:     by_value
      - .offset:         120
        .size:           8
        .value_kind:     by_value
      - .offset:         128
        .size:           4
        .value_kind:     by_value
      - .offset:         136
        .size:           4
        .value_kind:     hidden_block_count_x
      - .offset:         140
        .size:           4
        .value_kind:     hidden_block_count_y
      - .offset:         144
        .size:           4
        .value_kind:     hidden_block_count_z
      - .offset:         148
        .size:           2
        .value_kind:     hidden_group_size_x
      - .offset:         150
        .size:           2
        .value_kind:     hidden_group_size_y
      - .offset:         152
        .size:           2
        .value_kind:     hidden_group_size_z
      - .offset:         154
        .size:           2
        .value_kind:     hidden_remainder_x
      - .offset:         156
        .size:           2
        .value_kind:     hidden_remainder_y
      - .offset:         158
        .size:           2
        .value_kind:     hidden_remainder_z
      - .offset:         176
        .size:           8
        .value_kind:     hidden_global_offset_x
      - .offset:         184
        .size:           8
        .value_kind:     hidden_global_offset_y
      - .offset:         192
        .size:           8
        .value_kind:     hidden_global_offset_z
      - .offset:         200
        .size:           2
        .value_kind:     hidden_grid_dims
    .group_segment_fixed_size: 16384
    .kernarg_segment_align: 8
    .kernarg_segment_size: 392
    .language:       OpenCL C
    .language_version:
      - 2
      - 0
    .max_flat_workgroup_size: 1024
    .name:           _ZL30rocblas_trmm_outofplace_kernelI19rocblas_complex_numIfELi32ELi2ELb1ELb0ELb1ELb1EPKS1_S2_S1_Ev17rocblas_diagonal_iiT6_lPT7_lllS7_lllPT8_llli
    .private_segment_fixed_size: 0
    .sgpr_count:     62
    .sgpr_spill_count: 0
    .symbol:         _ZL30rocblas_trmm_outofplace_kernelI19rocblas_complex_numIfELi32ELi2ELb1ELb0ELb1ELb1EPKS1_S2_S1_Ev17rocblas_diagonal_iiT6_lPT7_lllS7_lllPT8_llli.kd
    .uniform_work_group_size: 1
    .uses_dynamic_stack: false
    .vgpr_count:     82
    .vgpr_spill_count: 0
    .wavefront_size: 64
  - .agpr_count:     0
    .args:
      - .offset:         0
        .size:           4
        .value_kind:     by_value
      - .offset:         4
        .size:           4
        .value_kind:     by_value
      - .offset:         8
        .size:           4
        .value_kind:     by_value
      - .offset:         12
        .size:           8
        .value_kind:     by_value
      - .offset:         24
        .size:           8
        .value_kind:     by_value
      - .address_space:  global
        .offset:         32
        .size:           8
        .value_kind:     global_buffer
      - .offset:         40
        .size:           8
        .value_kind:     by_value
      - .offset:         48
        .size:           8
        .value_kind:     by_value
      - .offset:         56
        .size:           8
        .value_kind:     by_value
      - .address_space:  global
        .offset:         64
        .size:           8
        .value_kind:     global_buffer
      - .offset:         72
        .size:           8
        .value_kind:     by_value
      - .offset:         80
        .size:           8
        .value_kind:     by_value
      - .offset:         88
        .size:           8
        .value_kind:     by_value
      - .address_space:  global
        .offset:         96
        .size:           8
        .value_kind:     global_buffer
      - .offset:         104
        .size:           8
        .value_kind:     by_value
      - .offset:         112
        .size:           8
        .value_kind:     by_value
      - .offset:         120
        .size:           8
        .value_kind:     by_value
      - .offset:         128
        .size:           4
        .value_kind:     by_value
      - .offset:         136
        .size:           4
        .value_kind:     hidden_block_count_x
      - .offset:         140
        .size:           4
        .value_kind:     hidden_block_count_y
      - .offset:         144
        .size:           4
        .value_kind:     hidden_block_count_z
      - .offset:         148
        .size:           2
        .value_kind:     hidden_group_size_x
      - .offset:         150
        .size:           2
        .value_kind:     hidden_group_size_y
      - .offset:         152
        .size:           2
        .value_kind:     hidden_group_size_z
      - .offset:         154
        .size:           2
        .value_kind:     hidden_remainder_x
      - .offset:         156
        .size:           2
        .value_kind:     hidden_remainder_y
      - .offset:         158
        .size:           2
        .value_kind:     hidden_remainder_z
      - .offset:         176
        .size:           8
        .value_kind:     hidden_global_offset_x
      - .offset:         184
        .size:           8
        .value_kind:     hidden_global_offset_y
      - .offset:         192
        .size:           8
        .value_kind:     hidden_global_offset_z
      - .offset:         200
        .size:           2
        .value_kind:     hidden_grid_dims
    .group_segment_fixed_size: 16384
    .kernarg_segment_align: 8
    .kernarg_segment_size: 392
    .language:       OpenCL C
    .language_version:
      - 2
      - 0
    .max_flat_workgroup_size: 1024
    .name:           _ZL30rocblas_trmm_outofplace_kernelI19rocblas_complex_numIfELi32ELi2ELb1ELb0ELb1ELb1ES1_KS1_S1_Ev17rocblas_diagonal_iiT6_lPT7_lllS6_lllPT8_llli
    .private_segment_fixed_size: 0
    .sgpr_count:     64
    .sgpr_spill_count: 0
    .symbol:         _ZL30rocblas_trmm_outofplace_kernelI19rocblas_complex_numIfELi32ELi2ELb1ELb0ELb1ELb1ES1_KS1_S1_Ev17rocblas_diagonal_iiT6_lPT7_lllS6_lllPT8_llli.kd
    .uniform_work_group_size: 1
    .uses_dynamic_stack: false
    .vgpr_count:     82
    .vgpr_spill_count: 0
    .wavefront_size: 64
  - .agpr_count:     0
    .args:
      - .offset:         0
        .size:           4
        .value_kind:     by_value
      - .offset:         4
        .size:           4
        .value_kind:     by_value
      - .offset:         8
        .size:           4
        .value_kind:     by_value
      - .address_space:  global
        .offset:         16
        .size:           8
        .value_kind:     global_buffer
      - .offset:         24
        .size:           8
        .value_kind:     by_value
      - .address_space:  global
        .offset:         32
        .size:           8
        .value_kind:     global_buffer
      - .offset:         40
        .size:           8
        .value_kind:     by_value
      - .offset:         48
        .size:           8
        .value_kind:     by_value
      - .offset:         56
        .size:           8
        .value_kind:     by_value
      - .address_space:  global
        .offset:         64
        .size:           8
        .value_kind:     global_buffer
      - .offset:         72
        .size:           8
        .value_kind:     by_value
      - .offset:         80
        .size:           8
        .value_kind:     by_value
      - .offset:         88
        .size:           8
        .value_kind:     by_value
      - .address_space:  global
        .offset:         96
        .size:           8
        .value_kind:     global_buffer
      - .offset:         104
        .size:           8
        .value_kind:     by_value
      - .offset:         112
        .size:           8
        .value_kind:     by_value
      - .offset:         120
        .size:           8
        .value_kind:     by_value
      - .offset:         128
        .size:           4
        .value_kind:     by_value
      - .offset:         136
        .size:           4
        .value_kind:     hidden_block_count_x
      - .offset:         140
        .size:           4
        .value_kind:     hidden_block_count_y
      - .offset:         144
        .size:           4
        .value_kind:     hidden_block_count_z
      - .offset:         148
        .size:           2
        .value_kind:     hidden_group_size_x
      - .offset:         150
        .size:           2
        .value_kind:     hidden_group_size_y
      - .offset:         152
        .size:           2
        .value_kind:     hidden_group_size_z
      - .offset:         154
        .size:           2
        .value_kind:     hidden_remainder_x
      - .offset:         156
        .size:           2
        .value_kind:     hidden_remainder_y
      - .offset:         158
        .size:           2
        .value_kind:     hidden_remainder_z
      - .offset:         176
        .size:           8
        .value_kind:     hidden_global_offset_x
      - .offset:         184
        .size:           8
        .value_kind:     hidden_global_offset_y
      - .offset:         192
        .size:           8
        .value_kind:     hidden_global_offset_z
      - .offset:         200
        .size:           2
        .value_kind:     hidden_grid_dims
    .group_segment_fixed_size: 16384
    .kernarg_segment_align: 8
    .kernarg_segment_size: 392
    .language:       OpenCL C
    .language_version:
      - 2
      - 0
    .max_flat_workgroup_size: 1024
    .name:           _ZL30rocblas_trmm_outofplace_kernelI19rocblas_complex_numIfELi32ELi2ELb1ELb1ELb1ELb1EPKS1_S2_S1_Ev17rocblas_diagonal_iiT6_lPT7_lllS7_lllPT8_llli
    .private_segment_fixed_size: 0
    .sgpr_count:     62
    .sgpr_spill_count: 0
    .symbol:         _ZL30rocblas_trmm_outofplace_kernelI19rocblas_complex_numIfELi32ELi2ELb1ELb1ELb1ELb1EPKS1_S2_S1_Ev17rocblas_diagonal_iiT6_lPT7_lllS7_lllPT8_llli.kd
    .uniform_work_group_size: 1
    .uses_dynamic_stack: false
    .vgpr_count:     78
    .vgpr_spill_count: 0
    .wavefront_size: 64
  - .agpr_count:     0
    .args:
      - .offset:         0
        .size:           4
        .value_kind:     by_value
      - .offset:         4
        .size:           4
        .value_kind:     by_value
      - .offset:         8
        .size:           4
        .value_kind:     by_value
      - .offset:         12
        .size:           8
        .value_kind:     by_value
      - .offset:         24
        .size:           8
        .value_kind:     by_value
      - .address_space:  global
        .offset:         32
        .size:           8
        .value_kind:     global_buffer
      - .offset:         40
        .size:           8
        .value_kind:     by_value
      - .offset:         48
        .size:           8
        .value_kind:     by_value
      - .offset:         56
        .size:           8
        .value_kind:     by_value
      - .address_space:  global
        .offset:         64
        .size:           8
        .value_kind:     global_buffer
      - .offset:         72
        .size:           8
        .value_kind:     by_value
      - .offset:         80
        .size:           8
        .value_kind:     by_value
      - .offset:         88
        .size:           8
        .value_kind:     by_value
      - .address_space:  global
        .offset:         96
        .size:           8
        .value_kind:     global_buffer
      - .offset:         104
        .size:           8
        .value_kind:     by_value
      - .offset:         112
        .size:           8
        .value_kind:     by_value
      - .offset:         120
        .size:           8
        .value_kind:     by_value
      - .offset:         128
        .size:           4
        .value_kind:     by_value
      - .offset:         136
        .size:           4
        .value_kind:     hidden_block_count_x
      - .offset:         140
        .size:           4
        .value_kind:     hidden_block_count_y
      - .offset:         144
        .size:           4
        .value_kind:     hidden_block_count_z
      - .offset:         148
        .size:           2
        .value_kind:     hidden_group_size_x
      - .offset:         150
        .size:           2
        .value_kind:     hidden_group_size_y
      - .offset:         152
        .size:           2
        .value_kind:     hidden_group_size_z
      - .offset:         154
        .size:           2
        .value_kind:     hidden_remainder_x
      - .offset:         156
        .size:           2
        .value_kind:     hidden_remainder_y
      - .offset:         158
        .size:           2
        .value_kind:     hidden_remainder_z
      - .offset:         176
        .size:           8
        .value_kind:     hidden_global_offset_x
      - .offset:         184
        .size:           8
        .value_kind:     hidden_global_offset_y
      - .offset:         192
        .size:           8
        .value_kind:     hidden_global_offset_z
      - .offset:         200
        .size:           2
        .value_kind:     hidden_grid_dims
    .group_segment_fixed_size: 16384
    .kernarg_segment_align: 8
    .kernarg_segment_size: 392
    .language:       OpenCL C
    .language_version:
      - 2
      - 0
    .max_flat_workgroup_size: 1024
    .name:           _ZL30rocblas_trmm_outofplace_kernelI19rocblas_complex_numIfELi32ELi2ELb1ELb1ELb1ELb1ES1_KS1_S1_Ev17rocblas_diagonal_iiT6_lPT7_lllS6_lllPT8_llli
    .private_segment_fixed_size: 0
    .sgpr_count:     64
    .sgpr_spill_count: 0
    .symbol:         _ZL30rocblas_trmm_outofplace_kernelI19rocblas_complex_numIfELi32ELi2ELb1ELb1ELb1ELb1ES1_KS1_S1_Ev17rocblas_diagonal_iiT6_lPT7_lllS6_lllPT8_llli.kd
    .uniform_work_group_size: 1
    .uses_dynamic_stack: false
    .vgpr_count:     82
    .vgpr_spill_count: 0
    .wavefront_size: 64
  - .agpr_count:     0
    .args:
      - .offset:         0
        .size:           4
        .value_kind:     by_value
      - .offset:         4
        .size:           4
        .value_kind:     by_value
      - .offset:         8
        .size:           4
        .value_kind:     by_value
      - .address_space:  global
        .offset:         16
        .size:           8
        .value_kind:     global_buffer
      - .offset:         24
        .size:           8
        .value_kind:     by_value
      - .address_space:  global
        .offset:         32
        .size:           8
        .value_kind:     global_buffer
      - .offset:         40
        .size:           8
        .value_kind:     by_value
      - .offset:         48
        .size:           8
        .value_kind:     by_value
      - .offset:         56
        .size:           8
        .value_kind:     by_value
      - .address_space:  global
        .offset:         64
        .size:           8
        .value_kind:     global_buffer
      - .offset:         72
        .size:           8
        .value_kind:     by_value
      - .offset:         80
        .size:           8
        .value_kind:     by_value
      - .offset:         88
        .size:           8
        .value_kind:     by_value
      - .address_space:  global
        .offset:         96
        .size:           8
        .value_kind:     global_buffer
      - .offset:         104
        .size:           8
        .value_kind:     by_value
      - .offset:         112
        .size:           8
        .value_kind:     by_value
      - .offset:         120
        .size:           8
        .value_kind:     by_value
      - .offset:         128
        .size:           4
        .value_kind:     by_value
      - .offset:         136
        .size:           4
        .value_kind:     hidden_block_count_x
      - .offset:         140
        .size:           4
        .value_kind:     hidden_block_count_y
      - .offset:         144
        .size:           4
        .value_kind:     hidden_block_count_z
      - .offset:         148
        .size:           2
        .value_kind:     hidden_group_size_x
      - .offset:         150
        .size:           2
        .value_kind:     hidden_group_size_y
      - .offset:         152
        .size:           2
        .value_kind:     hidden_group_size_z
      - .offset:         154
        .size:           2
        .value_kind:     hidden_remainder_x
      - .offset:         156
        .size:           2
        .value_kind:     hidden_remainder_y
      - .offset:         158
        .size:           2
        .value_kind:     hidden_remainder_z
      - .offset:         176
        .size:           8
        .value_kind:     hidden_global_offset_x
      - .offset:         184
        .size:           8
        .value_kind:     hidden_global_offset_y
      - .offset:         192
        .size:           8
        .value_kind:     hidden_global_offset_z
      - .offset:         200
        .size:           2
        .value_kind:     hidden_grid_dims
    .group_segment_fixed_size: 16384
    .kernarg_segment_align: 8
    .kernarg_segment_size: 392
    .language:       OpenCL C
    .language_version:
      - 2
      - 0
    .max_flat_workgroup_size: 1024
    .name:           _ZL30rocblas_trmm_outofplace_kernelI19rocblas_complex_numIfELi32ELi2ELb0ELb0ELb0ELb0EPKS1_S2_S1_Ev17rocblas_diagonal_iiT6_lPT7_lllS7_lllPT8_llli
    .private_segment_fixed_size: 0
    .sgpr_count:     72
    .sgpr_spill_count: 0
    .symbol:         _ZL30rocblas_trmm_outofplace_kernelI19rocblas_complex_numIfELi32ELi2ELb0ELb0ELb0ELb0EPKS1_S2_S1_Ev17rocblas_diagonal_iiT6_lPT7_lllS7_lllPT8_llli.kd
    .uniform_work_group_size: 1
    .uses_dynamic_stack: false
    .vgpr_count:     86
    .vgpr_spill_count: 0
    .wavefront_size: 64
  - .agpr_count:     0
    .args:
      - .offset:         0
        .size:           4
        .value_kind:     by_value
      - .offset:         4
        .size:           4
        .value_kind:     by_value
      - .offset:         8
        .size:           4
        .value_kind:     by_value
      - .offset:         12
        .size:           8
        .value_kind:     by_value
      - .offset:         24
        .size:           8
        .value_kind:     by_value
      - .address_space:  global
        .offset:         32
        .size:           8
        .value_kind:     global_buffer
      - .offset:         40
        .size:           8
        .value_kind:     by_value
      - .offset:         48
        .size:           8
        .value_kind:     by_value
      - .offset:         56
        .size:           8
        .value_kind:     by_value
      - .address_space:  global
        .offset:         64
        .size:           8
        .value_kind:     global_buffer
      - .offset:         72
        .size:           8
        .value_kind:     by_value
      - .offset:         80
        .size:           8
        .value_kind:     by_value
      - .offset:         88
        .size:           8
        .value_kind:     by_value
      - .address_space:  global
        .offset:         96
        .size:           8
        .value_kind:     global_buffer
      - .offset:         104
        .size:           8
        .value_kind:     by_value
      - .offset:         112
        .size:           8
        .value_kind:     by_value
      - .offset:         120
        .size:           8
        .value_kind:     by_value
      - .offset:         128
        .size:           4
        .value_kind:     by_value
      - .offset:         136
        .size:           4
        .value_kind:     hidden_block_count_x
      - .offset:         140
        .size:           4
        .value_kind:     hidden_block_count_y
      - .offset:         144
        .size:           4
        .value_kind:     hidden_block_count_z
      - .offset:         148
        .size:           2
        .value_kind:     hidden_group_size_x
      - .offset:         150
        .size:           2
        .value_kind:     hidden_group_size_y
      - .offset:         152
        .size:           2
        .value_kind:     hidden_group_size_z
      - .offset:         154
        .size:           2
        .value_kind:     hidden_remainder_x
      - .offset:         156
        .size:           2
        .value_kind:     hidden_remainder_y
      - .offset:         158
        .size:           2
        .value_kind:     hidden_remainder_z
      - .offset:         176
        .size:           8
        .value_kind:     hidden_global_offset_x
      - .offset:         184
        .size:           8
        .value_kind:     hidden_global_offset_y
      - .offset:         192
        .size:           8
        .value_kind:     hidden_global_offset_z
      - .offset:         200
        .size:           2
        .value_kind:     hidden_grid_dims
    .group_segment_fixed_size: 16384
    .kernarg_segment_align: 8
    .kernarg_segment_size: 392
    .language:       OpenCL C
    .language_version:
      - 2
      - 0
    .max_flat_workgroup_size: 1024
    .name:           _ZL30rocblas_trmm_outofplace_kernelI19rocblas_complex_numIfELi32ELi2ELb0ELb0ELb0ELb0ES1_KS1_S1_Ev17rocblas_diagonal_iiT6_lPT7_lllS6_lllPT8_llli
    .private_segment_fixed_size: 0
    .sgpr_count:     74
    .sgpr_spill_count: 0
    .symbol:         _ZL30rocblas_trmm_outofplace_kernelI19rocblas_complex_numIfELi32ELi2ELb0ELb0ELb0ELb0ES1_KS1_S1_Ev17rocblas_diagonal_iiT6_lPT7_lllS6_lllPT8_llli.kd
    .uniform_work_group_size: 1
    .uses_dynamic_stack: false
    .vgpr_count:     86
    .vgpr_spill_count: 0
    .wavefront_size: 64
  - .agpr_count:     0
    .args:
      - .offset:         0
        .size:           4
        .value_kind:     by_value
      - .offset:         4
        .size:           4
        .value_kind:     by_value
      - .offset:         8
        .size:           4
        .value_kind:     by_value
      - .address_space:  global
        .offset:         16
        .size:           8
        .value_kind:     global_buffer
      - .offset:         24
        .size:           8
        .value_kind:     by_value
      - .address_space:  global
        .offset:         32
        .size:           8
        .value_kind:     global_buffer
      - .offset:         40
        .size:           8
        .value_kind:     by_value
      - .offset:         48
        .size:           8
        .value_kind:     by_value
      - .offset:         56
        .size:           8
        .value_kind:     by_value
      - .address_space:  global
        .offset:         64
        .size:           8
        .value_kind:     global_buffer
      - .offset:         72
        .size:           8
        .value_kind:     by_value
      - .offset:         80
        .size:           8
        .value_kind:     by_value
      - .offset:         88
        .size:           8
        .value_kind:     by_value
      - .address_space:  global
        .offset:         96
        .size:           8
        .value_kind:     global_buffer
      - .offset:         104
        .size:           8
        .value_kind:     by_value
      - .offset:         112
        .size:           8
        .value_kind:     by_value
      - .offset:         120
        .size:           8
        .value_kind:     by_value
      - .offset:         128
        .size:           4
        .value_kind:     by_value
      - .offset:         136
        .size:           4
        .value_kind:     hidden_block_count_x
      - .offset:         140
        .size:           4
        .value_kind:     hidden_block_count_y
      - .offset:         144
        .size:           4
        .value_kind:     hidden_block_count_z
      - .offset:         148
        .size:           2
        .value_kind:     hidden_group_size_x
      - .offset:         150
        .size:           2
        .value_kind:     hidden_group_size_y
      - .offset:         152
        .size:           2
        .value_kind:     hidden_group_size_z
      - .offset:         154
        .size:           2
        .value_kind:     hidden_remainder_x
      - .offset:         156
        .size:           2
        .value_kind:     hidden_remainder_y
      - .offset:         158
        .size:           2
        .value_kind:     hidden_remainder_z
      - .offset:         176
        .size:           8
        .value_kind:     hidden_global_offset_x
      - .offset:         184
        .size:           8
        .value_kind:     hidden_global_offset_y
      - .offset:         192
        .size:           8
        .value_kind:     hidden_global_offset_z
      - .offset:         200
        .size:           2
        .value_kind:     hidden_grid_dims
    .group_segment_fixed_size: 16384
    .kernarg_segment_align: 8
    .kernarg_segment_size: 392
    .language:       OpenCL C
    .language_version:
      - 2
      - 0
    .max_flat_workgroup_size: 1024
    .name:           _ZL30rocblas_trmm_outofplace_kernelI19rocblas_complex_numIfELi32ELi2ELb0ELb1ELb0ELb0EPKS1_S2_S1_Ev17rocblas_diagonal_iiT6_lPT7_lllS7_lllPT8_llli
    .private_segment_fixed_size: 0
    .sgpr_count:     64
    .sgpr_spill_count: 0
    .symbol:         _ZL30rocblas_trmm_outofplace_kernelI19rocblas_complex_numIfELi32ELi2ELb0ELb1ELb0ELb0EPKS1_S2_S1_Ev17rocblas_diagonal_iiT6_lPT7_lllS7_lllPT8_llli.kd
    .uniform_work_group_size: 1
    .uses_dynamic_stack: false
    .vgpr_count:     90
    .vgpr_spill_count: 0
    .wavefront_size: 64
  - .agpr_count:     0
    .args:
      - .offset:         0
        .size:           4
        .value_kind:     by_value
      - .offset:         4
        .size:           4
        .value_kind:     by_value
      - .offset:         8
        .size:           4
        .value_kind:     by_value
      - .offset:         12
        .size:           8
        .value_kind:     by_value
      - .offset:         24
        .size:           8
        .value_kind:     by_value
      - .address_space:  global
        .offset:         32
        .size:           8
        .value_kind:     global_buffer
      - .offset:         40
        .size:           8
        .value_kind:     by_value
      - .offset:         48
        .size:           8
        .value_kind:     by_value
      - .offset:         56
        .size:           8
        .value_kind:     by_value
      - .address_space:  global
        .offset:         64
        .size:           8
        .value_kind:     global_buffer
      - .offset:         72
        .size:           8
        .value_kind:     by_value
      - .offset:         80
        .size:           8
        .value_kind:     by_value
      - .offset:         88
        .size:           8
        .value_kind:     by_value
      - .address_space:  global
        .offset:         96
        .size:           8
        .value_kind:     global_buffer
      - .offset:         104
        .size:           8
        .value_kind:     by_value
      - .offset:         112
        .size:           8
        .value_kind:     by_value
      - .offset:         120
        .size:           8
        .value_kind:     by_value
      - .offset:         128
        .size:           4
        .value_kind:     by_value
      - .offset:         136
        .size:           4
        .value_kind:     hidden_block_count_x
      - .offset:         140
        .size:           4
        .value_kind:     hidden_block_count_y
      - .offset:         144
        .size:           4
        .value_kind:     hidden_block_count_z
      - .offset:         148
        .size:           2
        .value_kind:     hidden_group_size_x
      - .offset:         150
        .size:           2
        .value_kind:     hidden_group_size_y
      - .offset:         152
        .size:           2
        .value_kind:     hidden_group_size_z
      - .offset:         154
        .size:           2
        .value_kind:     hidden_remainder_x
      - .offset:         156
        .size:           2
        .value_kind:     hidden_remainder_y
      - .offset:         158
        .size:           2
        .value_kind:     hidden_remainder_z
      - .offset:         176
        .size:           8
        .value_kind:     hidden_global_offset_x
      - .offset:         184
        .size:           8
        .value_kind:     hidden_global_offset_y
      - .offset:         192
        .size:           8
        .value_kind:     hidden_global_offset_z
      - .offset:         200
        .size:           2
        .value_kind:     hidden_grid_dims
    .group_segment_fixed_size: 16384
    .kernarg_segment_align: 8
    .kernarg_segment_size: 392
    .language:       OpenCL C
    .language_version:
      - 2
      - 0
    .max_flat_workgroup_size: 1024
    .name:           _ZL30rocblas_trmm_outofplace_kernelI19rocblas_complex_numIfELi32ELi2ELb0ELb1ELb0ELb0ES1_KS1_S1_Ev17rocblas_diagonal_iiT6_lPT7_lllS6_lllPT8_llli
    .private_segment_fixed_size: 0
    .sgpr_count:     66
    .sgpr_spill_count: 0
    .symbol:         _ZL30rocblas_trmm_outofplace_kernelI19rocblas_complex_numIfELi32ELi2ELb0ELb1ELb0ELb0ES1_KS1_S1_Ev17rocblas_diagonal_iiT6_lPT7_lllS6_lllPT8_llli.kd
    .uniform_work_group_size: 1
    .uses_dynamic_stack: false
    .vgpr_count:     90
    .vgpr_spill_count: 0
    .wavefront_size: 64
  - .agpr_count:     0
    .args:
      - .offset:         0
        .size:           4
        .value_kind:     by_value
      - .offset:         4
        .size:           4
        .value_kind:     by_value
      - .offset:         8
        .size:           4
        .value_kind:     by_value
      - .address_space:  global
        .offset:         16
        .size:           8
        .value_kind:     global_buffer
      - .offset:         24
        .size:           8
        .value_kind:     by_value
      - .address_space:  global
        .offset:         32
        .size:           8
        .value_kind:     global_buffer
      - .offset:         40
        .size:           8
        .value_kind:     by_value
      - .offset:         48
        .size:           8
        .value_kind:     by_value
      - .offset:         56
        .size:           8
        .value_kind:     by_value
      - .address_space:  global
        .offset:         64
        .size:           8
        .value_kind:     global_buffer
      - .offset:         72
        .size:           8
        .value_kind:     by_value
      - .offset:         80
        .size:           8
        .value_kind:     by_value
      - .offset:         88
        .size:           8
        .value_kind:     by_value
      - .address_space:  global
        .offset:         96
        .size:           8
        .value_kind:     global_buffer
      - .offset:         104
        .size:           8
        .value_kind:     by_value
      - .offset:         112
        .size:           8
        .value_kind:     by_value
      - .offset:         120
        .size:           8
        .value_kind:     by_value
      - .offset:         128
        .size:           4
        .value_kind:     by_value
      - .offset:         136
        .size:           4
        .value_kind:     hidden_block_count_x
      - .offset:         140
        .size:           4
        .value_kind:     hidden_block_count_y
      - .offset:         144
        .size:           4
        .value_kind:     hidden_block_count_z
      - .offset:         148
        .size:           2
        .value_kind:     hidden_group_size_x
      - .offset:         150
        .size:           2
        .value_kind:     hidden_group_size_y
      - .offset:         152
        .size:           2
        .value_kind:     hidden_group_size_z
      - .offset:         154
        .size:           2
        .value_kind:     hidden_remainder_x
      - .offset:         156
        .size:           2
        .value_kind:     hidden_remainder_y
      - .offset:         158
        .size:           2
        .value_kind:     hidden_remainder_z
      - .offset:         176
        .size:           8
        .value_kind:     hidden_global_offset_x
      - .offset:         184
        .size:           8
        .value_kind:     hidden_global_offset_y
      - .offset:         192
        .size:           8
        .value_kind:     hidden_global_offset_z
      - .offset:         200
        .size:           2
        .value_kind:     hidden_grid_dims
    .group_segment_fixed_size: 16384
    .kernarg_segment_align: 8
    .kernarg_segment_size: 392
    .language:       OpenCL C
    .language_version:
      - 2
      - 0
    .max_flat_workgroup_size: 1024
    .name:           _ZL30rocblas_trmm_outofplace_kernelI19rocblas_complex_numIfELi32ELi2ELb0ELb0ELb1ELb0EPKS1_S2_S1_Ev17rocblas_diagonal_iiT6_lPT7_lllS7_lllPT8_llli
    .private_segment_fixed_size: 0
    .sgpr_count:     58
    .sgpr_spill_count: 0
    .symbol:         _ZL30rocblas_trmm_outofplace_kernelI19rocblas_complex_numIfELi32ELi2ELb0ELb0ELb1ELb0EPKS1_S2_S1_Ev17rocblas_diagonal_iiT6_lPT7_lllS7_lllPT8_llli.kd
    .uniform_work_group_size: 1
    .uses_dynamic_stack: false
    .vgpr_count:     92
    .vgpr_spill_count: 0
    .wavefront_size: 64
  - .agpr_count:     0
    .args:
      - .offset:         0
        .size:           4
        .value_kind:     by_value
      - .offset:         4
        .size:           4
        .value_kind:     by_value
      - .offset:         8
        .size:           4
        .value_kind:     by_value
      - .offset:         12
        .size:           8
        .value_kind:     by_value
      - .offset:         24
        .size:           8
        .value_kind:     by_value
      - .address_space:  global
        .offset:         32
        .size:           8
        .value_kind:     global_buffer
      - .offset:         40
        .size:           8
        .value_kind:     by_value
      - .offset:         48
        .size:           8
        .value_kind:     by_value
      - .offset:         56
        .size:           8
        .value_kind:     by_value
      - .address_space:  global
        .offset:         64
        .size:           8
        .value_kind:     global_buffer
      - .offset:         72
        .size:           8
        .value_kind:     by_value
      - .offset:         80
        .size:           8
        .value_kind:     by_value
      - .offset:         88
        .size:           8
        .value_kind:     by_value
      - .address_space:  global
        .offset:         96
        .size:           8
        .value_kind:     global_buffer
      - .offset:         104
        .size:           8
        .value_kind:     by_value
      - .offset:         112
        .size:           8
        .value_kind:     by_value
      - .offset:         120
        .size:           8
        .value_kind:     by_value
      - .offset:         128
        .size:           4
        .value_kind:     by_value
      - .offset:         136
        .size:           4
        .value_kind:     hidden_block_count_x
      - .offset:         140
        .size:           4
        .value_kind:     hidden_block_count_y
      - .offset:         144
        .size:           4
        .value_kind:     hidden_block_count_z
      - .offset:         148
        .size:           2
        .value_kind:     hidden_group_size_x
      - .offset:         150
        .size:           2
        .value_kind:     hidden_group_size_y
      - .offset:         152
        .size:           2
        .value_kind:     hidden_group_size_z
      - .offset:         154
        .size:           2
        .value_kind:     hidden_remainder_x
      - .offset:         156
        .size:           2
        .value_kind:     hidden_remainder_y
      - .offset:         158
        .size:           2
        .value_kind:     hidden_remainder_z
      - .offset:         176
        .size:           8
        .value_kind:     hidden_global_offset_x
      - .offset:         184
        .size:           8
        .value_kind:     hidden_global_offset_y
      - .offset:         192
        .size:           8
        .value_kind:     hidden_global_offset_z
      - .offset:         200
        .size:           2
        .value_kind:     hidden_grid_dims
    .group_segment_fixed_size: 16384
    .kernarg_segment_align: 8
    .kernarg_segment_size: 392
    .language:       OpenCL C
    .language_version:
      - 2
      - 0
    .max_flat_workgroup_size: 1024
    .name:           _ZL30rocblas_trmm_outofplace_kernelI19rocblas_complex_numIfELi32ELi2ELb0ELb0ELb1ELb0ES1_KS1_S1_Ev17rocblas_diagonal_iiT6_lPT7_lllS6_lllPT8_llli
    .private_segment_fixed_size: 0
    .sgpr_count:     60
    .sgpr_spill_count: 0
    .symbol:         _ZL30rocblas_trmm_outofplace_kernelI19rocblas_complex_numIfELi32ELi2ELb0ELb0ELb1ELb0ES1_KS1_S1_Ev17rocblas_diagonal_iiT6_lPT7_lllS6_lllPT8_llli.kd
    .uniform_work_group_size: 1
    .uses_dynamic_stack: false
    .vgpr_count:     92
    .vgpr_spill_count: 0
    .wavefront_size: 64
  - .agpr_count:     0
    .args:
      - .offset:         0
        .size:           4
        .value_kind:     by_value
      - .offset:         4
        .size:           4
        .value_kind:     by_value
      - .offset:         8
        .size:           4
        .value_kind:     by_value
      - .address_space:  global
        .offset:         16
        .size:           8
        .value_kind:     global_buffer
      - .offset:         24
        .size:           8
        .value_kind:     by_value
      - .address_space:  global
        .offset:         32
        .size:           8
        .value_kind:     global_buffer
      - .offset:         40
        .size:           8
        .value_kind:     by_value
      - .offset:         48
        .size:           8
        .value_kind:     by_value
      - .offset:         56
        .size:           8
        .value_kind:     by_value
      - .address_space:  global
        .offset:         64
        .size:           8
        .value_kind:     global_buffer
      - .offset:         72
        .size:           8
        .value_kind:     by_value
      - .offset:         80
        .size:           8
        .value_kind:     by_value
      - .offset:         88
        .size:           8
        .value_kind:     by_value
      - .address_space:  global
        .offset:         96
        .size:           8
        .value_kind:     global_buffer
      - .offset:         104
        .size:           8
        .value_kind:     by_value
      - .offset:         112
        .size:           8
        .value_kind:     by_value
      - .offset:         120
        .size:           8
        .value_kind:     by_value
      - .offset:         128
        .size:           4
        .value_kind:     by_value
      - .offset:         136
        .size:           4
        .value_kind:     hidden_block_count_x
      - .offset:         140
        .size:           4
        .value_kind:     hidden_block_count_y
      - .offset:         144
        .size:           4
        .value_kind:     hidden_block_count_z
      - .offset:         148
        .size:           2
        .value_kind:     hidden_group_size_x
      - .offset:         150
        .size:           2
        .value_kind:     hidden_group_size_y
      - .offset:         152
        .size:           2
        .value_kind:     hidden_group_size_z
      - .offset:         154
        .size:           2
        .value_kind:     hidden_remainder_x
      - .offset:         156
        .size:           2
        .value_kind:     hidden_remainder_y
      - .offset:         158
        .size:           2
        .value_kind:     hidden_remainder_z
      - .offset:         176
        .size:           8
        .value_kind:     hidden_global_offset_x
      - .offset:         184
        .size:           8
        .value_kind:     hidden_global_offset_y
      - .offset:         192
        .size:           8
        .value_kind:     hidden_global_offset_z
      - .offset:         200
        .size:           2
        .value_kind:     hidden_grid_dims
    .group_segment_fixed_size: 16384
    .kernarg_segment_align: 8
    .kernarg_segment_size: 392
    .language:       OpenCL C
    .language_version:
      - 2
      - 0
    .max_flat_workgroup_size: 1024
    .name:           _ZL30rocblas_trmm_outofplace_kernelI19rocblas_complex_numIfELi32ELi2ELb0ELb1ELb1ELb0EPKS1_S2_S1_Ev17rocblas_diagonal_iiT6_lPT7_lllS7_lllPT8_llli
    .private_segment_fixed_size: 0
    .sgpr_count:     74
    .sgpr_spill_count: 0
    .symbol:         _ZL30rocblas_trmm_outofplace_kernelI19rocblas_complex_numIfELi32ELi2ELb0ELb1ELb1ELb0EPKS1_S2_S1_Ev17rocblas_diagonal_iiT6_lPT7_lllS7_lllPT8_llli.kd
    .uniform_work_group_size: 1
    .uses_dynamic_stack: false
    .vgpr_count:     86
    .vgpr_spill_count: 0
    .wavefront_size: 64
  - .agpr_count:     0
    .args:
      - .offset:         0
        .size:           4
        .value_kind:     by_value
      - .offset:         4
        .size:           4
        .value_kind:     by_value
      - .offset:         8
        .size:           4
        .value_kind:     by_value
      - .offset:         12
        .size:           8
        .value_kind:     by_value
      - .offset:         24
        .size:           8
        .value_kind:     by_value
      - .address_space:  global
        .offset:         32
        .size:           8
        .value_kind:     global_buffer
      - .offset:         40
        .size:           8
        .value_kind:     by_value
      - .offset:         48
        .size:           8
        .value_kind:     by_value
      - .offset:         56
        .size:           8
        .value_kind:     by_value
      - .address_space:  global
        .offset:         64
        .size:           8
        .value_kind:     global_buffer
      - .offset:         72
        .size:           8
        .value_kind:     by_value
      - .offset:         80
        .size:           8
        .value_kind:     by_value
      - .offset:         88
        .size:           8
        .value_kind:     by_value
      - .address_space:  global
        .offset:         96
        .size:           8
        .value_kind:     global_buffer
      - .offset:         104
        .size:           8
        .value_kind:     by_value
      - .offset:         112
        .size:           8
        .value_kind:     by_value
      - .offset:         120
        .size:           8
        .value_kind:     by_value
      - .offset:         128
        .size:           4
        .value_kind:     by_value
      - .offset:         136
        .size:           4
        .value_kind:     hidden_block_count_x
      - .offset:         140
        .size:           4
        .value_kind:     hidden_block_count_y
      - .offset:         144
        .size:           4
        .value_kind:     hidden_block_count_z
      - .offset:         148
        .size:           2
        .value_kind:     hidden_group_size_x
      - .offset:         150
        .size:           2
        .value_kind:     hidden_group_size_y
      - .offset:         152
        .size:           2
        .value_kind:     hidden_group_size_z
      - .offset:         154
        .size:           2
        .value_kind:     hidden_remainder_x
      - .offset:         156
        .size:           2
        .value_kind:     hidden_remainder_y
      - .offset:         158
        .size:           2
        .value_kind:     hidden_remainder_z
      - .offset:         176
        .size:           8
        .value_kind:     hidden_global_offset_x
      - .offset:         184
        .size:           8
        .value_kind:     hidden_global_offset_y
      - .offset:         192
        .size:           8
        .value_kind:     hidden_global_offset_z
      - .offset:         200
        .size:           2
        .value_kind:     hidden_grid_dims
    .group_segment_fixed_size: 16384
    .kernarg_segment_align: 8
    .kernarg_segment_size: 392
    .language:       OpenCL C
    .language_version:
      - 2
      - 0
    .max_flat_workgroup_size: 1024
    .name:           _ZL30rocblas_trmm_outofplace_kernelI19rocblas_complex_numIfELi32ELi2ELb0ELb1ELb1ELb0ES1_KS1_S1_Ev17rocblas_diagonal_iiT6_lPT7_lllS6_lllPT8_llli
    .private_segment_fixed_size: 0
    .sgpr_count:     76
    .sgpr_spill_count: 0
    .symbol:         _ZL30rocblas_trmm_outofplace_kernelI19rocblas_complex_numIfELi32ELi2ELb0ELb1ELb1ELb0ES1_KS1_S1_Ev17rocblas_diagonal_iiT6_lPT7_lllS6_lllPT8_llli.kd
    .uniform_work_group_size: 1
    .uses_dynamic_stack: false
    .vgpr_count:     86
    .vgpr_spill_count: 0
    .wavefront_size: 64
  - .agpr_count:     0
    .args:
      - .offset:         0
        .size:           4
        .value_kind:     by_value
      - .offset:         4
        .size:           4
        .value_kind:     by_value
      - .offset:         8
        .size:           4
        .value_kind:     by_value
      - .address_space:  global
        .offset:         16
        .size:           8
        .value_kind:     global_buffer
      - .offset:         24
        .size:           8
        .value_kind:     by_value
      - .address_space:  global
        .offset:         32
        .size:           8
        .value_kind:     global_buffer
      - .offset:         40
        .size:           8
        .value_kind:     by_value
      - .offset:         48
        .size:           8
        .value_kind:     by_value
      - .offset:         56
        .size:           8
        .value_kind:     by_value
      - .address_space:  global
        .offset:         64
        .size:           8
        .value_kind:     global_buffer
      - .offset:         72
        .size:           8
        .value_kind:     by_value
      - .offset:         80
        .size:           8
        .value_kind:     by_value
      - .offset:         88
        .size:           8
        .value_kind:     by_value
      - .address_space:  global
        .offset:         96
        .size:           8
        .value_kind:     global_buffer
      - .offset:         104
        .size:           8
        .value_kind:     by_value
      - .offset:         112
        .size:           8
        .value_kind:     by_value
      - .offset:         120
        .size:           8
        .value_kind:     by_value
      - .offset:         128
        .size:           4
        .value_kind:     by_value
      - .offset:         136
        .size:           4
        .value_kind:     hidden_block_count_x
      - .offset:         140
        .size:           4
        .value_kind:     hidden_block_count_y
      - .offset:         144
        .size:           4
        .value_kind:     hidden_block_count_z
      - .offset:         148
        .size:           2
        .value_kind:     hidden_group_size_x
      - .offset:         150
        .size:           2
        .value_kind:     hidden_group_size_y
      - .offset:         152
        .size:           2
        .value_kind:     hidden_group_size_z
      - .offset:         154
        .size:           2
        .value_kind:     hidden_remainder_x
      - .offset:         156
        .size:           2
        .value_kind:     hidden_remainder_y
      - .offset:         158
        .size:           2
        .value_kind:     hidden_remainder_z
      - .offset:         176
        .size:           8
        .value_kind:     hidden_global_offset_x
      - .offset:         184
        .size:           8
        .value_kind:     hidden_global_offset_y
      - .offset:         192
        .size:           8
        .value_kind:     hidden_global_offset_z
      - .offset:         200
        .size:           2
        .value_kind:     hidden_grid_dims
    .group_segment_fixed_size: 16384
    .kernarg_segment_align: 8
    .kernarg_segment_size: 392
    .language:       OpenCL C
    .language_version:
      - 2
      - 0
    .max_flat_workgroup_size: 1024
    .name:           _ZL30rocblas_trmm_outofplace_kernelI19rocblas_complex_numIfELi32ELi2ELb0ELb0ELb1ELb1EPKS1_S2_S1_Ev17rocblas_diagonal_iiT6_lPT7_lllS7_lllPT8_llli
    .private_segment_fixed_size: 0
    .sgpr_count:     58
    .sgpr_spill_count: 0
    .symbol:         _ZL30rocblas_trmm_outofplace_kernelI19rocblas_complex_numIfELi32ELi2ELb0ELb0ELb1ELb1EPKS1_S2_S1_Ev17rocblas_diagonal_iiT6_lPT7_lllS7_lllPT8_llli.kd
    .uniform_work_group_size: 1
    .uses_dynamic_stack: false
    .vgpr_count:     92
    .vgpr_spill_count: 0
    .wavefront_size: 64
  - .agpr_count:     0
    .args:
      - .offset:         0
        .size:           4
        .value_kind:     by_value
      - .offset:         4
        .size:           4
        .value_kind:     by_value
      - .offset:         8
        .size:           4
        .value_kind:     by_value
      - .offset:         12
        .size:           8
        .value_kind:     by_value
      - .offset:         24
        .size:           8
        .value_kind:     by_value
      - .address_space:  global
        .offset:         32
        .size:           8
        .value_kind:     global_buffer
      - .offset:         40
        .size:           8
        .value_kind:     by_value
      - .offset:         48
        .size:           8
        .value_kind:     by_value
      - .offset:         56
        .size:           8
        .value_kind:     by_value
      - .address_space:  global
        .offset:         64
        .size:           8
        .value_kind:     global_buffer
      - .offset:         72
        .size:           8
        .value_kind:     by_value
      - .offset:         80
        .size:           8
        .value_kind:     by_value
      - .offset:         88
        .size:           8
        .value_kind:     by_value
      - .address_space:  global
        .offset:         96
        .size:           8
        .value_kind:     global_buffer
      - .offset:         104
        .size:           8
        .value_kind:     by_value
      - .offset:         112
        .size:           8
        .value_kind:     by_value
      - .offset:         120
        .size:           8
        .value_kind:     by_value
      - .offset:         128
        .size:           4
        .value_kind:     by_value
      - .offset:         136
        .size:           4
        .value_kind:     hidden_block_count_x
      - .offset:         140
        .size:           4
        .value_kind:     hidden_block_count_y
      - .offset:         144
        .size:           4
        .value_kind:     hidden_block_count_z
      - .offset:         148
        .size:           2
        .value_kind:     hidden_group_size_x
      - .offset:         150
        .size:           2
        .value_kind:     hidden_group_size_y
      - .offset:         152
        .size:           2
        .value_kind:     hidden_group_size_z
      - .offset:         154
        .size:           2
        .value_kind:     hidden_remainder_x
      - .offset:         156
        .size:           2
        .value_kind:     hidden_remainder_y
      - .offset:         158
        .size:           2
        .value_kind:     hidden_remainder_z
      - .offset:         176
        .size:           8
        .value_kind:     hidden_global_offset_x
      - .offset:         184
        .size:           8
        .value_kind:     hidden_global_offset_y
      - .offset:         192
        .size:           8
        .value_kind:     hidden_global_offset_z
      - .offset:         200
        .size:           2
        .value_kind:     hidden_grid_dims
    .group_segment_fixed_size: 16384
    .kernarg_segment_align: 8
    .kernarg_segment_size: 392
    .language:       OpenCL C
    .language_version:
      - 2
      - 0
    .max_flat_workgroup_size: 1024
    .name:           _ZL30rocblas_trmm_outofplace_kernelI19rocblas_complex_numIfELi32ELi2ELb0ELb0ELb1ELb1ES1_KS1_S1_Ev17rocblas_diagonal_iiT6_lPT7_lllS6_lllPT8_llli
    .private_segment_fixed_size: 0
    .sgpr_count:     60
    .sgpr_spill_count: 0
    .symbol:         _ZL30rocblas_trmm_outofplace_kernelI19rocblas_complex_numIfELi32ELi2ELb0ELb0ELb1ELb1ES1_KS1_S1_Ev17rocblas_diagonal_iiT6_lPT7_lllS6_lllPT8_llli.kd
    .uniform_work_group_size: 1
    .uses_dynamic_stack: false
    .vgpr_count:     92
    .vgpr_spill_count: 0
    .wavefront_size: 64
  - .agpr_count:     0
    .args:
      - .offset:         0
        .size:           4
        .value_kind:     by_value
      - .offset:         4
        .size:           4
        .value_kind:     by_value
      - .offset:         8
        .size:           4
        .value_kind:     by_value
      - .address_space:  global
        .offset:         16
        .size:           8
        .value_kind:     global_buffer
      - .offset:         24
        .size:           8
        .value_kind:     by_value
      - .address_space:  global
        .offset:         32
        .size:           8
        .value_kind:     global_buffer
      - .offset:         40
        .size:           8
        .value_kind:     by_value
      - .offset:         48
        .size:           8
        .value_kind:     by_value
      - .offset:         56
        .size:           8
        .value_kind:     by_value
      - .address_space:  global
        .offset:         64
        .size:           8
        .value_kind:     global_buffer
      - .offset:         72
        .size:           8
        .value_kind:     by_value
      - .offset:         80
        .size:           8
        .value_kind:     by_value
      - .offset:         88
        .size:           8
        .value_kind:     by_value
      - .address_space:  global
        .offset:         96
        .size:           8
        .value_kind:     global_buffer
      - .offset:         104
        .size:           8
        .value_kind:     by_value
      - .offset:         112
        .size:           8
        .value_kind:     by_value
      - .offset:         120
        .size:           8
        .value_kind:     by_value
      - .offset:         128
        .size:           4
        .value_kind:     by_value
      - .offset:         136
        .size:           4
        .value_kind:     hidden_block_count_x
      - .offset:         140
        .size:           4
        .value_kind:     hidden_block_count_y
      - .offset:         144
        .size:           4
        .value_kind:     hidden_block_count_z
      - .offset:         148
        .size:           2
        .value_kind:     hidden_group_size_x
      - .offset:         150
        .size:           2
        .value_kind:     hidden_group_size_y
      - .offset:         152
        .size:           2
        .value_kind:     hidden_group_size_z
      - .offset:         154
        .size:           2
        .value_kind:     hidden_remainder_x
      - .offset:         156
        .size:           2
        .value_kind:     hidden_remainder_y
      - .offset:         158
        .size:           2
        .value_kind:     hidden_remainder_z
      - .offset:         176
        .size:           8
        .value_kind:     hidden_global_offset_x
      - .offset:         184
        .size:           8
        .value_kind:     hidden_global_offset_y
      - .offset:         192
        .size:           8
        .value_kind:     hidden_global_offset_z
      - .offset:         200
        .size:           2
        .value_kind:     hidden_grid_dims
    .group_segment_fixed_size: 16384
    .kernarg_segment_align: 8
    .kernarg_segment_size: 392
    .language:       OpenCL C
    .language_version:
      - 2
      - 0
    .max_flat_workgroup_size: 1024
    .name:           _ZL30rocblas_trmm_outofplace_kernelI19rocblas_complex_numIfELi32ELi2ELb0ELb1ELb1ELb1EPKS1_S2_S1_Ev17rocblas_diagonal_iiT6_lPT7_lllS7_lllPT8_llli
    .private_segment_fixed_size: 0
    .sgpr_count:     74
    .sgpr_spill_count: 0
    .symbol:         _ZL30rocblas_trmm_outofplace_kernelI19rocblas_complex_numIfELi32ELi2ELb0ELb1ELb1ELb1EPKS1_S2_S1_Ev17rocblas_diagonal_iiT6_lPT7_lllS7_lllPT8_llli.kd
    .uniform_work_group_size: 1
    .uses_dynamic_stack: false
    .vgpr_count:     80
    .vgpr_spill_count: 0
    .wavefront_size: 64
  - .agpr_count:     0
    .args:
      - .offset:         0
        .size:           4
        .value_kind:     by_value
      - .offset:         4
        .size:           4
        .value_kind:     by_value
      - .offset:         8
        .size:           4
        .value_kind:     by_value
      - .offset:         12
        .size:           8
        .value_kind:     by_value
      - .offset:         24
        .size:           8
        .value_kind:     by_value
      - .address_space:  global
        .offset:         32
        .size:           8
        .value_kind:     global_buffer
      - .offset:         40
        .size:           8
        .value_kind:     by_value
      - .offset:         48
        .size:           8
        .value_kind:     by_value
      - .offset:         56
        .size:           8
        .value_kind:     by_value
      - .address_space:  global
        .offset:         64
        .size:           8
        .value_kind:     global_buffer
      - .offset:         72
        .size:           8
        .value_kind:     by_value
      - .offset:         80
        .size:           8
        .value_kind:     by_value
      - .offset:         88
        .size:           8
        .value_kind:     by_value
      - .address_space:  global
        .offset:         96
        .size:           8
        .value_kind:     global_buffer
      - .offset:         104
        .size:           8
        .value_kind:     by_value
      - .offset:         112
        .size:           8
        .value_kind:     by_value
      - .offset:         120
        .size:           8
        .value_kind:     by_value
      - .offset:         128
        .size:           4
        .value_kind:     by_value
      - .offset:         136
        .size:           4
        .value_kind:     hidden_block_count_x
      - .offset:         140
        .size:           4
        .value_kind:     hidden_block_count_y
      - .offset:         144
        .size:           4
        .value_kind:     hidden_block_count_z
      - .offset:         148
        .size:           2
        .value_kind:     hidden_group_size_x
      - .offset:         150
        .size:           2
        .value_kind:     hidden_group_size_y
      - .offset:         152
        .size:           2
        .value_kind:     hidden_group_size_z
      - .offset:         154
        .size:           2
        .value_kind:     hidden_remainder_x
      - .offset:         156
        .size:           2
        .value_kind:     hidden_remainder_y
      - .offset:         158
        .size:           2
        .value_kind:     hidden_remainder_z
      - .offset:         176
        .size:           8
        .value_kind:     hidden_global_offset_x
      - .offset:         184
        .size:           8
        .value_kind:     hidden_global_offset_y
      - .offset:         192
        .size:           8
        .value_kind:     hidden_global_offset_z
      - .offset:         200
        .size:           2
        .value_kind:     hidden_grid_dims
    .group_segment_fixed_size: 16384
    .kernarg_segment_align: 8
    .kernarg_segment_size: 392
    .language:       OpenCL C
    .language_version:
      - 2
      - 0
    .max_flat_workgroup_size: 1024
    .name:           _ZL30rocblas_trmm_outofplace_kernelI19rocblas_complex_numIfELi32ELi2ELb0ELb1ELb1ELb1ES1_KS1_S1_Ev17rocblas_diagonal_iiT6_lPT7_lllS6_lllPT8_llli
    .private_segment_fixed_size: 0
    .sgpr_count:     76
    .sgpr_spill_count: 0
    .symbol:         _ZL30rocblas_trmm_outofplace_kernelI19rocblas_complex_numIfELi32ELi2ELb0ELb1ELb1ELb1ES1_KS1_S1_Ev17rocblas_diagonal_iiT6_lPT7_lllS6_lllPT8_llli.kd
    .uniform_work_group_size: 1
    .uses_dynamic_stack: false
    .vgpr_count:     80
    .vgpr_spill_count: 0
    .wavefront_size: 64
  - .agpr_count:     0
    .args:
      - .offset:         0
        .size:           4
        .value_kind:     by_value
      - .offset:         4
        .size:           4
        .value_kind:     by_value
      - .offset:         8
        .size:           4
        .value_kind:     by_value
      - .offset:         12
        .size:           4
        .value_kind:     by_value
      - .address_space:  global
        .offset:         16
        .size:           8
        .value_kind:     global_buffer
      - .offset:         24
        .size:           8
        .value_kind:     by_value
      - .address_space:  global
        .offset:         32
        .size:           8
        .value_kind:     global_buffer
      - .offset:         40
        .size:           8
        .value_kind:     by_value
      - .offset:         48
        .size:           8
        .value_kind:     by_value
      - .address_space:  global
        .offset:         56
        .size:           8
        .value_kind:     global_buffer
      - .offset:         64
        .size:           8
        .value_kind:     by_value
      - .offset:         72
        .size:           8
        .value_kind:     by_value
      - .address_space:  global
        .offset:         80
        .size:           8
        .value_kind:     global_buffer
      - .offset:         88
        .size:           8
        .value_kind:     by_value
      - .offset:         96
        .size:           8
        .value_kind:     by_value
      - .offset:         104
        .size:           4
        .value_kind:     by_value
    .group_segment_fixed_size: 4096
    .kernarg_segment_align: 8
    .kernarg_segment_size: 108
    .language:       OpenCL C
    .language_version:
      - 2
      - 0
    .max_flat_workgroup_size: 256
    .name:           _ZL23rocblas_trmm_lNx_kernelILi16E19rocblas_complex_numIfEPKS1_S2_S1_Ev13rocblas_fill_17rocblas_diagonal_iiT1_lPT2_llS8_llPT3_lli
    .private_segment_fixed_size: 0
    .sgpr_count:     32
    .sgpr_spill_count: 0
    .symbol:         _ZL23rocblas_trmm_lNx_kernelILi16E19rocblas_complex_numIfEPKS1_S2_S1_Ev13rocblas_fill_17rocblas_diagonal_iiT1_lPT2_llS8_llPT3_lli.kd
    .uniform_work_group_size: 1
    .uses_dynamic_stack: false
    .vgpr_count:     58
    .vgpr_spill_count: 0
    .wavefront_size: 64
  - .agpr_count:     0
    .args:
      - .offset:         0
        .size:           4
        .value_kind:     by_value
      - .offset:         4
        .size:           4
        .value_kind:     by_value
      - .offset:         8
        .size:           4
        .value_kind:     by_value
      - .offset:         12
        .size:           4
        .value_kind:     by_value
      - .offset:         16
        .size:           8
        .value_kind:     by_value
      - .offset:         24
        .size:           8
        .value_kind:     by_value
      - .address_space:  global
        .offset:         32
        .size:           8
        .value_kind:     global_buffer
      - .offset:         40
        .size:           8
        .value_kind:     by_value
      - .offset:         48
        .size:           8
        .value_kind:     by_value
      - .address_space:  global
        .offset:         56
        .size:           8
        .value_kind:     global_buffer
      - .offset:         64
        .size:           8
        .value_kind:     by_value
      - .offset:         72
        .size:           8
        .value_kind:     by_value
      - .address_space:  global
        .offset:         80
        .size:           8
        .value_kind:     global_buffer
      - .offset:         88
        .size:           8
        .value_kind:     by_value
      - .offset:         96
        .size:           8
        .value_kind:     by_value
      - .offset:         104
        .size:           4
        .value_kind:     by_value
    .group_segment_fixed_size: 4096
    .kernarg_segment_align: 8
    .kernarg_segment_size: 108
    .language:       OpenCL C
    .language_version:
      - 2
      - 0
    .max_flat_workgroup_size: 256
    .name:           _ZL23rocblas_trmm_lNx_kernelILi16E19rocblas_complex_numIfES1_KS1_S1_Ev13rocblas_fill_17rocblas_diagonal_iiT1_lPT2_llS7_llPT3_lli
    .private_segment_fixed_size: 0
    .sgpr_count:     36
    .sgpr_spill_count: 0
    .symbol:         _ZL23rocblas_trmm_lNx_kernelILi16E19rocblas_complex_numIfES1_KS1_S1_Ev13rocblas_fill_17rocblas_diagonal_iiT1_lPT2_llS7_llPT3_lli.kd
    .uniform_work_group_size: 1
    .uses_dynamic_stack: false
    .vgpr_count:     58
    .vgpr_spill_count: 0
    .wavefront_size: 64
  - .agpr_count:     0
    .args:
      - .offset:         0
        .size:           4
        .value_kind:     by_value
      - .offset:         4
        .size:           4
        .value_kind:     by_value
      - .offset:         8
        .size:           4
        .value_kind:     by_value
      - .offset:         12
        .size:           4
        .value_kind:     by_value
      - .address_space:  global
        .offset:         16
        .size:           8
        .value_kind:     global_buffer
      - .offset:         24
        .size:           8
        .value_kind:     by_value
      - .address_space:  global
        .offset:         32
        .size:           8
        .value_kind:     global_buffer
      - .offset:         40
        .size:           8
        .value_kind:     by_value
      - .offset:         48
        .size:           8
        .value_kind:     by_value
      - .address_space:  global
        .offset:         56
        .size:           8
        .value_kind:     global_buffer
      - .offset:         64
        .size:           8
        .value_kind:     by_value
      - .offset:         72
        .size:           8
        .value_kind:     by_value
      - .address_space:  global
        .offset:         80
        .size:           8
        .value_kind:     global_buffer
      - .offset:         88
        .size:           8
        .value_kind:     by_value
      - .offset:         96
        .size:           8
        .value_kind:     by_value
      - .offset:         104
        .size:           4
        .value_kind:     by_value
    .group_segment_fixed_size: 4096
    .kernarg_segment_align: 8
    .kernarg_segment_size: 108
    .language:       OpenCL C
    .language_version:
      - 2
      - 0
    .max_flat_workgroup_size: 256
    .name:           _ZL23rocblas_trmm_lTx_kernelILi16ELb0E19rocblas_complex_numIfEPKS1_S2_S1_Ev13rocblas_fill_17rocblas_diagonal_iiT2_lPT3_llS8_llPT4_lli
    .private_segment_fixed_size: 0
    .sgpr_count:     32
    .sgpr_spill_count: 0
    .symbol:         _ZL23rocblas_trmm_lTx_kernelILi16ELb0E19rocblas_complex_numIfEPKS1_S2_S1_Ev13rocblas_fill_17rocblas_diagonal_iiT2_lPT3_llS8_llPT4_lli.kd
    .uniform_work_group_size: 1
    .uses_dynamic_stack: false
    .vgpr_count:     58
    .vgpr_spill_count: 0
    .wavefront_size: 64
  - .agpr_count:     0
    .args:
      - .offset:         0
        .size:           4
        .value_kind:     by_value
      - .offset:         4
        .size:           4
        .value_kind:     by_value
      - .offset:         8
        .size:           4
        .value_kind:     by_value
      - .offset:         12
        .size:           4
        .value_kind:     by_value
      - .offset:         16
        .size:           8
        .value_kind:     by_value
      - .offset:         24
        .size:           8
        .value_kind:     by_value
      - .address_space:  global
        .offset:         32
        .size:           8
        .value_kind:     global_buffer
      - .offset:         40
        .size:           8
        .value_kind:     by_value
      - .offset:         48
        .size:           8
        .value_kind:     by_value
      - .address_space:  global
        .offset:         56
        .size:           8
        .value_kind:     global_buffer
      - .offset:         64
        .size:           8
        .value_kind:     by_value
      - .offset:         72
        .size:           8
        .value_kind:     by_value
      - .address_space:  global
        .offset:         80
        .size:           8
        .value_kind:     global_buffer
      - .offset:         88
        .size:           8
        .value_kind:     by_value
      - .offset:         96
        .size:           8
        .value_kind:     by_value
      - .offset:         104
        .size:           4
        .value_kind:     by_value
    .group_segment_fixed_size: 4096
    .kernarg_segment_align: 8
    .kernarg_segment_size: 108
    .language:       OpenCL C
    .language_version:
      - 2
      - 0
    .max_flat_workgroup_size: 256
    .name:           _ZL23rocblas_trmm_lTx_kernelILi16ELb0E19rocblas_complex_numIfES1_KS1_S1_Ev13rocblas_fill_17rocblas_diagonal_iiT2_lPT3_llS7_llPT4_lli
    .private_segment_fixed_size: 0
    .sgpr_count:     36
    .sgpr_spill_count: 0
    .symbol:         _ZL23rocblas_trmm_lTx_kernelILi16ELb0E19rocblas_complex_numIfES1_KS1_S1_Ev13rocblas_fill_17rocblas_diagonal_iiT2_lPT3_llS7_llPT4_lli.kd
    .uniform_work_group_size: 1
    .uses_dynamic_stack: false
    .vgpr_count:     58
    .vgpr_spill_count: 0
    .wavefront_size: 64
  - .agpr_count:     0
    .args:
      - .offset:         0
        .size:           4
        .value_kind:     by_value
      - .offset:         4
        .size:           4
        .value_kind:     by_value
      - .offset:         8
        .size:           4
        .value_kind:     by_value
      - .offset:         12
        .size:           4
        .value_kind:     by_value
      - .address_space:  global
        .offset:         16
        .size:           8
        .value_kind:     global_buffer
      - .offset:         24
        .size:           8
        .value_kind:     by_value
      - .address_space:  global
        .offset:         32
        .size:           8
        .value_kind:     global_buffer
      - .offset:         40
        .size:           8
        .value_kind:     by_value
      - .offset:         48
        .size:           8
        .value_kind:     by_value
      - .address_space:  global
        .offset:         56
        .size:           8
        .value_kind:     global_buffer
      - .offset:         64
        .size:           8
        .value_kind:     by_value
      - .offset:         72
        .size:           8
        .value_kind:     by_value
      - .address_space:  global
        .offset:         80
        .size:           8
        .value_kind:     global_buffer
      - .offset:         88
        .size:           8
        .value_kind:     by_value
      - .offset:         96
        .size:           8
        .value_kind:     by_value
      - .offset:         104
        .size:           4
        .value_kind:     by_value
    .group_segment_fixed_size: 4096
    .kernarg_segment_align: 8
    .kernarg_segment_size: 108
    .language:       OpenCL C
    .language_version:
      - 2
      - 0
    .max_flat_workgroup_size: 256
    .name:           _ZL23rocblas_trmm_lTx_kernelILi16ELb1E19rocblas_complex_numIfEPKS1_S2_S1_Ev13rocblas_fill_17rocblas_diagonal_iiT2_lPT3_llS8_llPT4_lli
    .private_segment_fixed_size: 0
    .sgpr_count:     32
    .sgpr_spill_count: 0
    .symbol:         _ZL23rocblas_trmm_lTx_kernelILi16ELb1E19rocblas_complex_numIfEPKS1_S2_S1_Ev13rocblas_fill_17rocblas_diagonal_iiT2_lPT3_llS8_llPT4_lli.kd
    .uniform_work_group_size: 1
    .uses_dynamic_stack: false
    .vgpr_count:     58
    .vgpr_spill_count: 0
    .wavefront_size: 64
  - .agpr_count:     0
    .args:
      - .offset:         0
        .size:           4
        .value_kind:     by_value
      - .offset:         4
        .size:           4
        .value_kind:     by_value
      - .offset:         8
        .size:           4
        .value_kind:     by_value
      - .offset:         12
        .size:           4
        .value_kind:     by_value
      - .offset:         16
        .size:           8
        .value_kind:     by_value
      - .offset:         24
        .size:           8
        .value_kind:     by_value
      - .address_space:  global
        .offset:         32
        .size:           8
        .value_kind:     global_buffer
      - .offset:         40
        .size:           8
        .value_kind:     by_value
      - .offset:         48
        .size:           8
        .value_kind:     by_value
      - .address_space:  global
        .offset:         56
        .size:           8
        .value_kind:     global_buffer
      - .offset:         64
        .size:           8
        .value_kind:     by_value
      - .offset:         72
        .size:           8
        .value_kind:     by_value
      - .address_space:  global
        .offset:         80
        .size:           8
        .value_kind:     global_buffer
      - .offset:         88
        .size:           8
        .value_kind:     by_value
      - .offset:         96
        .size:           8
        .value_kind:     by_value
      - .offset:         104
        .size:           4
        .value_kind:     by_value
    .group_segment_fixed_size: 4096
    .kernarg_segment_align: 8
    .kernarg_segment_size: 108
    .language:       OpenCL C
    .language_version:
      - 2
      - 0
    .max_flat_workgroup_size: 256
    .name:           _ZL23rocblas_trmm_lTx_kernelILi16ELb1E19rocblas_complex_numIfES1_KS1_S1_Ev13rocblas_fill_17rocblas_diagonal_iiT2_lPT3_llS7_llPT4_lli
    .private_segment_fixed_size: 0
    .sgpr_count:     36
    .sgpr_spill_count: 0
    .symbol:         _ZL23rocblas_trmm_lTx_kernelILi16ELb1E19rocblas_complex_numIfES1_KS1_S1_Ev13rocblas_fill_17rocblas_diagonal_iiT2_lPT3_llS7_llPT4_lli.kd
    .uniform_work_group_size: 1
    .uses_dynamic_stack: false
    .vgpr_count:     58
    .vgpr_spill_count: 0
    .wavefront_size: 64
  - .agpr_count:     0
    .args:
      - .offset:         0
        .size:           4
        .value_kind:     by_value
      - .offset:         4
        .size:           4
        .value_kind:     by_value
      - .offset:         8
        .size:           4
        .value_kind:     by_value
      - .offset:         12
        .size:           4
        .value_kind:     by_value
      - .address_space:  global
        .offset:         16
        .size:           8
        .value_kind:     global_buffer
      - .offset:         24
        .size:           8
        .value_kind:     by_value
      - .address_space:  global
        .offset:         32
        .size:           8
        .value_kind:     global_buffer
      - .offset:         40
        .size:           8
        .value_kind:     by_value
      - .offset:         48
        .size:           8
        .value_kind:     by_value
      - .address_space:  global
        .offset:         56
        .size:           8
        .value_kind:     global_buffer
      - .offset:         64
        .size:           8
        .value_kind:     by_value
      - .offset:         72
        .size:           8
        .value_kind:     by_value
      - .address_space:  global
        .offset:         80
        .size:           8
        .value_kind:     global_buffer
      - .offset:         88
        .size:           8
        .value_kind:     by_value
      - .offset:         96
        .size:           8
        .value_kind:     by_value
      - .offset:         104
        .size:           4
        .value_kind:     by_value
    .group_segment_fixed_size: 4096
    .kernarg_segment_align: 8
    .kernarg_segment_size: 108
    .language:       OpenCL C
    .language_version:
      - 2
      - 0
    .max_flat_workgroup_size: 256
    .name:           _ZL23rocblas_trmm_rNx_kernelILi16E19rocblas_complex_numIfEPKS1_S2_S1_Ev13rocblas_fill_17rocblas_diagonal_iiT1_lPT2_llS8_llPT3_lli
    .private_segment_fixed_size: 0
    .sgpr_count:     32
    .sgpr_spill_count: 0
    .symbol:         _ZL23rocblas_trmm_rNx_kernelILi16E19rocblas_complex_numIfEPKS1_S2_S1_Ev13rocblas_fill_17rocblas_diagonal_iiT1_lPT2_llS8_llPT3_lli.kd
    .uniform_work_group_size: 1
    .uses_dynamic_stack: false
    .vgpr_count:     59
    .vgpr_spill_count: 0
    .wavefront_size: 64
  - .agpr_count:     0
    .args:
      - .offset:         0
        .size:           4
        .value_kind:     by_value
      - .offset:         4
        .size:           4
        .value_kind:     by_value
      - .offset:         8
        .size:           4
        .value_kind:     by_value
      - .offset:         12
        .size:           4
        .value_kind:     by_value
      - .offset:         16
        .size:           8
        .value_kind:     by_value
      - .offset:         24
        .size:           8
        .value_kind:     by_value
      - .address_space:  global
        .offset:         32
        .size:           8
        .value_kind:     global_buffer
      - .offset:         40
        .size:           8
        .value_kind:     by_value
      - .offset:         48
        .size:           8
        .value_kind:     by_value
      - .address_space:  global
        .offset:         56
        .size:           8
        .value_kind:     global_buffer
      - .offset:         64
        .size:           8
        .value_kind:     by_value
      - .offset:         72
        .size:           8
        .value_kind:     by_value
      - .address_space:  global
        .offset:         80
        .size:           8
        .value_kind:     global_buffer
      - .offset:         88
        .size:           8
        .value_kind:     by_value
      - .offset:         96
        .size:           8
        .value_kind:     by_value
      - .offset:         104
        .size:           4
        .value_kind:     by_value
    .group_segment_fixed_size: 4096
    .kernarg_segment_align: 8
    .kernarg_segment_size: 108
    .language:       OpenCL C
    .language_version:
      - 2
      - 0
    .max_flat_workgroup_size: 256
    .name:           _ZL23rocblas_trmm_rNx_kernelILi16E19rocblas_complex_numIfES1_KS1_S1_Ev13rocblas_fill_17rocblas_diagonal_iiT1_lPT2_llS7_llPT3_lli
    .private_segment_fixed_size: 0
    .sgpr_count:     36
    .sgpr_spill_count: 0
    .symbol:         _ZL23rocblas_trmm_rNx_kernelILi16E19rocblas_complex_numIfES1_KS1_S1_Ev13rocblas_fill_17rocblas_diagonal_iiT1_lPT2_llS7_llPT3_lli.kd
    .uniform_work_group_size: 1
    .uses_dynamic_stack: false
    .vgpr_count:     59
    .vgpr_spill_count: 0
    .wavefront_size: 64
  - .agpr_count:     0
    .args:
      - .offset:         0
        .size:           4
        .value_kind:     by_value
      - .offset:         4
        .size:           4
        .value_kind:     by_value
      - .offset:         8
        .size:           4
        .value_kind:     by_value
      - .offset:         12
        .size:           4
        .value_kind:     by_value
      - .address_space:  global
        .offset:         16
        .size:           8
        .value_kind:     global_buffer
      - .offset:         24
        .size:           8
        .value_kind:     by_value
      - .address_space:  global
        .offset:         32
        .size:           8
        .value_kind:     global_buffer
      - .offset:         40
        .size:           8
        .value_kind:     by_value
      - .offset:         48
        .size:           8
        .value_kind:     by_value
      - .address_space:  global
        .offset:         56
        .size:           8
        .value_kind:     global_buffer
      - .offset:         64
        .size:           8
        .value_kind:     by_value
      - .offset:         72
        .size:           8
        .value_kind:     by_value
      - .address_space:  global
        .offset:         80
        .size:           8
        .value_kind:     global_buffer
      - .offset:         88
        .size:           8
        .value_kind:     by_value
      - .offset:         96
        .size:           8
        .value_kind:     by_value
      - .offset:         104
        .size:           4
        .value_kind:     by_value
    .group_segment_fixed_size: 4096
    .kernarg_segment_align: 8
    .kernarg_segment_size: 108
    .language:       OpenCL C
    .language_version:
      - 2
      - 0
    .max_flat_workgroup_size: 256
    .name:           _ZL23rocblas_trmm_rTx_kernelILi16ELb0E19rocblas_complex_numIfEPKS1_S2_S1_Ev13rocblas_fill_17rocblas_diagonal_iiT2_lPT3_llS8_llPT4_lli
    .private_segment_fixed_size: 0
    .sgpr_count:     32
    .sgpr_spill_count: 0
    .symbol:         _ZL23rocblas_trmm_rTx_kernelILi16ELb0E19rocblas_complex_numIfEPKS1_S2_S1_Ev13rocblas_fill_17rocblas_diagonal_iiT2_lPT3_llS8_llPT4_lli.kd
    .uniform_work_group_size: 1
    .uses_dynamic_stack: false
    .vgpr_count:     58
    .vgpr_spill_count: 0
    .wavefront_size: 64
  - .agpr_count:     0
    .args:
      - .offset:         0
        .size:           4
        .value_kind:     by_value
      - .offset:         4
        .size:           4
        .value_kind:     by_value
      - .offset:         8
        .size:           4
        .value_kind:     by_value
      - .offset:         12
        .size:           4
        .value_kind:     by_value
      - .offset:         16
        .size:           8
        .value_kind:     by_value
      - .offset:         24
        .size:           8
        .value_kind:     by_value
      - .address_space:  global
        .offset:         32
        .size:           8
        .value_kind:     global_buffer
      - .offset:         40
        .size:           8
        .value_kind:     by_value
      - .offset:         48
        .size:           8
        .value_kind:     by_value
      - .address_space:  global
        .offset:         56
        .size:           8
        .value_kind:     global_buffer
      - .offset:         64
        .size:           8
        .value_kind:     by_value
      - .offset:         72
        .size:           8
        .value_kind:     by_value
      - .address_space:  global
        .offset:         80
        .size:           8
        .value_kind:     global_buffer
      - .offset:         88
        .size:           8
        .value_kind:     by_value
      - .offset:         96
        .size:           8
        .value_kind:     by_value
      - .offset:         104
        .size:           4
        .value_kind:     by_value
    .group_segment_fixed_size: 4096
    .kernarg_segment_align: 8
    .kernarg_segment_size: 108
    .language:       OpenCL C
    .language_version:
      - 2
      - 0
    .max_flat_workgroup_size: 256
    .name:           _ZL23rocblas_trmm_rTx_kernelILi16ELb0E19rocblas_complex_numIfES1_KS1_S1_Ev13rocblas_fill_17rocblas_diagonal_iiT2_lPT3_llS7_llPT4_lli
    .private_segment_fixed_size: 0
    .sgpr_count:     36
    .sgpr_spill_count: 0
    .symbol:         _ZL23rocblas_trmm_rTx_kernelILi16ELb0E19rocblas_complex_numIfES1_KS1_S1_Ev13rocblas_fill_17rocblas_diagonal_iiT2_lPT3_llS7_llPT4_lli.kd
    .uniform_work_group_size: 1
    .uses_dynamic_stack: false
    .vgpr_count:     58
    .vgpr_spill_count: 0
    .wavefront_size: 64
  - .agpr_count:     0
    .args:
      - .offset:         0
        .size:           4
        .value_kind:     by_value
      - .offset:         4
        .size:           4
        .value_kind:     by_value
      - .offset:         8
        .size:           4
        .value_kind:     by_value
      - .offset:         12
        .size:           4
        .value_kind:     by_value
      - .address_space:  global
        .offset:         16
        .size:           8
        .value_kind:     global_buffer
      - .offset:         24
        .size:           8
        .value_kind:     by_value
      - .address_space:  global
        .offset:         32
        .size:           8
        .value_kind:     global_buffer
      - .offset:         40
        .size:           8
        .value_kind:     by_value
      - .offset:         48
        .size:           8
        .value_kind:     by_value
      - .address_space:  global
        .offset:         56
        .size:           8
        .value_kind:     global_buffer
      - .offset:         64
        .size:           8
        .value_kind:     by_value
      - .offset:         72
        .size:           8
        .value_kind:     by_value
      - .address_space:  global
        .offset:         80
        .size:           8
        .value_kind:     global_buffer
      - .offset:         88
        .size:           8
        .value_kind:     by_value
      - .offset:         96
        .size:           8
        .value_kind:     by_value
      - .offset:         104
        .size:           4
        .value_kind:     by_value
    .group_segment_fixed_size: 4096
    .kernarg_segment_align: 8
    .kernarg_segment_size: 108
    .language:       OpenCL C
    .language_version:
      - 2
      - 0
    .max_flat_workgroup_size: 256
    .name:           _ZL23rocblas_trmm_rTx_kernelILi16ELb1E19rocblas_complex_numIfEPKS1_S2_S1_Ev13rocblas_fill_17rocblas_diagonal_iiT2_lPT3_llS8_llPT4_lli
    .private_segment_fixed_size: 0
    .sgpr_count:     32
    .sgpr_spill_count: 0
    .symbol:         _ZL23rocblas_trmm_rTx_kernelILi16ELb1E19rocblas_complex_numIfEPKS1_S2_S1_Ev13rocblas_fill_17rocblas_diagonal_iiT2_lPT3_llS8_llPT4_lli.kd
    .uniform_work_group_size: 1
    .uses_dynamic_stack: false
    .vgpr_count:     58
    .vgpr_spill_count: 0
    .wavefront_size: 64
  - .agpr_count:     0
    .args:
      - .offset:         0
        .size:           4
        .value_kind:     by_value
      - .offset:         4
        .size:           4
        .value_kind:     by_value
      - .offset:         8
        .size:           4
        .value_kind:     by_value
      - .offset:         12
        .size:           4
        .value_kind:     by_value
      - .offset:         16
        .size:           8
        .value_kind:     by_value
      - .offset:         24
        .size:           8
        .value_kind:     by_value
      - .address_space:  global
        .offset:         32
        .size:           8
        .value_kind:     global_buffer
      - .offset:         40
        .size:           8
        .value_kind:     by_value
      - .offset:         48
        .size:           8
        .value_kind:     by_value
      - .address_space:  global
        .offset:         56
        .size:           8
        .value_kind:     global_buffer
      - .offset:         64
        .size:           8
        .value_kind:     by_value
      - .offset:         72
        .size:           8
        .value_kind:     by_value
      - .address_space:  global
        .offset:         80
        .size:           8
        .value_kind:     global_buffer
      - .offset:         88
        .size:           8
        .value_kind:     by_value
      - .offset:         96
        .size:           8
        .value_kind:     by_value
      - .offset:         104
        .size:           4
        .value_kind:     by_value
    .group_segment_fixed_size: 4096
    .kernarg_segment_align: 8
    .kernarg_segment_size: 108
    .language:       OpenCL C
    .language_version:
      - 2
      - 0
    .max_flat_workgroup_size: 256
    .name:           _ZL23rocblas_trmm_rTx_kernelILi16ELb1E19rocblas_complex_numIfES1_KS1_S1_Ev13rocblas_fill_17rocblas_diagonal_iiT2_lPT3_llS7_llPT4_lli
    .private_segment_fixed_size: 0
    .sgpr_count:     36
    .sgpr_spill_count: 0
    .symbol:         _ZL23rocblas_trmm_rTx_kernelILi16ELb1E19rocblas_complex_numIfES1_KS1_S1_Ev13rocblas_fill_17rocblas_diagonal_iiT2_lPT3_llS7_llPT4_lli.kd
    .uniform_work_group_size: 1
    .uses_dynamic_stack: false
    .vgpr_count:     58
    .vgpr_spill_count: 0
    .wavefront_size: 64
  - .agpr_count:     0
    .args:
      - .offset:         0
        .size:           4
        .value_kind:     by_value
      - .offset:         4
        .size:           4
        .value_kind:     by_value
      - .offset:         8
        .size:           4
        .value_kind:     by_value
      - .address_space:  global
        .offset:         16
        .size:           8
        .value_kind:     global_buffer
      - .offset:         24
        .size:           8
        .value_kind:     by_value
      - .address_space:  global
        .offset:         32
        .size:           8
        .value_kind:     global_buffer
      - .offset:         40
        .size:           8
        .value_kind:     by_value
      - .offset:         48
        .size:           8
        .value_kind:     by_value
      - .offset:         56
        .size:           8
        .value_kind:     by_value
      - .address_space:  global
        .offset:         64
        .size:           8
        .value_kind:     global_buffer
      - .offset:         72
        .size:           8
        .value_kind:     by_value
      - .offset:         80
        .size:           8
        .value_kind:     by_value
      - .offset:         88
        .size:           8
        .value_kind:     by_value
      - .address_space:  global
        .offset:         96
        .size:           8
        .value_kind:     global_buffer
      - .offset:         104
        .size:           8
        .value_kind:     by_value
      - .offset:         112
        .size:           8
        .value_kind:     by_value
      - .offset:         120
        .size:           8
        .value_kind:     by_value
      - .offset:         128
        .size:           4
        .value_kind:     by_value
      - .offset:         136
        .size:           4
        .value_kind:     hidden_block_count_x
      - .offset:         140
        .size:           4
        .value_kind:     hidden_block_count_y
      - .offset:         144
        .size:           4
        .value_kind:     hidden_block_count_z
      - .offset:         148
        .size:           2
        .value_kind:     hidden_group_size_x
      - .offset:         150
        .size:           2
        .value_kind:     hidden_group_size_y
      - .offset:         152
        .size:           2
        .value_kind:     hidden_group_size_z
      - .offset:         154
        .size:           2
        .value_kind:     hidden_remainder_x
      - .offset:         156
        .size:           2
        .value_kind:     hidden_remainder_y
      - .offset:         158
        .size:           2
        .value_kind:     hidden_remainder_z
      - .offset:         176
        .size:           8
        .value_kind:     hidden_global_offset_x
      - .offset:         184
        .size:           8
        .value_kind:     hidden_global_offset_y
      - .offset:         192
        .size:           8
        .value_kind:     hidden_global_offset_z
      - .offset:         200
        .size:           2
        .value_kind:     hidden_grid_dims
    .group_segment_fixed_size: 32768
    .kernarg_segment_align: 8
    .kernarg_segment_size: 392
    .language:       OpenCL C
    .language_version:
      - 2
      - 0
    .max_flat_workgroup_size: 1024
    .name:           _ZL30rocblas_trmm_outofplace_kernelI19rocblas_complex_numIdELi32ELi2ELb1ELb0ELb0ELb0EPKS1_S2_S1_Ev17rocblas_diagonal_iiT6_lPT7_lllS7_lllPT8_llli
    .private_segment_fixed_size: 0
    .sgpr_count:     65
    .sgpr_spill_count: 0
    .symbol:         _ZL30rocblas_trmm_outofplace_kernelI19rocblas_complex_numIdELi32ELi2ELb1ELb0ELb0ELb0EPKS1_S2_S1_Ev17rocblas_diagonal_iiT6_lPT7_lllS7_lllPT8_llli.kd
    .uniform_work_group_size: 1
    .uses_dynamic_stack: false
    .vgpr_count:     94
    .vgpr_spill_count: 0
    .wavefront_size: 64
  - .agpr_count:     0
    .args:
      - .offset:         0
        .size:           4
        .value_kind:     by_value
      - .offset:         4
        .size:           4
        .value_kind:     by_value
      - .offset:         8
        .size:           4
        .value_kind:     by_value
      - .offset:         16
        .size:           16
        .value_kind:     by_value
      - .offset:         32
        .size:           8
        .value_kind:     by_value
      - .address_space:  global
        .offset:         40
        .size:           8
        .value_kind:     global_buffer
      - .offset:         48
        .size:           8
        .value_kind:     by_value
      - .offset:         56
        .size:           8
        .value_kind:     by_value
      - .offset:         64
        .size:           8
        .value_kind:     by_value
      - .address_space:  global
        .offset:         72
        .size:           8
        .value_kind:     global_buffer
      - .offset:         80
        .size:           8
        .value_kind:     by_value
      - .offset:         88
        .size:           8
        .value_kind:     by_value
      - .offset:         96
        .size:           8
        .value_kind:     by_value
      - .address_space:  global
        .offset:         104
        .size:           8
        .value_kind:     global_buffer
      - .offset:         112
        .size:           8
        .value_kind:     by_value
      - .offset:         120
        .size:           8
        .value_kind:     by_value
      - .offset:         128
        .size:           8
        .value_kind:     by_value
      - .offset:         136
        .size:           4
        .value_kind:     by_value
      - .offset:         144
        .size:           4
        .value_kind:     hidden_block_count_x
      - .offset:         148
        .size:           4
        .value_kind:     hidden_block_count_y
      - .offset:         152
        .size:           4
        .value_kind:     hidden_block_count_z
      - .offset:         156
        .size:           2
        .value_kind:     hidden_group_size_x
      - .offset:         158
        .size:           2
        .value_kind:     hidden_group_size_y
      - .offset:         160
        .size:           2
        .value_kind:     hidden_group_size_z
      - .offset:         162
        .size:           2
        .value_kind:     hidden_remainder_x
      - .offset:         164
        .size:           2
        .value_kind:     hidden_remainder_y
      - .offset:         166
        .size:           2
        .value_kind:     hidden_remainder_z
      - .offset:         184
        .size:           8
        .value_kind:     hidden_global_offset_x
      - .offset:         192
        .size:           8
        .value_kind:     hidden_global_offset_y
      - .offset:         200
        .size:           8
        .value_kind:     hidden_global_offset_z
      - .offset:         208
        .size:           2
        .value_kind:     hidden_grid_dims
    .group_segment_fixed_size: 32768
    .kernarg_segment_align: 8
    .kernarg_segment_size: 400
    .language:       OpenCL C
    .language_version:
      - 2
      - 0
    .max_flat_workgroup_size: 1024
    .name:           _ZL30rocblas_trmm_outofplace_kernelI19rocblas_complex_numIdELi32ELi2ELb1ELb0ELb0ELb0ES1_KS1_S1_Ev17rocblas_diagonal_iiT6_lPT7_lllS6_lllPT8_llli
    .private_segment_fixed_size: 0
    .sgpr_count:     65
    .sgpr_spill_count: 0
    .symbol:         _ZL30rocblas_trmm_outofplace_kernelI19rocblas_complex_numIdELi32ELi2ELb1ELb0ELb0ELb0ES1_KS1_S1_Ev17rocblas_diagonal_iiT6_lPT7_lllS6_lllPT8_llli.kd
    .uniform_work_group_size: 1
    .uses_dynamic_stack: false
    .vgpr_count:     94
    .vgpr_spill_count: 0
    .wavefront_size: 64
  - .agpr_count:     0
    .args:
      - .offset:         0
        .size:           4
        .value_kind:     by_value
      - .offset:         4
        .size:           4
        .value_kind:     by_value
      - .offset:         8
        .size:           4
        .value_kind:     by_value
      - .address_space:  global
        .offset:         16
        .size:           8
        .value_kind:     global_buffer
      - .offset:         24
        .size:           8
        .value_kind:     by_value
      - .address_space:  global
        .offset:         32
        .size:           8
        .value_kind:     global_buffer
      - .offset:         40
        .size:           8
        .value_kind:     by_value
      - .offset:         48
        .size:           8
        .value_kind:     by_value
      - .offset:         56
        .size:           8
        .value_kind:     by_value
      - .address_space:  global
        .offset:         64
        .size:           8
        .value_kind:     global_buffer
      - .offset:         72
        .size:           8
        .value_kind:     by_value
      - .offset:         80
        .size:           8
        .value_kind:     by_value
      - .offset:         88
        .size:           8
        .value_kind:     by_value
      - .address_space:  global
        .offset:         96
        .size:           8
        .value_kind:     global_buffer
      - .offset:         104
        .size:           8
        .value_kind:     by_value
      - .offset:         112
        .size:           8
        .value_kind:     by_value
      - .offset:         120
        .size:           8
        .value_kind:     by_value
      - .offset:         128
        .size:           4
        .value_kind:     by_value
      - .offset:         136
        .size:           4
        .value_kind:     hidden_block_count_x
      - .offset:         140
        .size:           4
        .value_kind:     hidden_block_count_y
      - .offset:         144
        .size:           4
        .value_kind:     hidden_block_count_z
      - .offset:         148
        .size:           2
        .value_kind:     hidden_group_size_x
      - .offset:         150
        .size:           2
        .value_kind:     hidden_group_size_y
      - .offset:         152
        .size:           2
        .value_kind:     hidden_group_size_z
      - .offset:         154
        .size:           2
        .value_kind:     hidden_remainder_x
      - .offset:         156
        .size:           2
        .value_kind:     hidden_remainder_y
      - .offset:         158
        .size:           2
        .value_kind:     hidden_remainder_z
      - .offset:         176
        .size:           8
        .value_kind:     hidden_global_offset_x
      - .offset:         184
        .size:           8
        .value_kind:     hidden_global_offset_y
      - .offset:         192
        .size:           8
        .value_kind:     hidden_global_offset_z
      - .offset:         200
        .size:           2
        .value_kind:     hidden_grid_dims
    .group_segment_fixed_size: 32768
    .kernarg_segment_align: 8
    .kernarg_segment_size: 392
    .language:       OpenCL C
    .language_version:
      - 2
      - 0
    .max_flat_workgroup_size: 1024
    .name:           _ZL30rocblas_trmm_outofplace_kernelI19rocblas_complex_numIdELi32ELi2ELb1ELb1ELb0ELb0EPKS1_S2_S1_Ev17rocblas_diagonal_iiT6_lPT7_lllS7_lllPT8_llli
    .private_segment_fixed_size: 0
    .sgpr_count:     68
    .sgpr_spill_count: 0
    .symbol:         _ZL30rocblas_trmm_outofplace_kernelI19rocblas_complex_numIdELi32ELi2ELb1ELb1ELb0ELb0EPKS1_S2_S1_Ev17rocblas_diagonal_iiT6_lPT7_lllS7_lllPT8_llli.kd
    .uniform_work_group_size: 1
    .uses_dynamic_stack: false
    .vgpr_count:     94
    .vgpr_spill_count: 0
    .wavefront_size: 64
  - .agpr_count:     0
    .args:
      - .offset:         0
        .size:           4
        .value_kind:     by_value
      - .offset:         4
        .size:           4
        .value_kind:     by_value
      - .offset:         8
        .size:           4
        .value_kind:     by_value
      - .offset:         16
        .size:           16
        .value_kind:     by_value
      - .offset:         32
        .size:           8
        .value_kind:     by_value
      - .address_space:  global
        .offset:         40
        .size:           8
        .value_kind:     global_buffer
      - .offset:         48
        .size:           8
        .value_kind:     by_value
      - .offset:         56
        .size:           8
        .value_kind:     by_value
      - .offset:         64
        .size:           8
        .value_kind:     by_value
      - .address_space:  global
        .offset:         72
        .size:           8
        .value_kind:     global_buffer
      - .offset:         80
        .size:           8
        .value_kind:     by_value
      - .offset:         88
        .size:           8
        .value_kind:     by_value
      - .offset:         96
        .size:           8
        .value_kind:     by_value
      - .address_space:  global
        .offset:         104
        .size:           8
        .value_kind:     global_buffer
      - .offset:         112
        .size:           8
        .value_kind:     by_value
      - .offset:         120
        .size:           8
        .value_kind:     by_value
      - .offset:         128
        .size:           8
        .value_kind:     by_value
      - .offset:         136
        .size:           4
        .value_kind:     by_value
      - .offset:         144
        .size:           4
        .value_kind:     hidden_block_count_x
      - .offset:         148
        .size:           4
        .value_kind:     hidden_block_count_y
      - .offset:         152
        .size:           4
        .value_kind:     hidden_block_count_z
      - .offset:         156
        .size:           2
        .value_kind:     hidden_group_size_x
      - .offset:         158
        .size:           2
        .value_kind:     hidden_group_size_y
      - .offset:         160
        .size:           2
        .value_kind:     hidden_group_size_z
      - .offset:         162
        .size:           2
        .value_kind:     hidden_remainder_x
      - .offset:         164
        .size:           2
        .value_kind:     hidden_remainder_y
      - .offset:         166
        .size:           2
        .value_kind:     hidden_remainder_z
      - .offset:         184
        .size:           8
        .value_kind:     hidden_global_offset_x
      - .offset:         192
        .size:           8
        .value_kind:     hidden_global_offset_y
      - .offset:         200
        .size:           8
        .value_kind:     hidden_global_offset_z
      - .offset:         208
        .size:           2
        .value_kind:     hidden_grid_dims
    .group_segment_fixed_size: 32768
    .kernarg_segment_align: 8
    .kernarg_segment_size: 400
    .language:       OpenCL C
    .language_version:
      - 2
      - 0
    .max_flat_workgroup_size: 1024
    .name:           _ZL30rocblas_trmm_outofplace_kernelI19rocblas_complex_numIdELi32ELi2ELb1ELb1ELb0ELb0ES1_KS1_S1_Ev17rocblas_diagonal_iiT6_lPT7_lllS6_lllPT8_llli
    .private_segment_fixed_size: 0
    .sgpr_count:     68
    .sgpr_spill_count: 0
    .symbol:         _ZL30rocblas_trmm_outofplace_kernelI19rocblas_complex_numIdELi32ELi2ELb1ELb1ELb0ELb0ES1_KS1_S1_Ev17rocblas_diagonal_iiT6_lPT7_lllS6_lllPT8_llli.kd
    .uniform_work_group_size: 1
    .uses_dynamic_stack: false
    .vgpr_count:     94
    .vgpr_spill_count: 0
    .wavefront_size: 64
  - .agpr_count:     0
    .args:
      - .offset:         0
        .size:           4
        .value_kind:     by_value
      - .offset:         4
        .size:           4
        .value_kind:     by_value
      - .offset:         8
        .size:           4
        .value_kind:     by_value
      - .address_space:  global
        .offset:         16
        .size:           8
        .value_kind:     global_buffer
      - .offset:         24
        .size:           8
        .value_kind:     by_value
      - .address_space:  global
        .offset:         32
        .size:           8
        .value_kind:     global_buffer
      - .offset:         40
        .size:           8
        .value_kind:     by_value
      - .offset:         48
        .size:           8
        .value_kind:     by_value
      - .offset:         56
        .size:           8
        .value_kind:     by_value
      - .address_space:  global
        .offset:         64
        .size:           8
        .value_kind:     global_buffer
      - .offset:         72
        .size:           8
        .value_kind:     by_value
      - .offset:         80
        .size:           8
        .value_kind:     by_value
      - .offset:         88
        .size:           8
        .value_kind:     by_value
      - .address_space:  global
        .offset:         96
        .size:           8
        .value_kind:     global_buffer
      - .offset:         104
        .size:           8
        .value_kind:     by_value
      - .offset:         112
        .size:           8
        .value_kind:     by_value
      - .offset:         120
        .size:           8
        .value_kind:     by_value
      - .offset:         128
        .size:           4
        .value_kind:     by_value
      - .offset:         136
        .size:           4
        .value_kind:     hidden_block_count_x
      - .offset:         140
        .size:           4
        .value_kind:     hidden_block_count_y
      - .offset:         144
        .size:           4
        .value_kind:     hidden_block_count_z
      - .offset:         148
        .size:           2
        .value_kind:     hidden_group_size_x
      - .offset:         150
        .size:           2
        .value_kind:     hidden_group_size_y
      - .offset:         152
        .size:           2
        .value_kind:     hidden_group_size_z
      - .offset:         154
        .size:           2
        .value_kind:     hidden_remainder_x
      - .offset:         156
        .size:           2
        .value_kind:     hidden_remainder_y
      - .offset:         158
        .size:           2
        .value_kind:     hidden_remainder_z
      - .offset:         176
        .size:           8
        .value_kind:     hidden_global_offset_x
      - .offset:         184
        .size:           8
        .value_kind:     hidden_global_offset_y
      - .offset:         192
        .size:           8
        .value_kind:     hidden_global_offset_z
      - .offset:         200
        .size:           2
        .value_kind:     hidden_grid_dims
    .group_segment_fixed_size: 32768
    .kernarg_segment_align: 8
    .kernarg_segment_size: 392
    .language:       OpenCL C
    .language_version:
      - 2
      - 0
    .max_flat_workgroup_size: 1024
    .name:           _ZL30rocblas_trmm_outofplace_kernelI19rocblas_complex_numIdELi32ELi2ELb1ELb0ELb1ELb0EPKS1_S2_S1_Ev17rocblas_diagonal_iiT6_lPT7_lllS7_lllPT8_llli
    .private_segment_fixed_size: 0
    .sgpr_count:     64
    .sgpr_spill_count: 0
    .symbol:         _ZL30rocblas_trmm_outofplace_kernelI19rocblas_complex_numIdELi32ELi2ELb1ELb0ELb1ELb0EPKS1_S2_S1_Ev17rocblas_diagonal_iiT6_lPT7_lllS7_lllPT8_llli.kd
    .uniform_work_group_size: 1
    .uses_dynamic_stack: false
    .vgpr_count:     96
    .vgpr_spill_count: 0
    .wavefront_size: 64
  - .agpr_count:     0
    .args:
      - .offset:         0
        .size:           4
        .value_kind:     by_value
      - .offset:         4
        .size:           4
        .value_kind:     by_value
      - .offset:         8
        .size:           4
        .value_kind:     by_value
      - .offset:         16
        .size:           16
        .value_kind:     by_value
      - .offset:         32
        .size:           8
        .value_kind:     by_value
      - .address_space:  global
        .offset:         40
        .size:           8
        .value_kind:     global_buffer
      - .offset:         48
        .size:           8
        .value_kind:     by_value
      - .offset:         56
        .size:           8
        .value_kind:     by_value
      - .offset:         64
        .size:           8
        .value_kind:     by_value
      - .address_space:  global
        .offset:         72
        .size:           8
        .value_kind:     global_buffer
      - .offset:         80
        .size:           8
        .value_kind:     by_value
      - .offset:         88
        .size:           8
        .value_kind:     by_value
      - .offset:         96
        .size:           8
        .value_kind:     by_value
      - .address_space:  global
        .offset:         104
        .size:           8
        .value_kind:     global_buffer
      - .offset:         112
        .size:           8
        .value_kind:     by_value
      - .offset:         120
        .size:           8
        .value_kind:     by_value
      - .offset:         128
        .size:           8
        .value_kind:     by_value
      - .offset:         136
        .size:           4
        .value_kind:     by_value
      - .offset:         144
        .size:           4
        .value_kind:     hidden_block_count_x
      - .offset:         148
        .size:           4
        .value_kind:     hidden_block_count_y
      - .offset:         152
        .size:           4
        .value_kind:     hidden_block_count_z
      - .offset:         156
        .size:           2
        .value_kind:     hidden_group_size_x
      - .offset:         158
        .size:           2
        .value_kind:     hidden_group_size_y
      - .offset:         160
        .size:           2
        .value_kind:     hidden_group_size_z
      - .offset:         162
        .size:           2
        .value_kind:     hidden_remainder_x
      - .offset:         164
        .size:           2
        .value_kind:     hidden_remainder_y
      - .offset:         166
        .size:           2
        .value_kind:     hidden_remainder_z
      - .offset:         184
        .size:           8
        .value_kind:     hidden_global_offset_x
      - .offset:         192
        .size:           8
        .value_kind:     hidden_global_offset_y
      - .offset:         200
        .size:           8
        .value_kind:     hidden_global_offset_z
      - .offset:         208
        .size:           2
        .value_kind:     hidden_grid_dims
    .group_segment_fixed_size: 32768
    .kernarg_segment_align: 8
    .kernarg_segment_size: 400
    .language:       OpenCL C
    .language_version:
      - 2
      - 0
    .max_flat_workgroup_size: 1024
    .name:           _ZL30rocblas_trmm_outofplace_kernelI19rocblas_complex_numIdELi32ELi2ELb1ELb0ELb1ELb0ES1_KS1_S1_Ev17rocblas_diagonal_iiT6_lPT7_lllS6_lllPT8_llli
    .private_segment_fixed_size: 0
    .sgpr_count:     63
    .sgpr_spill_count: 0
    .symbol:         _ZL30rocblas_trmm_outofplace_kernelI19rocblas_complex_numIdELi32ELi2ELb1ELb0ELb1ELb0ES1_KS1_S1_Ev17rocblas_diagonal_iiT6_lPT7_lllS6_lllPT8_llli.kd
    .uniform_work_group_size: 1
    .uses_dynamic_stack: false
    .vgpr_count:     96
    .vgpr_spill_count: 0
    .wavefront_size: 64
  - .agpr_count:     0
    .args:
      - .offset:         0
        .size:           4
        .value_kind:     by_value
      - .offset:         4
        .size:           4
        .value_kind:     by_value
      - .offset:         8
        .size:           4
        .value_kind:     by_value
      - .address_space:  global
        .offset:         16
        .size:           8
        .value_kind:     global_buffer
      - .offset:         24
        .size:           8
        .value_kind:     by_value
      - .address_space:  global
        .offset:         32
        .size:           8
        .value_kind:     global_buffer
      - .offset:         40
        .size:           8
        .value_kind:     by_value
      - .offset:         48
        .size:           8
        .value_kind:     by_value
      - .offset:         56
        .size:           8
        .value_kind:     by_value
      - .address_space:  global
        .offset:         64
        .size:           8
        .value_kind:     global_buffer
      - .offset:         72
        .size:           8
        .value_kind:     by_value
      - .offset:         80
        .size:           8
        .value_kind:     by_value
      - .offset:         88
        .size:           8
        .value_kind:     by_value
      - .address_space:  global
        .offset:         96
        .size:           8
        .value_kind:     global_buffer
      - .offset:         104
        .size:           8
        .value_kind:     by_value
      - .offset:         112
        .size:           8
        .value_kind:     by_value
      - .offset:         120
        .size:           8
        .value_kind:     by_value
      - .offset:         128
        .size:           4
        .value_kind:     by_value
      - .offset:         136
        .size:           4
        .value_kind:     hidden_block_count_x
      - .offset:         140
        .size:           4
        .value_kind:     hidden_block_count_y
      - .offset:         144
        .size:           4
        .value_kind:     hidden_block_count_z
      - .offset:         148
        .size:           2
        .value_kind:     hidden_group_size_x
      - .offset:         150
        .size:           2
        .value_kind:     hidden_group_size_y
      - .offset:         152
        .size:           2
        .value_kind:     hidden_group_size_z
      - .offset:         154
        .size:           2
        .value_kind:     hidden_remainder_x
      - .offset:         156
        .size:           2
        .value_kind:     hidden_remainder_y
      - .offset:         158
        .size:           2
        .value_kind:     hidden_remainder_z
      - .offset:         176
        .size:           8
        .value_kind:     hidden_global_offset_x
      - .offset:         184
        .size:           8
        .value_kind:     hidden_global_offset_y
      - .offset:         192
        .size:           8
        .value_kind:     hidden_global_offset_z
      - .offset:         200
        .size:           2
        .value_kind:     hidden_grid_dims
    .group_segment_fixed_size: 32768
    .kernarg_segment_align: 8
    .kernarg_segment_size: 392
    .language:       OpenCL C
    .language_version:
      - 2
      - 0
    .max_flat_workgroup_size: 1024
    .name:           _ZL30rocblas_trmm_outofplace_kernelI19rocblas_complex_numIdELi32ELi2ELb1ELb1ELb1ELb0EPKS1_S2_S1_Ev17rocblas_diagonal_iiT6_lPT7_lllS7_lllPT8_llli
    .private_segment_fixed_size: 0
    .sgpr_count:     63
    .sgpr_spill_count: 0
    .symbol:         _ZL30rocblas_trmm_outofplace_kernelI19rocblas_complex_numIdELi32ELi2ELb1ELb1ELb1ELb0EPKS1_S2_S1_Ev17rocblas_diagonal_iiT6_lPT7_lllS7_lllPT8_llli.kd
    .uniform_work_group_size: 1
    .uses_dynamic_stack: false
    .vgpr_count:     96
    .vgpr_spill_count: 0
    .wavefront_size: 64
  - .agpr_count:     0
    .args:
      - .offset:         0
        .size:           4
        .value_kind:     by_value
      - .offset:         4
        .size:           4
        .value_kind:     by_value
      - .offset:         8
        .size:           4
        .value_kind:     by_value
      - .offset:         16
        .size:           16
        .value_kind:     by_value
      - .offset:         32
        .size:           8
        .value_kind:     by_value
      - .address_space:  global
        .offset:         40
        .size:           8
        .value_kind:     global_buffer
      - .offset:         48
        .size:           8
        .value_kind:     by_value
      - .offset:         56
        .size:           8
        .value_kind:     by_value
      - .offset:         64
        .size:           8
        .value_kind:     by_value
      - .address_space:  global
        .offset:         72
        .size:           8
        .value_kind:     global_buffer
      - .offset:         80
        .size:           8
        .value_kind:     by_value
      - .offset:         88
        .size:           8
        .value_kind:     by_value
      - .offset:         96
        .size:           8
        .value_kind:     by_value
      - .address_space:  global
        .offset:         104
        .size:           8
        .value_kind:     global_buffer
      - .offset:         112
        .size:           8
        .value_kind:     by_value
      - .offset:         120
        .size:           8
        .value_kind:     by_value
      - .offset:         128
        .size:           8
        .value_kind:     by_value
      - .offset:         136
        .size:           4
        .value_kind:     by_value
      - .offset:         144
        .size:           4
        .value_kind:     hidden_block_count_x
      - .offset:         148
        .size:           4
        .value_kind:     hidden_block_count_y
      - .offset:         152
        .size:           4
        .value_kind:     hidden_block_count_z
      - .offset:         156
        .size:           2
        .value_kind:     hidden_group_size_x
      - .offset:         158
        .size:           2
        .value_kind:     hidden_group_size_y
      - .offset:         160
        .size:           2
        .value_kind:     hidden_group_size_z
      - .offset:         162
        .size:           2
        .value_kind:     hidden_remainder_x
      - .offset:         164
        .size:           2
        .value_kind:     hidden_remainder_y
      - .offset:         166
        .size:           2
        .value_kind:     hidden_remainder_z
      - .offset:         184
        .size:           8
        .value_kind:     hidden_global_offset_x
      - .offset:         192
        .size:           8
        .value_kind:     hidden_global_offset_y
      - .offset:         200
        .size:           8
        .value_kind:     hidden_global_offset_z
      - .offset:         208
        .size:           2
        .value_kind:     hidden_grid_dims
    .group_segment_fixed_size: 32768
    .kernarg_segment_align: 8
    .kernarg_segment_size: 400
    .language:       OpenCL C
    .language_version:
      - 2
      - 0
    .max_flat_workgroup_size: 1024
    .name:           _ZL30rocblas_trmm_outofplace_kernelI19rocblas_complex_numIdELi32ELi2ELb1ELb1ELb1ELb0ES1_KS1_S1_Ev17rocblas_diagonal_iiT6_lPT7_lllS6_lllPT8_llli
    .private_segment_fixed_size: 0
    .sgpr_count:     63
    .sgpr_spill_count: 0
    .symbol:         _ZL30rocblas_trmm_outofplace_kernelI19rocblas_complex_numIdELi32ELi2ELb1ELb1ELb1ELb0ES1_KS1_S1_Ev17rocblas_diagonal_iiT6_lPT7_lllS6_lllPT8_llli.kd
    .uniform_work_group_size: 1
    .uses_dynamic_stack: false
    .vgpr_count:     96
    .vgpr_spill_count: 0
    .wavefront_size: 64
  - .agpr_count:     0
    .args:
      - .offset:         0
        .size:           4
        .value_kind:     by_value
      - .offset:         4
        .size:           4
        .value_kind:     by_value
      - .offset:         8
        .size:           4
        .value_kind:     by_value
      - .address_space:  global
        .offset:         16
        .size:           8
        .value_kind:     global_buffer
      - .offset:         24
        .size:           8
        .value_kind:     by_value
      - .address_space:  global
        .offset:         32
        .size:           8
        .value_kind:     global_buffer
      - .offset:         40
        .size:           8
        .value_kind:     by_value
      - .offset:         48
        .size:           8
        .value_kind:     by_value
      - .offset:         56
        .size:           8
        .value_kind:     by_value
      - .address_space:  global
        .offset:         64
        .size:           8
        .value_kind:     global_buffer
      - .offset:         72
        .size:           8
        .value_kind:     by_value
      - .offset:         80
        .size:           8
        .value_kind:     by_value
      - .offset:         88
        .size:           8
        .value_kind:     by_value
      - .address_space:  global
        .offset:         96
        .size:           8
        .value_kind:     global_buffer
      - .offset:         104
        .size:           8
        .value_kind:     by_value
      - .offset:         112
        .size:           8
        .value_kind:     by_value
      - .offset:         120
        .size:           8
        .value_kind:     by_value
      - .offset:         128
        .size:           4
        .value_kind:     by_value
      - .offset:         136
        .size:           4
        .value_kind:     hidden_block_count_x
      - .offset:         140
        .size:           4
        .value_kind:     hidden_block_count_y
      - .offset:         144
        .size:           4
        .value_kind:     hidden_block_count_z
      - .offset:         148
        .size:           2
        .value_kind:     hidden_group_size_x
      - .offset:         150
        .size:           2
        .value_kind:     hidden_group_size_y
      - .offset:         152
        .size:           2
        .value_kind:     hidden_group_size_z
      - .offset:         154
        .size:           2
        .value_kind:     hidden_remainder_x
      - .offset:         156
        .size:           2
        .value_kind:     hidden_remainder_y
      - .offset:         158
        .size:           2
        .value_kind:     hidden_remainder_z
      - .offset:         176
        .size:           8
        .value_kind:     hidden_global_offset_x
      - .offset:         184
        .size:           8
        .value_kind:     hidden_global_offset_y
      - .offset:         192
        .size:           8
        .value_kind:     hidden_global_offset_z
      - .offset:         200
        .size:           2
        .value_kind:     hidden_grid_dims
    .group_segment_fixed_size: 32768
    .kernarg_segment_align: 8
    .kernarg_segment_size: 392
    .language:       OpenCL C
    .language_version:
      - 2
      - 0
    .max_flat_workgroup_size: 1024
    .name:           _ZL30rocblas_trmm_outofplace_kernelI19rocblas_complex_numIdELi32ELi2ELb1ELb0ELb1ELb1EPKS1_S2_S1_Ev17rocblas_diagonal_iiT6_lPT7_lllS7_lllPT8_llli
    .private_segment_fixed_size: 0
    .sgpr_count:     62
    .sgpr_spill_count: 0
    .symbol:         _ZL30rocblas_trmm_outofplace_kernelI19rocblas_complex_numIdELi32ELi2ELb1ELb0ELb1ELb1EPKS1_S2_S1_Ev17rocblas_diagonal_iiT6_lPT7_lllS7_lllPT8_llli.kd
    .uniform_work_group_size: 1
    .uses_dynamic_stack: false
    .vgpr_count:     92
    .vgpr_spill_count: 0
    .wavefront_size: 64
  - .agpr_count:     0
    .args:
      - .offset:         0
        .size:           4
        .value_kind:     by_value
      - .offset:         4
        .size:           4
        .value_kind:     by_value
      - .offset:         8
        .size:           4
        .value_kind:     by_value
      - .offset:         16
        .size:           16
        .value_kind:     by_value
      - .offset:         32
        .size:           8
        .value_kind:     by_value
      - .address_space:  global
        .offset:         40
        .size:           8
        .value_kind:     global_buffer
      - .offset:         48
        .size:           8
        .value_kind:     by_value
      - .offset:         56
        .size:           8
        .value_kind:     by_value
      - .offset:         64
        .size:           8
        .value_kind:     by_value
      - .address_space:  global
        .offset:         72
        .size:           8
        .value_kind:     global_buffer
      - .offset:         80
        .size:           8
        .value_kind:     by_value
      - .offset:         88
        .size:           8
        .value_kind:     by_value
      - .offset:         96
        .size:           8
        .value_kind:     by_value
      - .address_space:  global
        .offset:         104
        .size:           8
        .value_kind:     global_buffer
      - .offset:         112
        .size:           8
        .value_kind:     by_value
      - .offset:         120
        .size:           8
        .value_kind:     by_value
      - .offset:         128
        .size:           8
        .value_kind:     by_value
      - .offset:         136
        .size:           4
        .value_kind:     by_value
      - .offset:         144
        .size:           4
        .value_kind:     hidden_block_count_x
      - .offset:         148
        .size:           4
        .value_kind:     hidden_block_count_y
      - .offset:         152
        .size:           4
        .value_kind:     hidden_block_count_z
      - .offset:         156
        .size:           2
        .value_kind:     hidden_group_size_x
      - .offset:         158
        .size:           2
        .value_kind:     hidden_group_size_y
      - .offset:         160
        .size:           2
        .value_kind:     hidden_group_size_z
      - .offset:         162
        .size:           2
        .value_kind:     hidden_remainder_x
      - .offset:         164
        .size:           2
        .value_kind:     hidden_remainder_y
      - .offset:         166
        .size:           2
        .value_kind:     hidden_remainder_z
      - .offset:         184
        .size:           8
        .value_kind:     hidden_global_offset_x
      - .offset:         192
        .size:           8
        .value_kind:     hidden_global_offset_y
      - .offset:         200
        .size:           8
        .value_kind:     hidden_global_offset_z
      - .offset:         208
        .size:           2
        .value_kind:     hidden_grid_dims
    .group_segment_fixed_size: 32768
    .kernarg_segment_align: 8
    .kernarg_segment_size: 400
    .language:       OpenCL C
    .language_version:
      - 2
      - 0
    .max_flat_workgroup_size: 1024
    .name:           _ZL30rocblas_trmm_outofplace_kernelI19rocblas_complex_numIdELi32ELi2ELb1ELb0ELb1ELb1ES1_KS1_S1_Ev17rocblas_diagonal_iiT6_lPT7_lllS6_lllPT8_llli
    .private_segment_fixed_size: 0
    .sgpr_count:     62
    .sgpr_spill_count: 0
    .symbol:         _ZL30rocblas_trmm_outofplace_kernelI19rocblas_complex_numIdELi32ELi2ELb1ELb0ELb1ELb1ES1_KS1_S1_Ev17rocblas_diagonal_iiT6_lPT7_lllS6_lllPT8_llli.kd
    .uniform_work_group_size: 1
    .uses_dynamic_stack: false
    .vgpr_count:     92
    .vgpr_spill_count: 0
    .wavefront_size: 64
  - .agpr_count:     0
    .args:
      - .offset:         0
        .size:           4
        .value_kind:     by_value
      - .offset:         4
        .size:           4
        .value_kind:     by_value
      - .offset:         8
        .size:           4
        .value_kind:     by_value
      - .address_space:  global
        .offset:         16
        .size:           8
        .value_kind:     global_buffer
      - .offset:         24
        .size:           8
        .value_kind:     by_value
      - .address_space:  global
        .offset:         32
        .size:           8
        .value_kind:     global_buffer
      - .offset:         40
        .size:           8
        .value_kind:     by_value
      - .offset:         48
        .size:           8
        .value_kind:     by_value
      - .offset:         56
        .size:           8
        .value_kind:     by_value
      - .address_space:  global
        .offset:         64
        .size:           8
        .value_kind:     global_buffer
      - .offset:         72
        .size:           8
        .value_kind:     by_value
      - .offset:         80
        .size:           8
        .value_kind:     by_value
      - .offset:         88
        .size:           8
        .value_kind:     by_value
      - .address_space:  global
        .offset:         96
        .size:           8
        .value_kind:     global_buffer
      - .offset:         104
        .size:           8
        .value_kind:     by_value
      - .offset:         112
        .size:           8
        .value_kind:     by_value
      - .offset:         120
        .size:           8
        .value_kind:     by_value
      - .offset:         128
        .size:           4
        .value_kind:     by_value
      - .offset:         136
        .size:           4
        .value_kind:     hidden_block_count_x
      - .offset:         140
        .size:           4
        .value_kind:     hidden_block_count_y
      - .offset:         144
        .size:           4
        .value_kind:     hidden_block_count_z
      - .offset:         148
        .size:           2
        .value_kind:     hidden_group_size_x
      - .offset:         150
        .size:           2
        .value_kind:     hidden_group_size_y
      - .offset:         152
        .size:           2
        .value_kind:     hidden_group_size_z
      - .offset:         154
        .size:           2
        .value_kind:     hidden_remainder_x
      - .offset:         156
        .size:           2
        .value_kind:     hidden_remainder_y
      - .offset:         158
        .size:           2
        .value_kind:     hidden_remainder_z
      - .offset:         176
        .size:           8
        .value_kind:     hidden_global_offset_x
      - .offset:         184
        .size:           8
        .value_kind:     hidden_global_offset_y
      - .offset:         192
        .size:           8
        .value_kind:     hidden_global_offset_z
      - .offset:         200
        .size:           2
        .value_kind:     hidden_grid_dims
    .group_segment_fixed_size: 32768
    .kernarg_segment_align: 8
    .kernarg_segment_size: 392
    .language:       OpenCL C
    .language_version:
      - 2
      - 0
    .max_flat_workgroup_size: 1024
    .name:           _ZL30rocblas_trmm_outofplace_kernelI19rocblas_complex_numIdELi32ELi2ELb1ELb1ELb1ELb1EPKS1_S2_S1_Ev17rocblas_diagonal_iiT6_lPT7_lllS7_lllPT8_llli
    .private_segment_fixed_size: 0
    .sgpr_count:     64
    .sgpr_spill_count: 0
    .symbol:         _ZL30rocblas_trmm_outofplace_kernelI19rocblas_complex_numIdELi32ELi2ELb1ELb1ELb1ELb1EPKS1_S2_S1_Ev17rocblas_diagonal_iiT6_lPT7_lllS7_lllPT8_llli.kd
    .uniform_work_group_size: 1
    .uses_dynamic_stack: false
    .vgpr_count:     94
    .vgpr_spill_count: 0
    .wavefront_size: 64
  - .agpr_count:     0
    .args:
      - .offset:         0
        .size:           4
        .value_kind:     by_value
      - .offset:         4
        .size:           4
        .value_kind:     by_value
      - .offset:         8
        .size:           4
        .value_kind:     by_value
      - .offset:         16
        .size:           16
        .value_kind:     by_value
      - .offset:         32
        .size:           8
        .value_kind:     by_value
      - .address_space:  global
        .offset:         40
        .size:           8
        .value_kind:     global_buffer
      - .offset:         48
        .size:           8
        .value_kind:     by_value
      - .offset:         56
        .size:           8
        .value_kind:     by_value
      - .offset:         64
        .size:           8
        .value_kind:     by_value
      - .address_space:  global
        .offset:         72
        .size:           8
        .value_kind:     global_buffer
      - .offset:         80
        .size:           8
        .value_kind:     by_value
      - .offset:         88
        .size:           8
        .value_kind:     by_value
      - .offset:         96
        .size:           8
        .value_kind:     by_value
      - .address_space:  global
        .offset:         104
        .size:           8
        .value_kind:     global_buffer
      - .offset:         112
        .size:           8
        .value_kind:     by_value
      - .offset:         120
        .size:           8
        .value_kind:     by_value
      - .offset:         128
        .size:           8
        .value_kind:     by_value
      - .offset:         136
        .size:           4
        .value_kind:     by_value
      - .offset:         144
        .size:           4
        .value_kind:     hidden_block_count_x
      - .offset:         148
        .size:           4
        .value_kind:     hidden_block_count_y
      - .offset:         152
        .size:           4
        .value_kind:     hidden_block_count_z
      - .offset:         156
        .size:           2
        .value_kind:     hidden_group_size_x
      - .offset:         158
        .size:           2
        .value_kind:     hidden_group_size_y
      - .offset:         160
        .size:           2
        .value_kind:     hidden_group_size_z
      - .offset:         162
        .size:           2
        .value_kind:     hidden_remainder_x
      - .offset:         164
        .size:           2
        .value_kind:     hidden_remainder_y
      - .offset:         166
        .size:           2
        .value_kind:     hidden_remainder_z
      - .offset:         184
        .size:           8
        .value_kind:     hidden_global_offset_x
      - .offset:         192
        .size:           8
        .value_kind:     hidden_global_offset_y
      - .offset:         200
        .size:           8
        .value_kind:     hidden_global_offset_z
      - .offset:         208
        .size:           2
        .value_kind:     hidden_grid_dims
    .group_segment_fixed_size: 32768
    .kernarg_segment_align: 8
    .kernarg_segment_size: 400
    .language:       OpenCL C
    .language_version:
      - 2
      - 0
    .max_flat_workgroup_size: 1024
    .name:           _ZL30rocblas_trmm_outofplace_kernelI19rocblas_complex_numIdELi32ELi2ELb1ELb1ELb1ELb1ES1_KS1_S1_Ev17rocblas_diagonal_iiT6_lPT7_lllS6_lllPT8_llli
    .private_segment_fixed_size: 0
    .sgpr_count:     62
    .sgpr_spill_count: 0
    .symbol:         _ZL30rocblas_trmm_outofplace_kernelI19rocblas_complex_numIdELi32ELi2ELb1ELb1ELb1ELb1ES1_KS1_S1_Ev17rocblas_diagonal_iiT6_lPT7_lllS6_lllPT8_llli.kd
    .uniform_work_group_size: 1
    .uses_dynamic_stack: false
    .vgpr_count:     94
    .vgpr_spill_count: 0
    .wavefront_size: 64
  - .agpr_count:     0
    .args:
      - .offset:         0
        .size:           4
        .value_kind:     by_value
      - .offset:         4
        .size:           4
        .value_kind:     by_value
      - .offset:         8
        .size:           4
        .value_kind:     by_value
      - .address_space:  global
        .offset:         16
        .size:           8
        .value_kind:     global_buffer
      - .offset:         24
        .size:           8
        .value_kind:     by_value
      - .address_space:  global
        .offset:         32
        .size:           8
        .value_kind:     global_buffer
      - .offset:         40
        .size:           8
        .value_kind:     by_value
      - .offset:         48
        .size:           8
        .value_kind:     by_value
      - .offset:         56
        .size:           8
        .value_kind:     by_value
      - .address_space:  global
        .offset:         64
        .size:           8
        .value_kind:     global_buffer
      - .offset:         72
        .size:           8
        .value_kind:     by_value
      - .offset:         80
        .size:           8
        .value_kind:     by_value
      - .offset:         88
        .size:           8
        .value_kind:     by_value
      - .address_space:  global
        .offset:         96
        .size:           8
        .value_kind:     global_buffer
      - .offset:         104
        .size:           8
        .value_kind:     by_value
      - .offset:         112
        .size:           8
        .value_kind:     by_value
      - .offset:         120
        .size:           8
        .value_kind:     by_value
      - .offset:         128
        .size:           4
        .value_kind:     by_value
      - .offset:         136
        .size:           4
        .value_kind:     hidden_block_count_x
      - .offset:         140
        .size:           4
        .value_kind:     hidden_block_count_y
      - .offset:         144
        .size:           4
        .value_kind:     hidden_block_count_z
      - .offset:         148
        .size:           2
        .value_kind:     hidden_group_size_x
      - .offset:         150
        .size:           2
        .value_kind:     hidden_group_size_y
      - .offset:         152
        .size:           2
        .value_kind:     hidden_group_size_z
      - .offset:         154
        .size:           2
        .value_kind:     hidden_remainder_x
      - .offset:         156
        .size:           2
        .value_kind:     hidden_remainder_y
      - .offset:         158
        .size:           2
        .value_kind:     hidden_remainder_z
      - .offset:         176
        .size:           8
        .value_kind:     hidden_global_offset_x
      - .offset:         184
        .size:           8
        .value_kind:     hidden_global_offset_y
      - .offset:         192
        .size:           8
        .value_kind:     hidden_global_offset_z
      - .offset:         200
        .size:           2
        .value_kind:     hidden_grid_dims
    .group_segment_fixed_size: 32768
    .kernarg_segment_align: 8
    .kernarg_segment_size: 392
    .language:       OpenCL C
    .language_version:
      - 2
      - 0
    .max_flat_workgroup_size: 1024
    .name:           _ZL30rocblas_trmm_outofplace_kernelI19rocblas_complex_numIdELi32ELi2ELb0ELb0ELb0ELb0EPKS1_S2_S1_Ev17rocblas_diagonal_iiT6_lPT7_lllS7_lllPT8_llli
    .private_segment_fixed_size: 0
    .sgpr_count:     72
    .sgpr_spill_count: 0
    .symbol:         _ZL30rocblas_trmm_outofplace_kernelI19rocblas_complex_numIdELi32ELi2ELb0ELb0ELb0ELb0EPKS1_S2_S1_Ev17rocblas_diagonal_iiT6_lPT7_lllS7_lllPT8_llli.kd
    .uniform_work_group_size: 1
    .uses_dynamic_stack: false
    .vgpr_count:     94
    .vgpr_spill_count: 0
    .wavefront_size: 64
  - .agpr_count:     0
    .args:
      - .offset:         0
        .size:           4
        .value_kind:     by_value
      - .offset:         4
        .size:           4
        .value_kind:     by_value
      - .offset:         8
        .size:           4
        .value_kind:     by_value
      - .offset:         16
        .size:           16
        .value_kind:     by_value
      - .offset:         32
        .size:           8
        .value_kind:     by_value
      - .address_space:  global
        .offset:         40
        .size:           8
        .value_kind:     global_buffer
      - .offset:         48
        .size:           8
        .value_kind:     by_value
      - .offset:         56
        .size:           8
        .value_kind:     by_value
      - .offset:         64
        .size:           8
        .value_kind:     by_value
      - .address_space:  global
        .offset:         72
        .size:           8
        .value_kind:     global_buffer
      - .offset:         80
        .size:           8
        .value_kind:     by_value
      - .offset:         88
        .size:           8
        .value_kind:     by_value
      - .offset:         96
        .size:           8
        .value_kind:     by_value
      - .address_space:  global
        .offset:         104
        .size:           8
        .value_kind:     global_buffer
      - .offset:         112
        .size:           8
        .value_kind:     by_value
      - .offset:         120
        .size:           8
        .value_kind:     by_value
      - .offset:         128
        .size:           8
        .value_kind:     by_value
      - .offset:         136
        .size:           4
        .value_kind:     by_value
      - .offset:         144
        .size:           4
        .value_kind:     hidden_block_count_x
      - .offset:         148
        .size:           4
        .value_kind:     hidden_block_count_y
      - .offset:         152
        .size:           4
        .value_kind:     hidden_block_count_z
      - .offset:         156
        .size:           2
        .value_kind:     hidden_group_size_x
      - .offset:         158
        .size:           2
        .value_kind:     hidden_group_size_y
      - .offset:         160
        .size:           2
        .value_kind:     hidden_group_size_z
      - .offset:         162
        .size:           2
        .value_kind:     hidden_remainder_x
      - .offset:         164
        .size:           2
        .value_kind:     hidden_remainder_y
      - .offset:         166
        .size:           2
        .value_kind:     hidden_remainder_z
      - .offset:         184
        .size:           8
        .value_kind:     hidden_global_offset_x
      - .offset:         192
        .size:           8
        .value_kind:     hidden_global_offset_y
      - .offset:         200
        .size:           8
        .value_kind:     hidden_global_offset_z
      - .offset:         208
        .size:           2
        .value_kind:     hidden_grid_dims
    .group_segment_fixed_size: 32768
    .kernarg_segment_align: 8
    .kernarg_segment_size: 400
    .language:       OpenCL C
    .language_version:
      - 2
      - 0
    .max_flat_workgroup_size: 1024
    .name:           _ZL30rocblas_trmm_outofplace_kernelI19rocblas_complex_numIdELi32ELi2ELb0ELb0ELb0ELb0ES1_KS1_S1_Ev17rocblas_diagonal_iiT6_lPT7_lllS6_lllPT8_llli
    .private_segment_fixed_size: 0
    .sgpr_count:     72
    .sgpr_spill_count: 0
    .symbol:         _ZL30rocblas_trmm_outofplace_kernelI19rocblas_complex_numIdELi32ELi2ELb0ELb0ELb0ELb0ES1_KS1_S1_Ev17rocblas_diagonal_iiT6_lPT7_lllS6_lllPT8_llli.kd
    .uniform_work_group_size: 1
    .uses_dynamic_stack: false
    .vgpr_count:     94
    .vgpr_spill_count: 0
    .wavefront_size: 64
  - .agpr_count:     0
    .args:
      - .offset:         0
        .size:           4
        .value_kind:     by_value
      - .offset:         4
        .size:           4
        .value_kind:     by_value
      - .offset:         8
        .size:           4
        .value_kind:     by_value
      - .address_space:  global
        .offset:         16
        .size:           8
        .value_kind:     global_buffer
      - .offset:         24
        .size:           8
        .value_kind:     by_value
      - .address_space:  global
        .offset:         32
        .size:           8
        .value_kind:     global_buffer
      - .offset:         40
        .size:           8
        .value_kind:     by_value
      - .offset:         48
        .size:           8
        .value_kind:     by_value
      - .offset:         56
        .size:           8
        .value_kind:     by_value
      - .address_space:  global
        .offset:         64
        .size:           8
        .value_kind:     global_buffer
      - .offset:         72
        .size:           8
        .value_kind:     by_value
      - .offset:         80
        .size:           8
        .value_kind:     by_value
      - .offset:         88
        .size:           8
        .value_kind:     by_value
      - .address_space:  global
        .offset:         96
        .size:           8
        .value_kind:     global_buffer
      - .offset:         104
        .size:           8
        .value_kind:     by_value
      - .offset:         112
        .size:           8
        .value_kind:     by_value
      - .offset:         120
        .size:           8
        .value_kind:     by_value
      - .offset:         128
        .size:           4
        .value_kind:     by_value
      - .offset:         136
        .size:           4
        .value_kind:     hidden_block_count_x
      - .offset:         140
        .size:           4
        .value_kind:     hidden_block_count_y
      - .offset:         144
        .size:           4
        .value_kind:     hidden_block_count_z
      - .offset:         148
        .size:           2
        .value_kind:     hidden_group_size_x
      - .offset:         150
        .size:           2
        .value_kind:     hidden_group_size_y
      - .offset:         152
        .size:           2
        .value_kind:     hidden_group_size_z
      - .offset:         154
        .size:           2
        .value_kind:     hidden_remainder_x
      - .offset:         156
        .size:           2
        .value_kind:     hidden_remainder_y
      - .offset:         158
        .size:           2
        .value_kind:     hidden_remainder_z
      - .offset:         176
        .size:           8
        .value_kind:     hidden_global_offset_x
      - .offset:         184
        .size:           8
        .value_kind:     hidden_global_offset_y
      - .offset:         192
        .size:           8
        .value_kind:     hidden_global_offset_z
      - .offset:         200
        .size:           2
        .value_kind:     hidden_grid_dims
    .group_segment_fixed_size: 32768
    .kernarg_segment_align: 8
    .kernarg_segment_size: 392
    .language:       OpenCL C
    .language_version:
      - 2
      - 0
    .max_flat_workgroup_size: 1024
    .name:           _ZL30rocblas_trmm_outofplace_kernelI19rocblas_complex_numIdELi32ELi2ELb0ELb1ELb0ELb0EPKS1_S2_S1_Ev17rocblas_diagonal_iiT6_lPT7_lllS7_lllPT8_llli
    .private_segment_fixed_size: 0
    .sgpr_count:     64
    .sgpr_spill_count: 0
    .symbol:         _ZL30rocblas_trmm_outofplace_kernelI19rocblas_complex_numIdELi32ELi2ELb0ELb1ELb0ELb0EPKS1_S2_S1_Ev17rocblas_diagonal_iiT6_lPT7_lllS7_lllPT8_llli.kd
    .uniform_work_group_size: 1
    .uses_dynamic_stack: false
    .vgpr_count:     102
    .vgpr_spill_count: 0
    .wavefront_size: 64
  - .agpr_count:     0
    .args:
      - .offset:         0
        .size:           4
        .value_kind:     by_value
      - .offset:         4
        .size:           4
        .value_kind:     by_value
      - .offset:         8
        .size:           4
        .value_kind:     by_value
      - .offset:         16
        .size:           16
        .value_kind:     by_value
      - .offset:         32
        .size:           8
        .value_kind:     by_value
      - .address_space:  global
        .offset:         40
        .size:           8
        .value_kind:     global_buffer
      - .offset:         48
        .size:           8
        .value_kind:     by_value
      - .offset:         56
        .size:           8
        .value_kind:     by_value
      - .offset:         64
        .size:           8
        .value_kind:     by_value
      - .address_space:  global
        .offset:         72
        .size:           8
        .value_kind:     global_buffer
      - .offset:         80
        .size:           8
        .value_kind:     by_value
      - .offset:         88
        .size:           8
        .value_kind:     by_value
      - .offset:         96
        .size:           8
        .value_kind:     by_value
      - .address_space:  global
        .offset:         104
        .size:           8
        .value_kind:     global_buffer
      - .offset:         112
        .size:           8
        .value_kind:     by_value
      - .offset:         120
        .size:           8
        .value_kind:     by_value
      - .offset:         128
        .size:           8
        .value_kind:     by_value
      - .offset:         136
        .size:           4
        .value_kind:     by_value
      - .offset:         144
        .size:           4
        .value_kind:     hidden_block_count_x
      - .offset:         148
        .size:           4
        .value_kind:     hidden_block_count_y
      - .offset:         152
        .size:           4
        .value_kind:     hidden_block_count_z
      - .offset:         156
        .size:           2
        .value_kind:     hidden_group_size_x
      - .offset:         158
        .size:           2
        .value_kind:     hidden_group_size_y
      - .offset:         160
        .size:           2
        .value_kind:     hidden_group_size_z
      - .offset:         162
        .size:           2
        .value_kind:     hidden_remainder_x
      - .offset:         164
        .size:           2
        .value_kind:     hidden_remainder_y
      - .offset:         166
        .size:           2
        .value_kind:     hidden_remainder_z
      - .offset:         184
        .size:           8
        .value_kind:     hidden_global_offset_x
      - .offset:         192
        .size:           8
        .value_kind:     hidden_global_offset_y
      - .offset:         200
        .size:           8
        .value_kind:     hidden_global_offset_z
      - .offset:         208
        .size:           2
        .value_kind:     hidden_grid_dims
    .group_segment_fixed_size: 32768
    .kernarg_segment_align: 8
    .kernarg_segment_size: 400
    .language:       OpenCL C
    .language_version:
      - 2
      - 0
    .max_flat_workgroup_size: 1024
    .name:           _ZL30rocblas_trmm_outofplace_kernelI19rocblas_complex_numIdELi32ELi2ELb0ELb1ELb0ELb0ES1_KS1_S1_Ev17rocblas_diagonal_iiT6_lPT7_lllS6_lllPT8_llli
    .private_segment_fixed_size: 0
    .sgpr_count:     64
    .sgpr_spill_count: 0
    .symbol:         _ZL30rocblas_trmm_outofplace_kernelI19rocblas_complex_numIdELi32ELi2ELb0ELb1ELb0ELb0ES1_KS1_S1_Ev17rocblas_diagonal_iiT6_lPT7_lllS6_lllPT8_llli.kd
    .uniform_work_group_size: 1
    .uses_dynamic_stack: false
    .vgpr_count:     102
    .vgpr_spill_count: 0
    .wavefront_size: 64
  - .agpr_count:     0
    .args:
      - .offset:         0
        .size:           4
        .value_kind:     by_value
      - .offset:         4
        .size:           4
        .value_kind:     by_value
      - .offset:         8
        .size:           4
        .value_kind:     by_value
      - .address_space:  global
        .offset:         16
        .size:           8
        .value_kind:     global_buffer
      - .offset:         24
        .size:           8
        .value_kind:     by_value
      - .address_space:  global
        .offset:         32
        .size:           8
        .value_kind:     global_buffer
      - .offset:         40
        .size:           8
        .value_kind:     by_value
      - .offset:         48
        .size:           8
        .value_kind:     by_value
      - .offset:         56
        .size:           8
        .value_kind:     by_value
      - .address_space:  global
        .offset:         64
        .size:           8
        .value_kind:     global_buffer
      - .offset:         72
        .size:           8
        .value_kind:     by_value
      - .offset:         80
        .size:           8
        .value_kind:     by_value
      - .offset:         88
        .size:           8
        .value_kind:     by_value
      - .address_space:  global
        .offset:         96
        .size:           8
        .value_kind:     global_buffer
      - .offset:         104
        .size:           8
        .value_kind:     by_value
      - .offset:         112
        .size:           8
        .value_kind:     by_value
      - .offset:         120
        .size:           8
        .value_kind:     by_value
      - .offset:         128
        .size:           4
        .value_kind:     by_value
      - .offset:         136
        .size:           4
        .value_kind:     hidden_block_count_x
      - .offset:         140
        .size:           4
        .value_kind:     hidden_block_count_y
      - .offset:         144
        .size:           4
        .value_kind:     hidden_block_count_z
      - .offset:         148
        .size:           2
        .value_kind:     hidden_group_size_x
      - .offset:         150
        .size:           2
        .value_kind:     hidden_group_size_y
      - .offset:         152
        .size:           2
        .value_kind:     hidden_group_size_z
      - .offset:         154
        .size:           2
        .value_kind:     hidden_remainder_x
      - .offset:         156
        .size:           2
        .value_kind:     hidden_remainder_y
      - .offset:         158
        .size:           2
        .value_kind:     hidden_remainder_z
      - .offset:         176
        .size:           8
        .value_kind:     hidden_global_offset_x
      - .offset:         184
        .size:           8
        .value_kind:     hidden_global_offset_y
      - .offset:         192
        .size:           8
        .value_kind:     hidden_global_offset_z
      - .offset:         200
        .size:           2
        .value_kind:     hidden_grid_dims
    .group_segment_fixed_size: 32768
    .kernarg_segment_align: 8
    .kernarg_segment_size: 392
    .language:       OpenCL C
    .language_version:
      - 2
      - 0
    .max_flat_workgroup_size: 1024
    .name:           _ZL30rocblas_trmm_outofplace_kernelI19rocblas_complex_numIdELi32ELi2ELb0ELb0ELb1ELb0EPKS1_S2_S1_Ev17rocblas_diagonal_iiT6_lPT7_lllS7_lllPT8_llli
    .private_segment_fixed_size: 0
    .sgpr_count:     60
    .sgpr_spill_count: 0
    .symbol:         _ZL30rocblas_trmm_outofplace_kernelI19rocblas_complex_numIdELi32ELi2ELb0ELb0ELb1ELb0EPKS1_S2_S1_Ev17rocblas_diagonal_iiT6_lPT7_lllS7_lllPT8_llli.kd
    .uniform_work_group_size: 1
    .uses_dynamic_stack: false
    .vgpr_count:     104
    .vgpr_spill_count: 0
    .wavefront_size: 64
  - .agpr_count:     0
    .args:
      - .offset:         0
        .size:           4
        .value_kind:     by_value
      - .offset:         4
        .size:           4
        .value_kind:     by_value
      - .offset:         8
        .size:           4
        .value_kind:     by_value
      - .offset:         16
        .size:           16
        .value_kind:     by_value
      - .offset:         32
        .size:           8
        .value_kind:     by_value
      - .address_space:  global
        .offset:         40
        .size:           8
        .value_kind:     global_buffer
      - .offset:         48
        .size:           8
        .value_kind:     by_value
      - .offset:         56
        .size:           8
        .value_kind:     by_value
      - .offset:         64
        .size:           8
        .value_kind:     by_value
      - .address_space:  global
        .offset:         72
        .size:           8
        .value_kind:     global_buffer
      - .offset:         80
        .size:           8
        .value_kind:     by_value
      - .offset:         88
        .size:           8
        .value_kind:     by_value
      - .offset:         96
        .size:           8
        .value_kind:     by_value
      - .address_space:  global
        .offset:         104
        .size:           8
        .value_kind:     global_buffer
      - .offset:         112
        .size:           8
        .value_kind:     by_value
      - .offset:         120
        .size:           8
        .value_kind:     by_value
      - .offset:         128
        .size:           8
        .value_kind:     by_value
      - .offset:         136
        .size:           4
        .value_kind:     by_value
      - .offset:         144
        .size:           4
        .value_kind:     hidden_block_count_x
      - .offset:         148
        .size:           4
        .value_kind:     hidden_block_count_y
      - .offset:         152
        .size:           4
        .value_kind:     hidden_block_count_z
      - .offset:         156
        .size:           2
        .value_kind:     hidden_group_size_x
      - .offset:         158
        .size:           2
        .value_kind:     hidden_group_size_y
      - .offset:         160
        .size:           2
        .value_kind:     hidden_group_size_z
      - .offset:         162
        .size:           2
        .value_kind:     hidden_remainder_x
      - .offset:         164
        .size:           2
        .value_kind:     hidden_remainder_y
      - .offset:         166
        .size:           2
        .value_kind:     hidden_remainder_z
      - .offset:         184
        .size:           8
        .value_kind:     hidden_global_offset_x
      - .offset:         192
        .size:           8
        .value_kind:     hidden_global_offset_y
      - .offset:         200
        .size:           8
        .value_kind:     hidden_global_offset_z
      - .offset:         208
        .size:           2
        .value_kind:     hidden_grid_dims
    .group_segment_fixed_size: 32768
    .kernarg_segment_align: 8
    .kernarg_segment_size: 400
    .language:       OpenCL C
    .language_version:
      - 2
      - 0
    .max_flat_workgroup_size: 1024
    .name:           _ZL30rocblas_trmm_outofplace_kernelI19rocblas_complex_numIdELi32ELi2ELb0ELb0ELb1ELb0ES1_KS1_S1_Ev17rocblas_diagonal_iiT6_lPT7_lllS6_lllPT8_llli
    .private_segment_fixed_size: 0
    .sgpr_count:     58
    .sgpr_spill_count: 0
    .symbol:         _ZL30rocblas_trmm_outofplace_kernelI19rocblas_complex_numIdELi32ELi2ELb0ELb0ELb1ELb0ES1_KS1_S1_Ev17rocblas_diagonal_iiT6_lPT7_lllS6_lllPT8_llli.kd
    .uniform_work_group_size: 1
    .uses_dynamic_stack: false
    .vgpr_count:     104
    .vgpr_spill_count: 0
    .wavefront_size: 64
  - .agpr_count:     0
    .args:
      - .offset:         0
        .size:           4
        .value_kind:     by_value
      - .offset:         4
        .size:           4
        .value_kind:     by_value
      - .offset:         8
        .size:           4
        .value_kind:     by_value
      - .address_space:  global
        .offset:         16
        .size:           8
        .value_kind:     global_buffer
      - .offset:         24
        .size:           8
        .value_kind:     by_value
      - .address_space:  global
        .offset:         32
        .size:           8
        .value_kind:     global_buffer
      - .offset:         40
        .size:           8
        .value_kind:     by_value
      - .offset:         48
        .size:           8
        .value_kind:     by_value
      - .offset:         56
        .size:           8
        .value_kind:     by_value
      - .address_space:  global
        .offset:         64
        .size:           8
        .value_kind:     global_buffer
      - .offset:         72
        .size:           8
        .value_kind:     by_value
      - .offset:         80
        .size:           8
        .value_kind:     by_value
      - .offset:         88
        .size:           8
        .value_kind:     by_value
      - .address_space:  global
        .offset:         96
        .size:           8
        .value_kind:     global_buffer
      - .offset:         104
        .size:           8
        .value_kind:     by_value
      - .offset:         112
        .size:           8
        .value_kind:     by_value
      - .offset:         120
        .size:           8
        .value_kind:     by_value
      - .offset:         128
        .size:           4
        .value_kind:     by_value
      - .offset:         136
        .size:           4
        .value_kind:     hidden_block_count_x
      - .offset:         140
        .size:           4
        .value_kind:     hidden_block_count_y
      - .offset:         144
        .size:           4
        .value_kind:     hidden_block_count_z
      - .offset:         148
        .size:           2
        .value_kind:     hidden_group_size_x
      - .offset:         150
        .size:           2
        .value_kind:     hidden_group_size_y
      - .offset:         152
        .size:           2
        .value_kind:     hidden_group_size_z
      - .offset:         154
        .size:           2
        .value_kind:     hidden_remainder_x
      - .offset:         156
        .size:           2
        .value_kind:     hidden_remainder_y
      - .offset:         158
        .size:           2
        .value_kind:     hidden_remainder_z
      - .offset:         176
        .size:           8
        .value_kind:     hidden_global_offset_x
      - .offset:         184
        .size:           8
        .value_kind:     hidden_global_offset_y
      - .offset:         192
        .size:           8
        .value_kind:     hidden_global_offset_z
      - .offset:         200
        .size:           2
        .value_kind:     hidden_grid_dims
    .group_segment_fixed_size: 32768
    .kernarg_segment_align: 8
    .kernarg_segment_size: 392
    .language:       OpenCL C
    .language_version:
      - 2
      - 0
    .max_flat_workgroup_size: 1024
    .name:           _ZL30rocblas_trmm_outofplace_kernelI19rocblas_complex_numIdELi32ELi2ELb0ELb1ELb1ELb0EPKS1_S2_S1_Ev17rocblas_diagonal_iiT6_lPT7_lllS7_lllPT8_llli
    .private_segment_fixed_size: 0
    .sgpr_count:     76
    .sgpr_spill_count: 0
    .symbol:         _ZL30rocblas_trmm_outofplace_kernelI19rocblas_complex_numIdELi32ELi2ELb0ELb1ELb1ELb0EPKS1_S2_S1_Ev17rocblas_diagonal_iiT6_lPT7_lllS7_lllPT8_llli.kd
    .uniform_work_group_size: 1
    .uses_dynamic_stack: false
    .vgpr_count:     94
    .vgpr_spill_count: 0
    .wavefront_size: 64
  - .agpr_count:     0
    .args:
      - .offset:         0
        .size:           4
        .value_kind:     by_value
      - .offset:         4
        .size:           4
        .value_kind:     by_value
      - .offset:         8
        .size:           4
        .value_kind:     by_value
      - .offset:         16
        .size:           16
        .value_kind:     by_value
      - .offset:         32
        .size:           8
        .value_kind:     by_value
      - .address_space:  global
        .offset:         40
        .size:           8
        .value_kind:     global_buffer
      - .offset:         48
        .size:           8
        .value_kind:     by_value
      - .offset:         56
        .size:           8
        .value_kind:     by_value
      - .offset:         64
        .size:           8
        .value_kind:     by_value
      - .address_space:  global
        .offset:         72
        .size:           8
        .value_kind:     global_buffer
      - .offset:         80
        .size:           8
        .value_kind:     by_value
      - .offset:         88
        .size:           8
        .value_kind:     by_value
      - .offset:         96
        .size:           8
        .value_kind:     by_value
      - .address_space:  global
        .offset:         104
        .size:           8
        .value_kind:     global_buffer
      - .offset:         112
        .size:           8
        .value_kind:     by_value
      - .offset:         120
        .size:           8
        .value_kind:     by_value
      - .offset:         128
        .size:           8
        .value_kind:     by_value
      - .offset:         136
        .size:           4
        .value_kind:     by_value
      - .offset:         144
        .size:           4
        .value_kind:     hidden_block_count_x
      - .offset:         148
        .size:           4
        .value_kind:     hidden_block_count_y
      - .offset:         152
        .size:           4
        .value_kind:     hidden_block_count_z
      - .offset:         156
        .size:           2
        .value_kind:     hidden_group_size_x
      - .offset:         158
        .size:           2
        .value_kind:     hidden_group_size_y
      - .offset:         160
        .size:           2
        .value_kind:     hidden_group_size_z
      - .offset:         162
        .size:           2
        .value_kind:     hidden_remainder_x
      - .offset:         164
        .size:           2
        .value_kind:     hidden_remainder_y
      - .offset:         166
        .size:           2
        .value_kind:     hidden_remainder_z
      - .offset:         184
        .size:           8
        .value_kind:     hidden_global_offset_x
      - .offset:         192
        .size:           8
        .value_kind:     hidden_global_offset_y
      - .offset:         200
        .size:           8
        .value_kind:     hidden_global_offset_z
      - .offset:         208
        .size:           2
        .value_kind:     hidden_grid_dims
    .group_segment_fixed_size: 32768
    .kernarg_segment_align: 8
    .kernarg_segment_size: 400
    .language:       OpenCL C
    .language_version:
      - 2
      - 0
    .max_flat_workgroup_size: 1024
    .name:           _ZL30rocblas_trmm_outofplace_kernelI19rocblas_complex_numIdELi32ELi2ELb0ELb1ELb1ELb0ES1_KS1_S1_Ev17rocblas_diagonal_iiT6_lPT7_lllS6_lllPT8_llli
    .private_segment_fixed_size: 0
    .sgpr_count:     76
    .sgpr_spill_count: 0
    .symbol:         _ZL30rocblas_trmm_outofplace_kernelI19rocblas_complex_numIdELi32ELi2ELb0ELb1ELb1ELb0ES1_KS1_S1_Ev17rocblas_diagonal_iiT6_lPT7_lllS6_lllPT8_llli.kd
    .uniform_work_group_size: 1
    .uses_dynamic_stack: false
    .vgpr_count:     94
    .vgpr_spill_count: 0
    .wavefront_size: 64
  - .agpr_count:     0
    .args:
      - .offset:         0
        .size:           4
        .value_kind:     by_value
      - .offset:         4
        .size:           4
        .value_kind:     by_value
      - .offset:         8
        .size:           4
        .value_kind:     by_value
      - .address_space:  global
        .offset:         16
        .size:           8
        .value_kind:     global_buffer
      - .offset:         24
        .size:           8
        .value_kind:     by_value
      - .address_space:  global
        .offset:         32
        .size:           8
        .value_kind:     global_buffer
      - .offset:         40
        .size:           8
        .value_kind:     by_value
      - .offset:         48
        .size:           8
        .value_kind:     by_value
      - .offset:         56
        .size:           8
        .value_kind:     by_value
      - .address_space:  global
        .offset:         64
        .size:           8
        .value_kind:     global_buffer
      - .offset:         72
        .size:           8
        .value_kind:     by_value
      - .offset:         80
        .size:           8
        .value_kind:     by_value
      - .offset:         88
        .size:           8
        .value_kind:     by_value
      - .address_space:  global
        .offset:         96
        .size:           8
        .value_kind:     global_buffer
      - .offset:         104
        .size:           8
        .value_kind:     by_value
      - .offset:         112
        .size:           8
        .value_kind:     by_value
      - .offset:         120
        .size:           8
        .value_kind:     by_value
      - .offset:         128
        .size:           4
        .value_kind:     by_value
      - .offset:         136
        .size:           4
        .value_kind:     hidden_block_count_x
      - .offset:         140
        .size:           4
        .value_kind:     hidden_block_count_y
      - .offset:         144
        .size:           4
        .value_kind:     hidden_block_count_z
      - .offset:         148
        .size:           2
        .value_kind:     hidden_group_size_x
      - .offset:         150
        .size:           2
        .value_kind:     hidden_group_size_y
      - .offset:         152
        .size:           2
        .value_kind:     hidden_group_size_z
      - .offset:         154
        .size:           2
        .value_kind:     hidden_remainder_x
      - .offset:         156
        .size:           2
        .value_kind:     hidden_remainder_y
      - .offset:         158
        .size:           2
        .value_kind:     hidden_remainder_z
      - .offset:         176
        .size:           8
        .value_kind:     hidden_global_offset_x
      - .offset:         184
        .size:           8
        .value_kind:     hidden_global_offset_y
      - .offset:         192
        .size:           8
        .value_kind:     hidden_global_offset_z
      - .offset:         200
        .size:           2
        .value_kind:     hidden_grid_dims
    .group_segment_fixed_size: 32768
    .kernarg_segment_align: 8
    .kernarg_segment_size: 392
    .language:       OpenCL C
    .language_version:
      - 2
      - 0
    .max_flat_workgroup_size: 1024
    .name:           _ZL30rocblas_trmm_outofplace_kernelI19rocblas_complex_numIdELi32ELi2ELb0ELb0ELb1ELb1EPKS1_S2_S1_Ev17rocblas_diagonal_iiT6_lPT7_lllS7_lllPT8_llli
    .private_segment_fixed_size: 0
    .sgpr_count:     61
    .sgpr_spill_count: 0
    .symbol:         _ZL30rocblas_trmm_outofplace_kernelI19rocblas_complex_numIdELi32ELi2ELb0ELb0ELb1ELb1EPKS1_S2_S1_Ev17rocblas_diagonal_iiT6_lPT7_lllS7_lllPT8_llli.kd
    .uniform_work_group_size: 1
    .uses_dynamic_stack: false
    .vgpr_count:     102
    .vgpr_spill_count: 0
    .wavefront_size: 64
  - .agpr_count:     0
    .args:
      - .offset:         0
        .size:           4
        .value_kind:     by_value
      - .offset:         4
        .size:           4
        .value_kind:     by_value
      - .offset:         8
        .size:           4
        .value_kind:     by_value
      - .offset:         16
        .size:           16
        .value_kind:     by_value
      - .offset:         32
        .size:           8
        .value_kind:     by_value
      - .address_space:  global
        .offset:         40
        .size:           8
        .value_kind:     global_buffer
      - .offset:         48
        .size:           8
        .value_kind:     by_value
      - .offset:         56
        .size:           8
        .value_kind:     by_value
      - .offset:         64
        .size:           8
        .value_kind:     by_value
      - .address_space:  global
        .offset:         72
        .size:           8
        .value_kind:     global_buffer
      - .offset:         80
        .size:           8
        .value_kind:     by_value
      - .offset:         88
        .size:           8
        .value_kind:     by_value
      - .offset:         96
        .size:           8
        .value_kind:     by_value
      - .address_space:  global
        .offset:         104
        .size:           8
        .value_kind:     global_buffer
      - .offset:         112
        .size:           8
        .value_kind:     by_value
      - .offset:         120
        .size:           8
        .value_kind:     by_value
      - .offset:         128
        .size:           8
        .value_kind:     by_value
      - .offset:         136
        .size:           4
        .value_kind:     by_value
      - .offset:         144
        .size:           4
        .value_kind:     hidden_block_count_x
      - .offset:         148
        .size:           4
        .value_kind:     hidden_block_count_y
      - .offset:         152
        .size:           4
        .value_kind:     hidden_block_count_z
      - .offset:         156
        .size:           2
        .value_kind:     hidden_group_size_x
      - .offset:         158
        .size:           2
        .value_kind:     hidden_group_size_y
      - .offset:         160
        .size:           2
        .value_kind:     hidden_group_size_z
      - .offset:         162
        .size:           2
        .value_kind:     hidden_remainder_x
      - .offset:         164
        .size:           2
        .value_kind:     hidden_remainder_y
      - .offset:         166
        .size:           2
        .value_kind:     hidden_remainder_z
      - .offset:         184
        .size:           8
        .value_kind:     hidden_global_offset_x
      - .offset:         192
        .size:           8
        .value_kind:     hidden_global_offset_y
      - .offset:         200
        .size:           8
        .value_kind:     hidden_global_offset_z
      - .offset:         208
        .size:           2
        .value_kind:     hidden_grid_dims
    .group_segment_fixed_size: 32768
    .kernarg_segment_align: 8
    .kernarg_segment_size: 400
    .language:       OpenCL C
    .language_version:
      - 2
      - 0
    .max_flat_workgroup_size: 1024
    .name:           _ZL30rocblas_trmm_outofplace_kernelI19rocblas_complex_numIdELi32ELi2ELb0ELb0ELb1ELb1ES1_KS1_S1_Ev17rocblas_diagonal_iiT6_lPT7_lllS6_lllPT8_llli
    .private_segment_fixed_size: 0
    .sgpr_count:     61
    .sgpr_spill_count: 0
    .symbol:         _ZL30rocblas_trmm_outofplace_kernelI19rocblas_complex_numIdELi32ELi2ELb0ELb0ELb1ELb1ES1_KS1_S1_Ev17rocblas_diagonal_iiT6_lPT7_lllS6_lllPT8_llli.kd
    .uniform_work_group_size: 1
    .uses_dynamic_stack: false
    .vgpr_count:     102
    .vgpr_spill_count: 0
    .wavefront_size: 64
  - .agpr_count:     0
    .args:
      - .offset:         0
        .size:           4
        .value_kind:     by_value
      - .offset:         4
        .size:           4
        .value_kind:     by_value
      - .offset:         8
        .size:           4
        .value_kind:     by_value
      - .address_space:  global
        .offset:         16
        .size:           8
        .value_kind:     global_buffer
      - .offset:         24
        .size:           8
        .value_kind:     by_value
      - .address_space:  global
        .offset:         32
        .size:           8
        .value_kind:     global_buffer
      - .offset:         40
        .size:           8
        .value_kind:     by_value
      - .offset:         48
        .size:           8
        .value_kind:     by_value
      - .offset:         56
        .size:           8
        .value_kind:     by_value
      - .address_space:  global
        .offset:         64
        .size:           8
        .value_kind:     global_buffer
      - .offset:         72
        .size:           8
        .value_kind:     by_value
      - .offset:         80
        .size:           8
        .value_kind:     by_value
      - .offset:         88
        .size:           8
        .value_kind:     by_value
      - .address_space:  global
        .offset:         96
        .size:           8
        .value_kind:     global_buffer
      - .offset:         104
        .size:           8
        .value_kind:     by_value
      - .offset:         112
        .size:           8
        .value_kind:     by_value
      - .offset:         120
        .size:           8
        .value_kind:     by_value
      - .offset:         128
        .size:           4
        .value_kind:     by_value
      - .offset:         136
        .size:           4
        .value_kind:     hidden_block_count_x
      - .offset:         140
        .size:           4
        .value_kind:     hidden_block_count_y
      - .offset:         144
        .size:           4
        .value_kind:     hidden_block_count_z
      - .offset:         148
        .size:           2
        .value_kind:     hidden_group_size_x
      - .offset:         150
        .size:           2
        .value_kind:     hidden_group_size_y
      - .offset:         152
        .size:           2
        .value_kind:     hidden_group_size_z
      - .offset:         154
        .size:           2
        .value_kind:     hidden_remainder_x
      - .offset:         156
        .size:           2
        .value_kind:     hidden_remainder_y
      - .offset:         158
        .size:           2
        .value_kind:     hidden_remainder_z
      - .offset:         176
        .size:           8
        .value_kind:     hidden_global_offset_x
      - .offset:         184
        .size:           8
        .value_kind:     hidden_global_offset_y
      - .offset:         192
        .size:           8
        .value_kind:     hidden_global_offset_z
      - .offset:         200
        .size:           2
        .value_kind:     hidden_grid_dims
    .group_segment_fixed_size: 32768
    .kernarg_segment_align: 8
    .kernarg_segment_size: 392
    .language:       OpenCL C
    .language_version:
      - 2
      - 0
    .max_flat_workgroup_size: 1024
    .name:           _ZL30rocblas_trmm_outofplace_kernelI19rocblas_complex_numIdELi32ELi2ELb0ELb1ELb1ELb1EPKS1_S2_S1_Ev17rocblas_diagonal_iiT6_lPT7_lllS7_lllPT8_llli
    .private_segment_fixed_size: 0
    .sgpr_count:     70
    .sgpr_spill_count: 0
    .symbol:         _ZL30rocblas_trmm_outofplace_kernelI19rocblas_complex_numIdELi32ELi2ELb0ELb1ELb1ELb1EPKS1_S2_S1_Ev17rocblas_diagonal_iiT6_lPT7_lllS7_lllPT8_llli.kd
    .uniform_work_group_size: 1
    .uses_dynamic_stack: false
    .vgpr_count:     94
    .vgpr_spill_count: 0
    .wavefront_size: 64
  - .agpr_count:     0
    .args:
      - .offset:         0
        .size:           4
        .value_kind:     by_value
      - .offset:         4
        .size:           4
        .value_kind:     by_value
      - .offset:         8
        .size:           4
        .value_kind:     by_value
      - .offset:         16
        .size:           16
        .value_kind:     by_value
      - .offset:         32
        .size:           8
        .value_kind:     by_value
      - .address_space:  global
        .offset:         40
        .size:           8
        .value_kind:     global_buffer
      - .offset:         48
        .size:           8
        .value_kind:     by_value
      - .offset:         56
        .size:           8
        .value_kind:     by_value
      - .offset:         64
        .size:           8
        .value_kind:     by_value
      - .address_space:  global
        .offset:         72
        .size:           8
        .value_kind:     global_buffer
      - .offset:         80
        .size:           8
        .value_kind:     by_value
      - .offset:         88
        .size:           8
        .value_kind:     by_value
      - .offset:         96
        .size:           8
        .value_kind:     by_value
      - .address_space:  global
        .offset:         104
        .size:           8
        .value_kind:     global_buffer
      - .offset:         112
        .size:           8
        .value_kind:     by_value
      - .offset:         120
        .size:           8
        .value_kind:     by_value
      - .offset:         128
        .size:           8
        .value_kind:     by_value
      - .offset:         136
        .size:           4
        .value_kind:     by_value
      - .offset:         144
        .size:           4
        .value_kind:     hidden_block_count_x
      - .offset:         148
        .size:           4
        .value_kind:     hidden_block_count_y
      - .offset:         152
        .size:           4
        .value_kind:     hidden_block_count_z
      - .offset:         156
        .size:           2
        .value_kind:     hidden_group_size_x
      - .offset:         158
        .size:           2
        .value_kind:     hidden_group_size_y
      - .offset:         160
        .size:           2
        .value_kind:     hidden_group_size_z
      - .offset:         162
        .size:           2
        .value_kind:     hidden_remainder_x
      - .offset:         164
        .size:           2
        .value_kind:     hidden_remainder_y
      - .offset:         166
        .size:           2
        .value_kind:     hidden_remainder_z
      - .offset:         184
        .size:           8
        .value_kind:     hidden_global_offset_x
      - .offset:         192
        .size:           8
        .value_kind:     hidden_global_offset_y
      - .offset:         200
        .size:           8
        .value_kind:     hidden_global_offset_z
      - .offset:         208
        .size:           2
        .value_kind:     hidden_grid_dims
    .group_segment_fixed_size: 32768
    .kernarg_segment_align: 8
    .kernarg_segment_size: 400
    .language:       OpenCL C
    .language_version:
      - 2
      - 0
    .max_flat_workgroup_size: 1024
    .name:           _ZL30rocblas_trmm_outofplace_kernelI19rocblas_complex_numIdELi32ELi2ELb0ELb1ELb1ELb1ES1_KS1_S1_Ev17rocblas_diagonal_iiT6_lPT7_lllS6_lllPT8_llli
    .private_segment_fixed_size: 0
    .sgpr_count:     70
    .sgpr_spill_count: 0
    .symbol:         _ZL30rocblas_trmm_outofplace_kernelI19rocblas_complex_numIdELi32ELi2ELb0ELb1ELb1ELb1ES1_KS1_S1_Ev17rocblas_diagonal_iiT6_lPT7_lllS6_lllPT8_llli.kd
    .uniform_work_group_size: 1
    .uses_dynamic_stack: false
    .vgpr_count:     94
    .vgpr_spill_count: 0
    .wavefront_size: 64
  - .agpr_count:     0
    .args:
      - .offset:         0
        .size:           4
        .value_kind:     by_value
      - .offset:         4
        .size:           4
        .value_kind:     by_value
      - .offset:         8
        .size:           4
        .value_kind:     by_value
      - .offset:         12
        .size:           4
        .value_kind:     by_value
      - .address_space:  global
        .offset:         16
        .size:           8
        .value_kind:     global_buffer
      - .offset:         24
        .size:           8
        .value_kind:     by_value
      - .address_space:  global
        .offset:         32
        .size:           8
        .value_kind:     global_buffer
      - .offset:         40
        .size:           8
        .value_kind:     by_value
      - .offset:         48
        .size:           8
        .value_kind:     by_value
      - .address_space:  global
        .offset:         56
        .size:           8
        .value_kind:     global_buffer
      - .offset:         64
        .size:           8
        .value_kind:     by_value
      - .offset:         72
        .size:           8
        .value_kind:     by_value
      - .address_space:  global
        .offset:         80
        .size:           8
        .value_kind:     global_buffer
      - .offset:         88
        .size:           8
        .value_kind:     by_value
      - .offset:         96
        .size:           8
        .value_kind:     by_value
      - .offset:         104
        .size:           4
        .value_kind:     by_value
    .group_segment_fixed_size: 8192
    .kernarg_segment_align: 8
    .kernarg_segment_size: 108
    .language:       OpenCL C
    .language_version:
      - 2
      - 0
    .max_flat_workgroup_size: 256
    .name:           _ZL23rocblas_trmm_lNx_kernelILi16E19rocblas_complex_numIdEPKS1_S2_S1_Ev13rocblas_fill_17rocblas_diagonal_iiT1_lPT2_llS8_llPT3_lli
    .private_segment_fixed_size: 0
    .sgpr_count:     34
    .sgpr_spill_count: 0
    .symbol:         _ZL23rocblas_trmm_lNx_kernelILi16E19rocblas_complex_numIdEPKS1_S2_S1_Ev13rocblas_fill_17rocblas_diagonal_iiT1_lPT2_llS8_llPT3_lli.kd
    .uniform_work_group_size: 1
    .uses_dynamic_stack: false
    .vgpr_count:     76
    .vgpr_spill_count: 0
    .wavefront_size: 64
  - .agpr_count:     0
    .args:
      - .offset:         0
        .size:           4
        .value_kind:     by_value
      - .offset:         4
        .size:           4
        .value_kind:     by_value
      - .offset:         8
        .size:           4
        .value_kind:     by_value
      - .offset:         12
        .size:           4
        .value_kind:     by_value
      - .offset:         16
        .size:           16
        .value_kind:     by_value
      - .offset:         32
        .size:           8
        .value_kind:     by_value
      - .address_space:  global
        .offset:         40
        .size:           8
        .value_kind:     global_buffer
      - .offset:         48
        .size:           8
        .value_kind:     by_value
      - .offset:         56
        .size:           8
        .value_kind:     by_value
      - .address_space:  global
        .offset:         64
        .size:           8
        .value_kind:     global_buffer
      - .offset:         72
        .size:           8
        .value_kind:     by_value
      - .offset:         80
        .size:           8
        .value_kind:     by_value
      - .address_space:  global
        .offset:         88
        .size:           8
        .value_kind:     global_buffer
      - .offset:         96
        .size:           8
        .value_kind:     by_value
      - .offset:         104
        .size:           8
        .value_kind:     by_value
      - .offset:         112
        .size:           4
        .value_kind:     by_value
    .group_segment_fixed_size: 8192
    .kernarg_segment_align: 8
    .kernarg_segment_size: 116
    .language:       OpenCL C
    .language_version:
      - 2
      - 0
    .max_flat_workgroup_size: 256
    .name:           _ZL23rocblas_trmm_lNx_kernelILi16E19rocblas_complex_numIdES1_KS1_S1_Ev13rocblas_fill_17rocblas_diagonal_iiT1_lPT2_llS7_llPT3_lli
    .private_segment_fixed_size: 0
    .sgpr_count:     38
    .sgpr_spill_count: 0
    .symbol:         _ZL23rocblas_trmm_lNx_kernelILi16E19rocblas_complex_numIdES1_KS1_S1_Ev13rocblas_fill_17rocblas_diagonal_iiT1_lPT2_llS7_llPT3_lli.kd
    .uniform_work_group_size: 1
    .uses_dynamic_stack: false
    .vgpr_count:     76
    .vgpr_spill_count: 0
    .wavefront_size: 64
  - .agpr_count:     0
    .args:
      - .offset:         0
        .size:           4
        .value_kind:     by_value
      - .offset:         4
        .size:           4
        .value_kind:     by_value
      - .offset:         8
        .size:           4
        .value_kind:     by_value
      - .offset:         12
        .size:           4
        .value_kind:     by_value
      - .address_space:  global
        .offset:         16
        .size:           8
        .value_kind:     global_buffer
      - .offset:         24
        .size:           8
        .value_kind:     by_value
      - .address_space:  global
        .offset:         32
        .size:           8
        .value_kind:     global_buffer
      - .offset:         40
        .size:           8
        .value_kind:     by_value
      - .offset:         48
        .size:           8
        .value_kind:     by_value
      - .address_space:  global
        .offset:         56
        .size:           8
        .value_kind:     global_buffer
      - .offset:         64
        .size:           8
        .value_kind:     by_value
      - .offset:         72
        .size:           8
        .value_kind:     by_value
      - .address_space:  global
        .offset:         80
        .size:           8
        .value_kind:     global_buffer
      - .offset:         88
        .size:           8
        .value_kind:     by_value
      - .offset:         96
        .size:           8
        .value_kind:     by_value
      - .offset:         104
        .size:           4
        .value_kind:     by_value
    .group_segment_fixed_size: 8192
    .kernarg_segment_align: 8
    .kernarg_segment_size: 108
    .language:       OpenCL C
    .language_version:
      - 2
      - 0
    .max_flat_workgroup_size: 256
    .name:           _ZL23rocblas_trmm_lTx_kernelILi16ELb0E19rocblas_complex_numIdEPKS1_S2_S1_Ev13rocblas_fill_17rocblas_diagonal_iiT2_lPT3_llS8_llPT4_lli
    .private_segment_fixed_size: 0
    .sgpr_count:     34
    .sgpr_spill_count: 0
    .symbol:         _ZL23rocblas_trmm_lTx_kernelILi16ELb0E19rocblas_complex_numIdEPKS1_S2_S1_Ev13rocblas_fill_17rocblas_diagonal_iiT2_lPT3_llS8_llPT4_lli.kd
    .uniform_work_group_size: 1
    .uses_dynamic_stack: false
    .vgpr_count:     76
    .vgpr_spill_count: 0
    .wavefront_size: 64
  - .agpr_count:     0
    .args:
      - .offset:         0
        .size:           4
        .value_kind:     by_value
      - .offset:         4
        .size:           4
        .value_kind:     by_value
      - .offset:         8
        .size:           4
        .value_kind:     by_value
      - .offset:         12
        .size:           4
        .value_kind:     by_value
      - .offset:         16
        .size:           16
        .value_kind:     by_value
      - .offset:         32
        .size:           8
        .value_kind:     by_value
      - .address_space:  global
        .offset:         40
        .size:           8
        .value_kind:     global_buffer
      - .offset:         48
        .size:           8
        .value_kind:     by_value
      - .offset:         56
        .size:           8
        .value_kind:     by_value
      - .address_space:  global
        .offset:         64
        .size:           8
        .value_kind:     global_buffer
      - .offset:         72
        .size:           8
        .value_kind:     by_value
      - .offset:         80
        .size:           8
        .value_kind:     by_value
      - .address_space:  global
        .offset:         88
        .size:           8
        .value_kind:     global_buffer
      - .offset:         96
        .size:           8
        .value_kind:     by_value
      - .offset:         104
        .size:           8
        .value_kind:     by_value
      - .offset:         112
        .size:           4
        .value_kind:     by_value
    .group_segment_fixed_size: 8192
    .kernarg_segment_align: 8
    .kernarg_segment_size: 116
    .language:       OpenCL C
    .language_version:
      - 2
      - 0
    .max_flat_workgroup_size: 256
    .name:           _ZL23rocblas_trmm_lTx_kernelILi16ELb0E19rocblas_complex_numIdES1_KS1_S1_Ev13rocblas_fill_17rocblas_diagonal_iiT2_lPT3_llS7_llPT4_lli
    .private_segment_fixed_size: 0
    .sgpr_count:     38
    .sgpr_spill_count: 0
    .symbol:         _ZL23rocblas_trmm_lTx_kernelILi16ELb0E19rocblas_complex_numIdES1_KS1_S1_Ev13rocblas_fill_17rocblas_diagonal_iiT2_lPT3_llS7_llPT4_lli.kd
    .uniform_work_group_size: 1
    .uses_dynamic_stack: false
    .vgpr_count:     76
    .vgpr_spill_count: 0
    .wavefront_size: 64
  - .agpr_count:     0
    .args:
      - .offset:         0
        .size:           4
        .value_kind:     by_value
      - .offset:         4
        .size:           4
        .value_kind:     by_value
      - .offset:         8
        .size:           4
        .value_kind:     by_value
      - .offset:         12
        .size:           4
        .value_kind:     by_value
      - .address_space:  global
        .offset:         16
        .size:           8
        .value_kind:     global_buffer
      - .offset:         24
        .size:           8
        .value_kind:     by_value
      - .address_space:  global
        .offset:         32
        .size:           8
        .value_kind:     global_buffer
      - .offset:         40
        .size:           8
        .value_kind:     by_value
      - .offset:         48
        .size:           8
        .value_kind:     by_value
      - .address_space:  global
        .offset:         56
        .size:           8
        .value_kind:     global_buffer
      - .offset:         64
        .size:           8
        .value_kind:     by_value
      - .offset:         72
        .size:           8
        .value_kind:     by_value
      - .address_space:  global
        .offset:         80
        .size:           8
        .value_kind:     global_buffer
      - .offset:         88
        .size:           8
        .value_kind:     by_value
      - .offset:         96
        .size:           8
        .value_kind:     by_value
      - .offset:         104
        .size:           4
        .value_kind:     by_value
    .group_segment_fixed_size: 8192
    .kernarg_segment_align: 8
    .kernarg_segment_size: 108
    .language:       OpenCL C
    .language_version:
      - 2
      - 0
    .max_flat_workgroup_size: 256
    .name:           _ZL23rocblas_trmm_lTx_kernelILi16ELb1E19rocblas_complex_numIdEPKS1_S2_S1_Ev13rocblas_fill_17rocblas_diagonal_iiT2_lPT3_llS8_llPT4_lli
    .private_segment_fixed_size: 0
    .sgpr_count:     34
    .sgpr_spill_count: 0
    .symbol:         _ZL23rocblas_trmm_lTx_kernelILi16ELb1E19rocblas_complex_numIdEPKS1_S2_S1_Ev13rocblas_fill_17rocblas_diagonal_iiT2_lPT3_llS8_llPT4_lli.kd
    .uniform_work_group_size: 1
    .uses_dynamic_stack: false
    .vgpr_count:     76
    .vgpr_spill_count: 0
    .wavefront_size: 64
  - .agpr_count:     0
    .args:
      - .offset:         0
        .size:           4
        .value_kind:     by_value
      - .offset:         4
        .size:           4
        .value_kind:     by_value
      - .offset:         8
        .size:           4
        .value_kind:     by_value
      - .offset:         12
        .size:           4
        .value_kind:     by_value
      - .offset:         16
        .size:           16
        .value_kind:     by_value
      - .offset:         32
        .size:           8
        .value_kind:     by_value
      - .address_space:  global
        .offset:         40
        .size:           8
        .value_kind:     global_buffer
      - .offset:         48
        .size:           8
        .value_kind:     by_value
      - .offset:         56
        .size:           8
        .value_kind:     by_value
      - .address_space:  global
        .offset:         64
        .size:           8
        .value_kind:     global_buffer
      - .offset:         72
        .size:           8
        .value_kind:     by_value
      - .offset:         80
        .size:           8
        .value_kind:     by_value
      - .address_space:  global
        .offset:         88
        .size:           8
        .value_kind:     global_buffer
      - .offset:         96
        .size:           8
        .value_kind:     by_value
      - .offset:         104
        .size:           8
        .value_kind:     by_value
      - .offset:         112
        .size:           4
        .value_kind:     by_value
    .group_segment_fixed_size: 8192
    .kernarg_segment_align: 8
    .kernarg_segment_size: 116
    .language:       OpenCL C
    .language_version:
      - 2
      - 0
    .max_flat_workgroup_size: 256
    .name:           _ZL23rocblas_trmm_lTx_kernelILi16ELb1E19rocblas_complex_numIdES1_KS1_S1_Ev13rocblas_fill_17rocblas_diagonal_iiT2_lPT3_llS7_llPT4_lli
    .private_segment_fixed_size: 0
    .sgpr_count:     38
    .sgpr_spill_count: 0
    .symbol:         _ZL23rocblas_trmm_lTx_kernelILi16ELb1E19rocblas_complex_numIdES1_KS1_S1_Ev13rocblas_fill_17rocblas_diagonal_iiT2_lPT3_llS7_llPT4_lli.kd
    .uniform_work_group_size: 1
    .uses_dynamic_stack: false
    .vgpr_count:     76
    .vgpr_spill_count: 0
    .wavefront_size: 64
  - .agpr_count:     0
    .args:
      - .offset:         0
        .size:           4
        .value_kind:     by_value
      - .offset:         4
        .size:           4
        .value_kind:     by_value
      - .offset:         8
        .size:           4
        .value_kind:     by_value
      - .offset:         12
        .size:           4
        .value_kind:     by_value
      - .address_space:  global
        .offset:         16
        .size:           8
        .value_kind:     global_buffer
      - .offset:         24
        .size:           8
        .value_kind:     by_value
      - .address_space:  global
        .offset:         32
        .size:           8
        .value_kind:     global_buffer
      - .offset:         40
        .size:           8
        .value_kind:     by_value
      - .offset:         48
        .size:           8
        .value_kind:     by_value
      - .address_space:  global
        .offset:         56
        .size:           8
        .value_kind:     global_buffer
      - .offset:         64
        .size:           8
        .value_kind:     by_value
      - .offset:         72
        .size:           8
        .value_kind:     by_value
      - .address_space:  global
        .offset:         80
        .size:           8
        .value_kind:     global_buffer
      - .offset:         88
        .size:           8
        .value_kind:     by_value
      - .offset:         96
        .size:           8
        .value_kind:     by_value
      - .offset:         104
        .size:           4
        .value_kind:     by_value
    .group_segment_fixed_size: 8192
    .kernarg_segment_align: 8
    .kernarg_segment_size: 108
    .language:       OpenCL C
    .language_version:
      - 2
      - 0
    .max_flat_workgroup_size: 256
    .name:           _ZL23rocblas_trmm_rNx_kernelILi16E19rocblas_complex_numIdEPKS1_S2_S1_Ev13rocblas_fill_17rocblas_diagonal_iiT1_lPT2_llS8_llPT3_lli
    .private_segment_fixed_size: 0
    .sgpr_count:     34
    .sgpr_spill_count: 0
    .symbol:         _ZL23rocblas_trmm_rNx_kernelILi16E19rocblas_complex_numIdEPKS1_S2_S1_Ev13rocblas_fill_17rocblas_diagonal_iiT1_lPT2_llS8_llPT3_lli.kd
    .uniform_work_group_size: 1
    .uses_dynamic_stack: false
    .vgpr_count:     76
    .vgpr_spill_count: 0
    .wavefront_size: 64
  - .agpr_count:     0
    .args:
      - .offset:         0
        .size:           4
        .value_kind:     by_value
      - .offset:         4
        .size:           4
        .value_kind:     by_value
      - .offset:         8
        .size:           4
        .value_kind:     by_value
      - .offset:         12
        .size:           4
        .value_kind:     by_value
      - .offset:         16
        .size:           16
        .value_kind:     by_value
      - .offset:         32
        .size:           8
        .value_kind:     by_value
      - .address_space:  global
        .offset:         40
        .size:           8
        .value_kind:     global_buffer
      - .offset:         48
        .size:           8
        .value_kind:     by_value
      - .offset:         56
        .size:           8
        .value_kind:     by_value
      - .address_space:  global
        .offset:         64
        .size:           8
        .value_kind:     global_buffer
      - .offset:         72
        .size:           8
        .value_kind:     by_value
      - .offset:         80
        .size:           8
        .value_kind:     by_value
      - .address_space:  global
        .offset:         88
        .size:           8
        .value_kind:     global_buffer
      - .offset:         96
        .size:           8
        .value_kind:     by_value
      - .offset:         104
        .size:           8
        .value_kind:     by_value
      - .offset:         112
        .size:           4
        .value_kind:     by_value
    .group_segment_fixed_size: 8192
    .kernarg_segment_align: 8
    .kernarg_segment_size: 116
    .language:       OpenCL C
    .language_version:
      - 2
      - 0
    .max_flat_workgroup_size: 256
    .name:           _ZL23rocblas_trmm_rNx_kernelILi16E19rocblas_complex_numIdES1_KS1_S1_Ev13rocblas_fill_17rocblas_diagonal_iiT1_lPT2_llS7_llPT3_lli
    .private_segment_fixed_size: 0
    .sgpr_count:     38
    .sgpr_spill_count: 0
    .symbol:         _ZL23rocblas_trmm_rNx_kernelILi16E19rocblas_complex_numIdES1_KS1_S1_Ev13rocblas_fill_17rocblas_diagonal_iiT1_lPT2_llS7_llPT3_lli.kd
    .uniform_work_group_size: 1
    .uses_dynamic_stack: false
    .vgpr_count:     76
    .vgpr_spill_count: 0
    .wavefront_size: 64
  - .agpr_count:     0
    .args:
      - .offset:         0
        .size:           4
        .value_kind:     by_value
      - .offset:         4
        .size:           4
        .value_kind:     by_value
      - .offset:         8
        .size:           4
        .value_kind:     by_value
      - .offset:         12
        .size:           4
        .value_kind:     by_value
      - .address_space:  global
        .offset:         16
        .size:           8
        .value_kind:     global_buffer
      - .offset:         24
        .size:           8
        .value_kind:     by_value
      - .address_space:  global
        .offset:         32
        .size:           8
        .value_kind:     global_buffer
      - .offset:         40
        .size:           8
        .value_kind:     by_value
      - .offset:         48
        .size:           8
        .value_kind:     by_value
      - .address_space:  global
        .offset:         56
        .size:           8
        .value_kind:     global_buffer
      - .offset:         64
        .size:           8
        .value_kind:     by_value
      - .offset:         72
        .size:           8
        .value_kind:     by_value
      - .address_space:  global
        .offset:         80
        .size:           8
        .value_kind:     global_buffer
      - .offset:         88
        .size:           8
        .value_kind:     by_value
      - .offset:         96
        .size:           8
        .value_kind:     by_value
      - .offset:         104
        .size:           4
        .value_kind:     by_value
    .group_segment_fixed_size: 8192
    .kernarg_segment_align: 8
    .kernarg_segment_size: 108
    .language:       OpenCL C
    .language_version:
      - 2
      - 0
    .max_flat_workgroup_size: 256
    .name:           _ZL23rocblas_trmm_rTx_kernelILi16ELb0E19rocblas_complex_numIdEPKS1_S2_S1_Ev13rocblas_fill_17rocblas_diagonal_iiT2_lPT3_llS8_llPT4_lli
    .private_segment_fixed_size: 0
    .sgpr_count:     34
    .sgpr_spill_count: 0
    .symbol:         _ZL23rocblas_trmm_rTx_kernelILi16ELb0E19rocblas_complex_numIdEPKS1_S2_S1_Ev13rocblas_fill_17rocblas_diagonal_iiT2_lPT3_llS8_llPT4_lli.kd
    .uniform_work_group_size: 1
    .uses_dynamic_stack: false
    .vgpr_count:     76
    .vgpr_spill_count: 0
    .wavefront_size: 64
  - .agpr_count:     0
    .args:
      - .offset:         0
        .size:           4
        .value_kind:     by_value
      - .offset:         4
        .size:           4
        .value_kind:     by_value
      - .offset:         8
        .size:           4
        .value_kind:     by_value
      - .offset:         12
        .size:           4
        .value_kind:     by_value
      - .offset:         16
        .size:           16
        .value_kind:     by_value
      - .offset:         32
        .size:           8
        .value_kind:     by_value
      - .address_space:  global
        .offset:         40
        .size:           8
        .value_kind:     global_buffer
      - .offset:         48
        .size:           8
        .value_kind:     by_value
      - .offset:         56
        .size:           8
        .value_kind:     by_value
      - .address_space:  global
        .offset:         64
        .size:           8
        .value_kind:     global_buffer
      - .offset:         72
        .size:           8
        .value_kind:     by_value
      - .offset:         80
        .size:           8
        .value_kind:     by_value
      - .address_space:  global
        .offset:         88
        .size:           8
        .value_kind:     global_buffer
      - .offset:         96
        .size:           8
        .value_kind:     by_value
      - .offset:         104
        .size:           8
        .value_kind:     by_value
      - .offset:         112
        .size:           4
        .value_kind:     by_value
    .group_segment_fixed_size: 8192
    .kernarg_segment_align: 8
    .kernarg_segment_size: 116
    .language:       OpenCL C
    .language_version:
      - 2
      - 0
    .max_flat_workgroup_size: 256
    .name:           _ZL23rocblas_trmm_rTx_kernelILi16ELb0E19rocblas_complex_numIdES1_KS1_S1_Ev13rocblas_fill_17rocblas_diagonal_iiT2_lPT3_llS7_llPT4_lli
    .private_segment_fixed_size: 0
    .sgpr_count:     38
    .sgpr_spill_count: 0
    .symbol:         _ZL23rocblas_trmm_rTx_kernelILi16ELb0E19rocblas_complex_numIdES1_KS1_S1_Ev13rocblas_fill_17rocblas_diagonal_iiT2_lPT3_llS7_llPT4_lli.kd
    .uniform_work_group_size: 1
    .uses_dynamic_stack: false
    .vgpr_count:     76
    .vgpr_spill_count: 0
    .wavefront_size: 64
  - .agpr_count:     0
    .args:
      - .offset:         0
        .size:           4
        .value_kind:     by_value
      - .offset:         4
        .size:           4
        .value_kind:     by_value
      - .offset:         8
        .size:           4
        .value_kind:     by_value
      - .offset:         12
        .size:           4
        .value_kind:     by_value
      - .address_space:  global
        .offset:         16
        .size:           8
        .value_kind:     global_buffer
      - .offset:         24
        .size:           8
        .value_kind:     by_value
      - .address_space:  global
        .offset:         32
        .size:           8
        .value_kind:     global_buffer
      - .offset:         40
        .size:           8
        .value_kind:     by_value
      - .offset:         48
        .size:           8
        .value_kind:     by_value
      - .address_space:  global
        .offset:         56
        .size:           8
        .value_kind:     global_buffer
      - .offset:         64
        .size:           8
        .value_kind:     by_value
      - .offset:         72
        .size:           8
        .value_kind:     by_value
      - .address_space:  global
        .offset:         80
        .size:           8
        .value_kind:     global_buffer
      - .offset:         88
        .size:           8
        .value_kind:     by_value
      - .offset:         96
        .size:           8
        .value_kind:     by_value
      - .offset:         104
        .size:           4
        .value_kind:     by_value
    .group_segment_fixed_size: 8192
    .kernarg_segment_align: 8
    .kernarg_segment_size: 108
    .language:       OpenCL C
    .language_version:
      - 2
      - 0
    .max_flat_workgroup_size: 256
    .name:           _ZL23rocblas_trmm_rTx_kernelILi16ELb1E19rocblas_complex_numIdEPKS1_S2_S1_Ev13rocblas_fill_17rocblas_diagonal_iiT2_lPT3_llS8_llPT4_lli
    .private_segment_fixed_size: 0
    .sgpr_count:     34
    .sgpr_spill_count: 0
    .symbol:         _ZL23rocblas_trmm_rTx_kernelILi16ELb1E19rocblas_complex_numIdEPKS1_S2_S1_Ev13rocblas_fill_17rocblas_diagonal_iiT2_lPT3_llS8_llPT4_lli.kd
    .uniform_work_group_size: 1
    .uses_dynamic_stack: false
    .vgpr_count:     76
    .vgpr_spill_count: 0
    .wavefront_size: 64
  - .agpr_count:     0
    .args:
      - .offset:         0
        .size:           4
        .value_kind:     by_value
      - .offset:         4
        .size:           4
        .value_kind:     by_value
      - .offset:         8
        .size:           4
        .value_kind:     by_value
      - .offset:         12
        .size:           4
        .value_kind:     by_value
      - .offset:         16
        .size:           16
        .value_kind:     by_value
      - .offset:         32
        .size:           8
        .value_kind:     by_value
      - .address_space:  global
        .offset:         40
        .size:           8
        .value_kind:     global_buffer
      - .offset:         48
        .size:           8
        .value_kind:     by_value
      - .offset:         56
        .size:           8
        .value_kind:     by_value
      - .address_space:  global
        .offset:         64
        .size:           8
        .value_kind:     global_buffer
      - .offset:         72
        .size:           8
        .value_kind:     by_value
      - .offset:         80
        .size:           8
        .value_kind:     by_value
      - .address_space:  global
        .offset:         88
        .size:           8
        .value_kind:     global_buffer
      - .offset:         96
        .size:           8
        .value_kind:     by_value
      - .offset:         104
        .size:           8
        .value_kind:     by_value
      - .offset:         112
        .size:           4
        .value_kind:     by_value
    .group_segment_fixed_size: 8192
    .kernarg_segment_align: 8
    .kernarg_segment_size: 116
    .language:       OpenCL C
    .language_version:
      - 2
      - 0
    .max_flat_workgroup_size: 256
    .name:           _ZL23rocblas_trmm_rTx_kernelILi16ELb1E19rocblas_complex_numIdES1_KS1_S1_Ev13rocblas_fill_17rocblas_diagonal_iiT2_lPT3_llS7_llPT4_lli
    .private_segment_fixed_size: 0
    .sgpr_count:     38
    .sgpr_spill_count: 0
    .symbol:         _ZL23rocblas_trmm_rTx_kernelILi16ELb1E19rocblas_complex_numIdES1_KS1_S1_Ev13rocblas_fill_17rocblas_diagonal_iiT2_lPT3_llS7_llPT4_lli.kd
    .uniform_work_group_size: 1
    .uses_dynamic_stack: false
    .vgpr_count:     76
    .vgpr_spill_count: 0
    .wavefront_size: 64
  - .agpr_count:     0
    .args:
      - .offset:         0
        .size:           4
        .value_kind:     by_value
      - .offset:         4
        .size:           4
        .value_kind:     by_value
      - .offset:         8
        .size:           4
        .value_kind:     by_value
      - .offset:         12
        .size:           4
        .value_kind:     by_value
      - .address_space:  global
        .offset:         16
        .size:           8
        .value_kind:     global_buffer
      - .offset:         24
        .size:           8
        .value_kind:     by_value
      - .address_space:  global
        .offset:         32
        .size:           8
        .value_kind:     global_buffer
      - .offset:         40
        .size:           8
        .value_kind:     by_value
      - .offset:         48
        .size:           8
        .value_kind:     by_value
      - .address_space:  global
        .offset:         56
        .size:           8
        .value_kind:     global_buffer
      - .offset:         64
        .size:           8
        .value_kind:     by_value
      - .offset:         72
        .size:           8
        .value_kind:     by_value
      - .address_space:  global
        .offset:         80
        .size:           8
        .value_kind:     global_buffer
      - .offset:         88
        .size:           8
        .value_kind:     by_value
      - .offset:         96
        .size:           8
        .value_kind:     by_value
      - .offset:         104
        .size:           4
        .value_kind:     by_value
    .group_segment_fixed_size: 8192
    .kernarg_segment_align: 8
    .kernarg_segment_size: 108
    .language:       OpenCL C
    .language_version:
      - 2
      - 0
    .max_flat_workgroup_size: 1024
    .name:           _ZL23rocblas_trmm_lNx_kernelILi32EfPKfKS1_KPfEv13rocblas_fill_17rocblas_diagonal_iiT1_lPT2_llS9_llPT3_lli
    .private_segment_fixed_size: 0
    .sgpr_count:     38
    .sgpr_spill_count: 0
    .symbol:         _ZL23rocblas_trmm_lNx_kernelILi32EfPKfKS1_KPfEv13rocblas_fill_17rocblas_diagonal_iiT1_lPT2_llS9_llPT3_lli.kd
    .uniform_work_group_size: 1
    .uses_dynamic_stack: false
    .vgpr_count:     26
    .vgpr_spill_count: 0
    .wavefront_size: 64
  - .agpr_count:     0
    .args:
      - .offset:         0
        .size:           4
        .value_kind:     by_value
      - .offset:         4
        .size:           4
        .value_kind:     by_value
      - .offset:         8
        .size:           4
        .value_kind:     by_value
      - .offset:         12
        .size:           4
        .value_kind:     by_value
      - .offset:         16
        .size:           4
        .value_kind:     by_value
      - .offset:         24
        .size:           8
        .value_kind:     by_value
      - .address_space:  global
        .offset:         32
        .size:           8
        .value_kind:     global_buffer
      - .offset:         40
        .size:           8
        .value_kind:     by_value
      - .offset:         48
        .size:           8
        .value_kind:     by_value
      - .address_space:  global
        .offset:         56
        .size:           8
        .value_kind:     global_buffer
      - .offset:         64
        .size:           8
        .value_kind:     by_value
      - .offset:         72
        .size:           8
        .value_kind:     by_value
      - .address_space:  global
        .offset:         80
        .size:           8
        .value_kind:     global_buffer
      - .offset:         88
        .size:           8
        .value_kind:     by_value
      - .offset:         96
        .size:           8
        .value_kind:     by_value
      - .offset:         104
        .size:           4
        .value_kind:     by_value
    .group_segment_fixed_size: 8192
    .kernarg_segment_align: 8
    .kernarg_segment_size: 108
    .language:       OpenCL C
    .language_version:
      - 2
      - 0
    .max_flat_workgroup_size: 1024
    .name:           _ZL23rocblas_trmm_lNx_kernelILi32EffKPKfKPfEv13rocblas_fill_17rocblas_diagonal_iiT1_lPT2_llS9_llPT3_lli
    .private_segment_fixed_size: 0
    .sgpr_count:     37
    .sgpr_spill_count: 0
    .symbol:         _ZL23rocblas_trmm_lNx_kernelILi32EffKPKfKPfEv13rocblas_fill_17rocblas_diagonal_iiT1_lPT2_llS9_llPT3_lli.kd
    .uniform_work_group_size: 1
    .uses_dynamic_stack: false
    .vgpr_count:     26
    .vgpr_spill_count: 0
    .wavefront_size: 64
  - .agpr_count:     0
    .args:
      - .offset:         0
        .size:           4
        .value_kind:     by_value
      - .offset:         4
        .size:           4
        .value_kind:     by_value
      - .offset:         8
        .size:           4
        .value_kind:     by_value
      - .offset:         12
        .size:           4
        .value_kind:     by_value
      - .address_space:  global
        .offset:         16
        .size:           8
        .value_kind:     global_buffer
      - .offset:         24
        .size:           8
        .value_kind:     by_value
      - .address_space:  global
        .offset:         32
        .size:           8
        .value_kind:     global_buffer
      - .offset:         40
        .size:           8
        .value_kind:     by_value
      - .offset:         48
        .size:           8
        .value_kind:     by_value
      - .address_space:  global
        .offset:         56
        .size:           8
        .value_kind:     global_buffer
      - .offset:         64
        .size:           8
        .value_kind:     by_value
      - .offset:         72
        .size:           8
        .value_kind:     by_value
      - .address_space:  global
        .offset:         80
        .size:           8
        .value_kind:     global_buffer
      - .offset:         88
        .size:           8
        .value_kind:     by_value
      - .offset:         96
        .size:           8
        .value_kind:     by_value
      - .offset:         104
        .size:           4
        .value_kind:     by_value
    .group_segment_fixed_size: 8192
    .kernarg_segment_align: 8
    .kernarg_segment_size: 108
    .language:       OpenCL C
    .language_version:
      - 2
      - 0
    .max_flat_workgroup_size: 1024
    .name:           _ZL23rocblas_trmm_lTx_kernelILi32ELb0EfPKfKS1_KPfEv13rocblas_fill_17rocblas_diagonal_iiT2_lPT3_llS9_llPT4_lli
    .private_segment_fixed_size: 0
    .sgpr_count:     36
    .sgpr_spill_count: 0
    .symbol:         _ZL23rocblas_trmm_lTx_kernelILi32ELb0EfPKfKS1_KPfEv13rocblas_fill_17rocblas_diagonal_iiT2_lPT3_llS9_llPT4_lli.kd
    .uniform_work_group_size: 1
    .uses_dynamic_stack: false
    .vgpr_count:     26
    .vgpr_spill_count: 0
    .wavefront_size: 64
  - .agpr_count:     0
    .args:
      - .offset:         0
        .size:           4
        .value_kind:     by_value
      - .offset:         4
        .size:           4
        .value_kind:     by_value
      - .offset:         8
        .size:           4
        .value_kind:     by_value
      - .offset:         12
        .size:           4
        .value_kind:     by_value
      - .offset:         16
        .size:           4
        .value_kind:     by_value
      - .offset:         24
        .size:           8
        .value_kind:     by_value
      - .address_space:  global
        .offset:         32
        .size:           8
        .value_kind:     global_buffer
      - .offset:         40
        .size:           8
        .value_kind:     by_value
      - .offset:         48
        .size:           8
        .value_kind:     by_value
      - .address_space:  global
        .offset:         56
        .size:           8
        .value_kind:     global_buffer
      - .offset:         64
        .size:           8
        .value_kind:     by_value
      - .offset:         72
        .size:           8
        .value_kind:     by_value
      - .address_space:  global
        .offset:         80
        .size:           8
        .value_kind:     global_buffer
      - .offset:         88
        .size:           8
        .value_kind:     by_value
      - .offset:         96
        .size:           8
        .value_kind:     by_value
      - .offset:         104
        .size:           4
        .value_kind:     by_value
    .group_segment_fixed_size: 8192
    .kernarg_segment_align: 8
    .kernarg_segment_size: 108
    .language:       OpenCL C
    .language_version:
      - 2
      - 0
    .max_flat_workgroup_size: 1024
    .name:           _ZL23rocblas_trmm_lTx_kernelILi32ELb0EffKPKfKPfEv13rocblas_fill_17rocblas_diagonal_iiT2_lPT3_llS9_llPT4_lli
    .private_segment_fixed_size: 0
    .sgpr_count:     38
    .sgpr_spill_count: 0
    .symbol:         _ZL23rocblas_trmm_lTx_kernelILi32ELb0EffKPKfKPfEv13rocblas_fill_17rocblas_diagonal_iiT2_lPT3_llS9_llPT4_lli.kd
    .uniform_work_group_size: 1
    .uses_dynamic_stack: false
    .vgpr_count:     26
    .vgpr_spill_count: 0
    .wavefront_size: 64
  - .agpr_count:     0
    .args:
      - .offset:         0
        .size:           4
        .value_kind:     by_value
      - .offset:         4
        .size:           4
        .value_kind:     by_value
      - .offset:         8
        .size:           4
        .value_kind:     by_value
      - .offset:         12
        .size:           4
        .value_kind:     by_value
      - .address_space:  global
        .offset:         16
        .size:           8
        .value_kind:     global_buffer
      - .offset:         24
        .size:           8
        .value_kind:     by_value
      - .address_space:  global
        .offset:         32
        .size:           8
        .value_kind:     global_buffer
      - .offset:         40
        .size:           8
        .value_kind:     by_value
      - .offset:         48
        .size:           8
        .value_kind:     by_value
      - .address_space:  global
        .offset:         56
        .size:           8
        .value_kind:     global_buffer
      - .offset:         64
        .size:           8
        .value_kind:     by_value
      - .offset:         72
        .size:           8
        .value_kind:     by_value
      - .address_space:  global
        .offset:         80
        .size:           8
        .value_kind:     global_buffer
      - .offset:         88
        .size:           8
        .value_kind:     by_value
      - .offset:         96
        .size:           8
        .value_kind:     by_value
      - .offset:         104
        .size:           4
        .value_kind:     by_value
    .group_segment_fixed_size: 8192
    .kernarg_segment_align: 8
    .kernarg_segment_size: 108
    .language:       OpenCL C
    .language_version:
      - 2
      - 0
    .max_flat_workgroup_size: 1024
    .name:           _ZL23rocblas_trmm_lTx_kernelILi32ELb1EfPKfKS1_KPfEv13rocblas_fill_17rocblas_diagonal_iiT2_lPT3_llS9_llPT4_lli
    .private_segment_fixed_size: 0
    .sgpr_count:     36
    .sgpr_spill_count: 0
    .symbol:         _ZL23rocblas_trmm_lTx_kernelILi32ELb1EfPKfKS1_KPfEv13rocblas_fill_17rocblas_diagonal_iiT2_lPT3_llS9_llPT4_lli.kd
    .uniform_work_group_size: 1
    .uses_dynamic_stack: false
    .vgpr_count:     26
    .vgpr_spill_count: 0
    .wavefront_size: 64
  - .agpr_count:     0
    .args:
      - .offset:         0
        .size:           4
        .value_kind:     by_value
      - .offset:         4
        .size:           4
        .value_kind:     by_value
      - .offset:         8
        .size:           4
        .value_kind:     by_value
      - .offset:         12
        .size:           4
        .value_kind:     by_value
      - .offset:         16
        .size:           4
        .value_kind:     by_value
      - .offset:         24
        .size:           8
        .value_kind:     by_value
      - .address_space:  global
        .offset:         32
        .size:           8
        .value_kind:     global_buffer
      - .offset:         40
        .size:           8
        .value_kind:     by_value
      - .offset:         48
        .size:           8
        .value_kind:     by_value
      - .address_space:  global
        .offset:         56
        .size:           8
        .value_kind:     global_buffer
      - .offset:         64
        .size:           8
        .value_kind:     by_value
      - .offset:         72
        .size:           8
        .value_kind:     by_value
      - .address_space:  global
        .offset:         80
        .size:           8
        .value_kind:     global_buffer
      - .offset:         88
        .size:           8
        .value_kind:     by_value
      - .offset:         96
        .size:           8
        .value_kind:     by_value
      - .offset:         104
        .size:           4
        .value_kind:     by_value
    .group_segment_fixed_size: 8192
    .kernarg_segment_align: 8
    .kernarg_segment_size: 108
    .language:       OpenCL C
    .language_version:
      - 2
      - 0
    .max_flat_workgroup_size: 1024
    .name:           _ZL23rocblas_trmm_lTx_kernelILi32ELb1EffKPKfKPfEv13rocblas_fill_17rocblas_diagonal_iiT2_lPT3_llS9_llPT4_lli
    .private_segment_fixed_size: 0
    .sgpr_count:     38
    .sgpr_spill_count: 0
    .symbol:         _ZL23rocblas_trmm_lTx_kernelILi32ELb1EffKPKfKPfEv13rocblas_fill_17rocblas_diagonal_iiT2_lPT3_llS9_llPT4_lli.kd
    .uniform_work_group_size: 1
    .uses_dynamic_stack: false
    .vgpr_count:     26
    .vgpr_spill_count: 0
    .wavefront_size: 64
  - .agpr_count:     0
    .args:
      - .offset:         0
        .size:           4
        .value_kind:     by_value
      - .offset:         4
        .size:           4
        .value_kind:     by_value
      - .offset:         8
        .size:           4
        .value_kind:     by_value
      - .offset:         12
        .size:           4
        .value_kind:     by_value
      - .address_space:  global
        .offset:         16
        .size:           8
        .value_kind:     global_buffer
      - .offset:         24
        .size:           8
        .value_kind:     by_value
      - .address_space:  global
        .offset:         32
        .size:           8
        .value_kind:     global_buffer
      - .offset:         40
        .size:           8
        .value_kind:     by_value
      - .offset:         48
        .size:           8
        .value_kind:     by_value
      - .address_space:  global
        .offset:         56
        .size:           8
        .value_kind:     global_buffer
      - .offset:         64
        .size:           8
        .value_kind:     by_value
      - .offset:         72
        .size:           8
        .value_kind:     by_value
      - .address_space:  global
        .offset:         80
        .size:           8
        .value_kind:     global_buffer
      - .offset:         88
        .size:           8
        .value_kind:     by_value
      - .offset:         96
        .size:           8
        .value_kind:     by_value
      - .offset:         104
        .size:           4
        .value_kind:     by_value
    .group_segment_fixed_size: 8192
    .kernarg_segment_align: 8
    .kernarg_segment_size: 108
    .language:       OpenCL C
    .language_version:
      - 2
      - 0
    .max_flat_workgroup_size: 1024
    .name:           _ZL23rocblas_trmm_rNx_kernelILi32EfPKfKS1_KPfEv13rocblas_fill_17rocblas_diagonal_iiT1_lPT2_llS9_llPT3_lli
    .private_segment_fixed_size: 0
    .sgpr_count:     38
    .sgpr_spill_count: 0
    .symbol:         _ZL23rocblas_trmm_rNx_kernelILi32EfPKfKS1_KPfEv13rocblas_fill_17rocblas_diagonal_iiT1_lPT2_llS9_llPT3_lli.kd
    .uniform_work_group_size: 1
    .uses_dynamic_stack: false
    .vgpr_count:     27
    .vgpr_spill_count: 0
    .wavefront_size: 64
  - .agpr_count:     0
    .args:
      - .offset:         0
        .size:           4
        .value_kind:     by_value
      - .offset:         4
        .size:           4
        .value_kind:     by_value
      - .offset:         8
        .size:           4
        .value_kind:     by_value
      - .offset:         12
        .size:           4
        .value_kind:     by_value
      - .offset:         16
        .size:           4
        .value_kind:     by_value
      - .offset:         24
        .size:           8
        .value_kind:     by_value
      - .address_space:  global
        .offset:         32
        .size:           8
        .value_kind:     global_buffer
      - .offset:         40
        .size:           8
        .value_kind:     by_value
      - .offset:         48
        .size:           8
        .value_kind:     by_value
      - .address_space:  global
        .offset:         56
        .size:           8
        .value_kind:     global_buffer
      - .offset:         64
        .size:           8
        .value_kind:     by_value
      - .offset:         72
        .size:           8
        .value_kind:     by_value
      - .address_space:  global
        .offset:         80
        .size:           8
        .value_kind:     global_buffer
      - .offset:         88
        .size:           8
        .value_kind:     by_value
      - .offset:         96
        .size:           8
        .value_kind:     by_value
      - .offset:         104
        .size:           4
        .value_kind:     by_value
    .group_segment_fixed_size: 8192
    .kernarg_segment_align: 8
    .kernarg_segment_size: 108
    .language:       OpenCL C
    .language_version:
      - 2
      - 0
    .max_flat_workgroup_size: 1024
    .name:           _ZL23rocblas_trmm_rNx_kernelILi32EffKPKfKPfEv13rocblas_fill_17rocblas_diagonal_iiT1_lPT2_llS9_llPT3_lli
    .private_segment_fixed_size: 0
    .sgpr_count:     37
    .sgpr_spill_count: 0
    .symbol:         _ZL23rocblas_trmm_rNx_kernelILi32EffKPKfKPfEv13rocblas_fill_17rocblas_diagonal_iiT1_lPT2_llS9_llPT3_lli.kd
    .uniform_work_group_size: 1
    .uses_dynamic_stack: false
    .vgpr_count:     27
    .vgpr_spill_count: 0
    .wavefront_size: 64
  - .agpr_count:     0
    .args:
      - .offset:         0
        .size:           4
        .value_kind:     by_value
      - .offset:         4
        .size:           4
        .value_kind:     by_value
      - .offset:         8
        .size:           4
        .value_kind:     by_value
      - .offset:         12
        .size:           4
        .value_kind:     by_value
      - .address_space:  global
        .offset:         16
        .size:           8
        .value_kind:     global_buffer
      - .offset:         24
        .size:           8
        .value_kind:     by_value
      - .address_space:  global
        .offset:         32
        .size:           8
        .value_kind:     global_buffer
      - .offset:         40
        .size:           8
        .value_kind:     by_value
      - .offset:         48
        .size:           8
        .value_kind:     by_value
      - .address_space:  global
        .offset:         56
        .size:           8
        .value_kind:     global_buffer
      - .offset:         64
        .size:           8
        .value_kind:     by_value
      - .offset:         72
        .size:           8
        .value_kind:     by_value
      - .address_space:  global
        .offset:         80
        .size:           8
        .value_kind:     global_buffer
      - .offset:         88
        .size:           8
        .value_kind:     by_value
      - .offset:         96
        .size:           8
        .value_kind:     by_value
      - .offset:         104
        .size:           4
        .value_kind:     by_value
    .group_segment_fixed_size: 8192
    .kernarg_segment_align: 8
    .kernarg_segment_size: 108
    .language:       OpenCL C
    .language_version:
      - 2
      - 0
    .max_flat_workgroup_size: 1024
    .name:           _ZL23rocblas_trmm_rTx_kernelILi32ELb0EfPKfKS1_KPfEv13rocblas_fill_17rocblas_diagonal_iiT2_lPT3_llS9_llPT4_lli
    .private_segment_fixed_size: 0
    .sgpr_count:     38
    .sgpr_spill_count: 0
    .symbol:         _ZL23rocblas_trmm_rTx_kernelILi32ELb0EfPKfKS1_KPfEv13rocblas_fill_17rocblas_diagonal_iiT2_lPT3_llS9_llPT4_lli.kd
    .uniform_work_group_size: 1
    .uses_dynamic_stack: false
    .vgpr_count:     19
    .vgpr_spill_count: 0
    .wavefront_size: 64
  - .agpr_count:     0
    .args:
      - .offset:         0
        .size:           4
        .value_kind:     by_value
      - .offset:         4
        .size:           4
        .value_kind:     by_value
      - .offset:         8
        .size:           4
        .value_kind:     by_value
      - .offset:         12
        .size:           4
        .value_kind:     by_value
      - .offset:         16
        .size:           4
        .value_kind:     by_value
      - .offset:         24
        .size:           8
        .value_kind:     by_value
      - .address_space:  global
        .offset:         32
        .size:           8
        .value_kind:     global_buffer
      - .offset:         40
        .size:           8
        .value_kind:     by_value
      - .offset:         48
        .size:           8
        .value_kind:     by_value
      - .address_space:  global
        .offset:         56
        .size:           8
        .value_kind:     global_buffer
      - .offset:         64
        .size:           8
        .value_kind:     by_value
      - .offset:         72
        .size:           8
        .value_kind:     by_value
      - .address_space:  global
        .offset:         80
        .size:           8
        .value_kind:     global_buffer
      - .offset:         88
        .size:           8
        .value_kind:     by_value
      - .offset:         96
        .size:           8
        .value_kind:     by_value
      - .offset:         104
        .size:           4
        .value_kind:     by_value
    .group_segment_fixed_size: 8192
    .kernarg_segment_align: 8
    .kernarg_segment_size: 108
    .language:       OpenCL C
    .language_version:
      - 2
      - 0
    .max_flat_workgroup_size: 1024
    .name:           _ZL23rocblas_trmm_rTx_kernelILi32ELb0EffKPKfKPfEv13rocblas_fill_17rocblas_diagonal_iiT2_lPT3_llS9_llPT4_lli
    .private_segment_fixed_size: 0
    .sgpr_count:     37
    .sgpr_spill_count: 0
    .symbol:         _ZL23rocblas_trmm_rTx_kernelILi32ELb0EffKPKfKPfEv13rocblas_fill_17rocblas_diagonal_iiT2_lPT3_llS9_llPT4_lli.kd
    .uniform_work_group_size: 1
    .uses_dynamic_stack: false
    .vgpr_count:     19
    .vgpr_spill_count: 0
    .wavefront_size: 64
  - .agpr_count:     0
    .args:
      - .offset:         0
        .size:           4
        .value_kind:     by_value
      - .offset:         4
        .size:           4
        .value_kind:     by_value
      - .offset:         8
        .size:           4
        .value_kind:     by_value
      - .offset:         12
        .size:           4
        .value_kind:     by_value
      - .address_space:  global
        .offset:         16
        .size:           8
        .value_kind:     global_buffer
      - .offset:         24
        .size:           8
        .value_kind:     by_value
      - .address_space:  global
        .offset:         32
        .size:           8
        .value_kind:     global_buffer
      - .offset:         40
        .size:           8
        .value_kind:     by_value
      - .offset:         48
        .size:           8
        .value_kind:     by_value
      - .address_space:  global
        .offset:         56
        .size:           8
        .value_kind:     global_buffer
      - .offset:         64
        .size:           8
        .value_kind:     by_value
      - .offset:         72
        .size:           8
        .value_kind:     by_value
      - .address_space:  global
        .offset:         80
        .size:           8
        .value_kind:     global_buffer
      - .offset:         88
        .size:           8
        .value_kind:     by_value
      - .offset:         96
        .size:           8
        .value_kind:     by_value
      - .offset:         104
        .size:           4
        .value_kind:     by_value
    .group_segment_fixed_size: 8192
    .kernarg_segment_align: 8
    .kernarg_segment_size: 108
    .language:       OpenCL C
    .language_version:
      - 2
      - 0
    .max_flat_workgroup_size: 1024
    .name:           _ZL23rocblas_trmm_rTx_kernelILi32ELb1EfPKfKS1_KPfEv13rocblas_fill_17rocblas_diagonal_iiT2_lPT3_llS9_llPT4_lli
    .private_segment_fixed_size: 0
    .sgpr_count:     38
    .sgpr_spill_count: 0
    .symbol:         _ZL23rocblas_trmm_rTx_kernelILi32ELb1EfPKfKS1_KPfEv13rocblas_fill_17rocblas_diagonal_iiT2_lPT3_llS9_llPT4_lli.kd
    .uniform_work_group_size: 1
    .uses_dynamic_stack: false
    .vgpr_count:     19
    .vgpr_spill_count: 0
    .wavefront_size: 64
  - .agpr_count:     0
    .args:
      - .offset:         0
        .size:           4
        .value_kind:     by_value
      - .offset:         4
        .size:           4
        .value_kind:     by_value
      - .offset:         8
        .size:           4
        .value_kind:     by_value
      - .offset:         12
        .size:           4
        .value_kind:     by_value
      - .offset:         16
        .size:           4
        .value_kind:     by_value
      - .offset:         24
        .size:           8
        .value_kind:     by_value
      - .address_space:  global
        .offset:         32
        .size:           8
        .value_kind:     global_buffer
      - .offset:         40
        .size:           8
        .value_kind:     by_value
      - .offset:         48
        .size:           8
        .value_kind:     by_value
      - .address_space:  global
        .offset:         56
        .size:           8
        .value_kind:     global_buffer
      - .offset:         64
        .size:           8
        .value_kind:     by_value
      - .offset:         72
        .size:           8
        .value_kind:     by_value
      - .address_space:  global
        .offset:         80
        .size:           8
        .value_kind:     global_buffer
      - .offset:         88
        .size:           8
        .value_kind:     by_value
      - .offset:         96
        .size:           8
        .value_kind:     by_value
      - .offset:         104
        .size:           4
        .value_kind:     by_value
    .group_segment_fixed_size: 8192
    .kernarg_segment_align: 8
    .kernarg_segment_size: 108
    .language:       OpenCL C
    .language_version:
      - 2
      - 0
    .max_flat_workgroup_size: 1024
    .name:           _ZL23rocblas_trmm_rTx_kernelILi32ELb1EffKPKfKPfEv13rocblas_fill_17rocblas_diagonal_iiT2_lPT3_llS9_llPT4_lli
    .private_segment_fixed_size: 0
    .sgpr_count:     37
    .sgpr_spill_count: 0
    .symbol:         _ZL23rocblas_trmm_rTx_kernelILi32ELb1EffKPKfKPfEv13rocblas_fill_17rocblas_diagonal_iiT2_lPT3_llS9_llPT4_lli.kd
    .uniform_work_group_size: 1
    .uses_dynamic_stack: false
    .vgpr_count:     19
    .vgpr_spill_count: 0
    .wavefront_size: 64
  - .agpr_count:     0
    .args:
      - .offset:         0
        .size:           4
        .value_kind:     by_value
      - .offset:         4
        .size:           4
        .value_kind:     by_value
      - .offset:         8
        .size:           4
        .value_kind:     by_value
      - .offset:         12
        .size:           4
        .value_kind:     by_value
      - .address_space:  global
        .offset:         16
        .size:           8
        .value_kind:     global_buffer
      - .offset:         24
        .size:           8
        .value_kind:     by_value
      - .address_space:  global
        .offset:         32
        .size:           8
        .value_kind:     global_buffer
      - .offset:         40
        .size:           8
        .value_kind:     by_value
      - .offset:         48
        .size:           8
        .value_kind:     by_value
      - .address_space:  global
        .offset:         56
        .size:           8
        .value_kind:     global_buffer
      - .offset:         64
        .size:           8
        .value_kind:     by_value
      - .offset:         72
        .size:           8
        .value_kind:     by_value
      - .address_space:  global
        .offset:         80
        .size:           8
        .value_kind:     global_buffer
      - .offset:         88
        .size:           8
        .value_kind:     by_value
      - .offset:         96
        .size:           8
        .value_kind:     by_value
      - .offset:         104
        .size:           4
        .value_kind:     by_value
    .group_segment_fixed_size: 16384
    .kernarg_segment_align: 8
    .kernarg_segment_size: 108
    .language:       OpenCL C
    .language_version:
      - 2
      - 0
    .max_flat_workgroup_size: 1024
    .name:           _ZL23rocblas_trmm_lNx_kernelILi32EdPKdKS1_KPdEv13rocblas_fill_17rocblas_diagonal_iiT1_lPT2_llS9_llPT3_lli
    .private_segment_fixed_size: 0
    .sgpr_count:     38
    .sgpr_spill_count: 0
    .symbol:         _ZL23rocblas_trmm_lNx_kernelILi32EdPKdKS1_KPdEv13rocblas_fill_17rocblas_diagonal_iiT1_lPT2_llS9_llPT3_lli.kd
    .uniform_work_group_size: 1
    .uses_dynamic_stack: false
    .vgpr_count:     34
    .vgpr_spill_count: 0
    .wavefront_size: 64
  - .agpr_count:     0
    .args:
      - .offset:         0
        .size:           4
        .value_kind:     by_value
      - .offset:         4
        .size:           4
        .value_kind:     by_value
      - .offset:         8
        .size:           4
        .value_kind:     by_value
      - .offset:         12
        .size:           4
        .value_kind:     by_value
      - .offset:         16
        .size:           8
        .value_kind:     by_value
      - .offset:         24
        .size:           8
        .value_kind:     by_value
      - .address_space:  global
        .offset:         32
        .size:           8
        .value_kind:     global_buffer
      - .offset:         40
        .size:           8
        .value_kind:     by_value
      - .offset:         48
        .size:           8
        .value_kind:     by_value
      - .address_space:  global
        .offset:         56
        .size:           8
        .value_kind:     global_buffer
      - .offset:         64
        .size:           8
        .value_kind:     by_value
      - .offset:         72
        .size:           8
        .value_kind:     by_value
      - .address_space:  global
        .offset:         80
        .size:           8
        .value_kind:     global_buffer
      - .offset:         88
        .size:           8
        .value_kind:     by_value
      - .offset:         96
        .size:           8
        .value_kind:     by_value
      - .offset:         104
        .size:           4
        .value_kind:     by_value
    .group_segment_fixed_size: 16384
    .kernarg_segment_align: 8
    .kernarg_segment_size: 108
    .language:       OpenCL C
    .language_version:
      - 2
      - 0
    .max_flat_workgroup_size: 1024
    .name:           _ZL23rocblas_trmm_lNx_kernelILi32EddKPKdKPdEv13rocblas_fill_17rocblas_diagonal_iiT1_lPT2_llS9_llPT3_lli
    .private_segment_fixed_size: 0
    .sgpr_count:     38
    .sgpr_spill_count: 0
    .symbol:         _ZL23rocblas_trmm_lNx_kernelILi32EddKPKdKPdEv13rocblas_fill_17rocblas_diagonal_iiT1_lPT2_llS9_llPT3_lli.kd
    .uniform_work_group_size: 1
    .uses_dynamic_stack: false
    .vgpr_count:     34
    .vgpr_spill_count: 0
    .wavefront_size: 64
  - .agpr_count:     0
    .args:
      - .offset:         0
        .size:           4
        .value_kind:     by_value
      - .offset:         4
        .size:           4
        .value_kind:     by_value
      - .offset:         8
        .size:           4
        .value_kind:     by_value
      - .offset:         12
        .size:           4
        .value_kind:     by_value
      - .address_space:  global
        .offset:         16
        .size:           8
        .value_kind:     global_buffer
      - .offset:         24
        .size:           8
        .value_kind:     by_value
      - .address_space:  global
        .offset:         32
        .size:           8
        .value_kind:     global_buffer
      - .offset:         40
        .size:           8
        .value_kind:     by_value
      - .offset:         48
        .size:           8
        .value_kind:     by_value
      - .address_space:  global
        .offset:         56
        .size:           8
        .value_kind:     global_buffer
      - .offset:         64
        .size:           8
        .value_kind:     by_value
      - .offset:         72
        .size:           8
        .value_kind:     by_value
      - .address_space:  global
        .offset:         80
        .size:           8
        .value_kind:     global_buffer
      - .offset:         88
        .size:           8
        .value_kind:     by_value
      - .offset:         96
        .size:           8
        .value_kind:     by_value
      - .offset:         104
        .size:           4
        .value_kind:     by_value
    .group_segment_fixed_size: 16384
    .kernarg_segment_align: 8
    .kernarg_segment_size: 108
    .language:       OpenCL C
    .language_version:
      - 2
      - 0
    .max_flat_workgroup_size: 1024
    .name:           _ZL23rocblas_trmm_lTx_kernelILi32ELb0EdPKdKS1_KPdEv13rocblas_fill_17rocblas_diagonal_iiT2_lPT3_llS9_llPT4_lli
    .private_segment_fixed_size: 0
    .sgpr_count:     38
    .sgpr_spill_count: 0
    .symbol:         _ZL23rocblas_trmm_lTx_kernelILi32ELb0EdPKdKS1_KPdEv13rocblas_fill_17rocblas_diagonal_iiT2_lPT3_llS9_llPT4_lli.kd
    .uniform_work_group_size: 1
    .uses_dynamic_stack: false
    .vgpr_count:     34
    .vgpr_spill_count: 0
    .wavefront_size: 64
  - .agpr_count:     0
    .args:
      - .offset:         0
        .size:           4
        .value_kind:     by_value
      - .offset:         4
        .size:           4
        .value_kind:     by_value
      - .offset:         8
        .size:           4
        .value_kind:     by_value
      - .offset:         12
        .size:           4
        .value_kind:     by_value
      - .offset:         16
        .size:           8
        .value_kind:     by_value
      - .offset:         24
        .size:           8
        .value_kind:     by_value
      - .address_space:  global
        .offset:         32
        .size:           8
        .value_kind:     global_buffer
      - .offset:         40
        .size:           8
        .value_kind:     by_value
      - .offset:         48
        .size:           8
        .value_kind:     by_value
      - .address_space:  global
        .offset:         56
        .size:           8
        .value_kind:     global_buffer
      - .offset:         64
        .size:           8
        .value_kind:     by_value
      - .offset:         72
        .size:           8
        .value_kind:     by_value
      - .address_space:  global
        .offset:         80
        .size:           8
        .value_kind:     global_buffer
      - .offset:         88
        .size:           8
        .value_kind:     by_value
      - .offset:         96
        .size:           8
        .value_kind:     by_value
      - .offset:         104
        .size:           4
        .value_kind:     by_value
    .group_segment_fixed_size: 16384
    .kernarg_segment_align: 8
    .kernarg_segment_size: 108
    .language:       OpenCL C
    .language_version:
      - 2
      - 0
    .max_flat_workgroup_size: 1024
    .name:           _ZL23rocblas_trmm_lTx_kernelILi32ELb0EddKPKdKPdEv13rocblas_fill_17rocblas_diagonal_iiT2_lPT3_llS9_llPT4_lli
    .private_segment_fixed_size: 0
    .sgpr_count:     42
    .sgpr_spill_count: 0
    .symbol:         _ZL23rocblas_trmm_lTx_kernelILi32ELb0EddKPKdKPdEv13rocblas_fill_17rocblas_diagonal_iiT2_lPT3_llS9_llPT4_lli.kd
    .uniform_work_group_size: 1
    .uses_dynamic_stack: false
    .vgpr_count:     34
    .vgpr_spill_count: 0
    .wavefront_size: 64
  - .agpr_count:     0
    .args:
      - .offset:         0
        .size:           4
        .value_kind:     by_value
      - .offset:         4
        .size:           4
        .value_kind:     by_value
      - .offset:         8
        .size:           4
        .value_kind:     by_value
      - .offset:         12
        .size:           4
        .value_kind:     by_value
      - .address_space:  global
        .offset:         16
        .size:           8
        .value_kind:     global_buffer
      - .offset:         24
        .size:           8
        .value_kind:     by_value
      - .address_space:  global
        .offset:         32
        .size:           8
        .value_kind:     global_buffer
      - .offset:         40
        .size:           8
        .value_kind:     by_value
      - .offset:         48
        .size:           8
        .value_kind:     by_value
      - .address_space:  global
        .offset:         56
        .size:           8
        .value_kind:     global_buffer
      - .offset:         64
        .size:           8
        .value_kind:     by_value
      - .offset:         72
        .size:           8
        .value_kind:     by_value
      - .address_space:  global
        .offset:         80
        .size:           8
        .value_kind:     global_buffer
      - .offset:         88
        .size:           8
        .value_kind:     by_value
      - .offset:         96
        .size:           8
        .value_kind:     by_value
      - .offset:         104
        .size:           4
        .value_kind:     by_value
    .group_segment_fixed_size: 16384
    .kernarg_segment_align: 8
    .kernarg_segment_size: 108
    .language:       OpenCL C
    .language_version:
      - 2
      - 0
    .max_flat_workgroup_size: 1024
    .name:           _ZL23rocblas_trmm_lTx_kernelILi32ELb1EdPKdKS1_KPdEv13rocblas_fill_17rocblas_diagonal_iiT2_lPT3_llS9_llPT4_lli
    .private_segment_fixed_size: 0
    .sgpr_count:     38
    .sgpr_spill_count: 0
    .symbol:         _ZL23rocblas_trmm_lTx_kernelILi32ELb1EdPKdKS1_KPdEv13rocblas_fill_17rocblas_diagonal_iiT2_lPT3_llS9_llPT4_lli.kd
    .uniform_work_group_size: 1
    .uses_dynamic_stack: false
    .vgpr_count:     34
    .vgpr_spill_count: 0
    .wavefront_size: 64
  - .agpr_count:     0
    .args:
      - .offset:         0
        .size:           4
        .value_kind:     by_value
      - .offset:         4
        .size:           4
        .value_kind:     by_value
      - .offset:         8
        .size:           4
        .value_kind:     by_value
      - .offset:         12
        .size:           4
        .value_kind:     by_value
      - .offset:         16
        .size:           8
        .value_kind:     by_value
      - .offset:         24
        .size:           8
        .value_kind:     by_value
      - .address_space:  global
        .offset:         32
        .size:           8
        .value_kind:     global_buffer
      - .offset:         40
        .size:           8
        .value_kind:     by_value
      - .offset:         48
        .size:           8
        .value_kind:     by_value
      - .address_space:  global
        .offset:         56
        .size:           8
        .value_kind:     global_buffer
      - .offset:         64
        .size:           8
        .value_kind:     by_value
      - .offset:         72
        .size:           8
        .value_kind:     by_value
      - .address_space:  global
        .offset:         80
        .size:           8
        .value_kind:     global_buffer
      - .offset:         88
        .size:           8
        .value_kind:     by_value
      - .offset:         96
        .size:           8
        .value_kind:     by_value
      - .offset:         104
        .size:           4
        .value_kind:     by_value
    .group_segment_fixed_size: 16384
    .kernarg_segment_align: 8
    .kernarg_segment_size: 108
    .language:       OpenCL C
    .language_version:
      - 2
      - 0
    .max_flat_workgroup_size: 1024
    .name:           _ZL23rocblas_trmm_lTx_kernelILi32ELb1EddKPKdKPdEv13rocblas_fill_17rocblas_diagonal_iiT2_lPT3_llS9_llPT4_lli
    .private_segment_fixed_size: 0
    .sgpr_count:     42
    .sgpr_spill_count: 0
    .symbol:         _ZL23rocblas_trmm_lTx_kernelILi32ELb1EddKPKdKPdEv13rocblas_fill_17rocblas_diagonal_iiT2_lPT3_llS9_llPT4_lli.kd
    .uniform_work_group_size: 1
    .uses_dynamic_stack: false
    .vgpr_count:     34
    .vgpr_spill_count: 0
    .wavefront_size: 64
  - .agpr_count:     0
    .args:
      - .offset:         0
        .size:           4
        .value_kind:     by_value
      - .offset:         4
        .size:           4
        .value_kind:     by_value
      - .offset:         8
        .size:           4
        .value_kind:     by_value
      - .offset:         12
        .size:           4
        .value_kind:     by_value
      - .address_space:  global
        .offset:         16
        .size:           8
        .value_kind:     global_buffer
      - .offset:         24
        .size:           8
        .value_kind:     by_value
      - .address_space:  global
        .offset:         32
        .size:           8
        .value_kind:     global_buffer
      - .offset:         40
        .size:           8
        .value_kind:     by_value
      - .offset:         48
        .size:           8
        .value_kind:     by_value
      - .address_space:  global
        .offset:         56
        .size:           8
        .value_kind:     global_buffer
      - .offset:         64
        .size:           8
        .value_kind:     by_value
      - .offset:         72
        .size:           8
        .value_kind:     by_value
      - .address_space:  global
        .offset:         80
        .size:           8
        .value_kind:     global_buffer
      - .offset:         88
        .size:           8
        .value_kind:     by_value
      - .offset:         96
        .size:           8
        .value_kind:     by_value
      - .offset:         104
        .size:           4
        .value_kind:     by_value
    .group_segment_fixed_size: 16384
    .kernarg_segment_align: 8
    .kernarg_segment_size: 108
    .language:       OpenCL C
    .language_version:
      - 2
      - 0
    .max_flat_workgroup_size: 1024
    .name:           _ZL23rocblas_trmm_rNx_kernelILi32EdPKdKS1_KPdEv13rocblas_fill_17rocblas_diagonal_iiT1_lPT2_llS9_llPT3_lli
    .private_segment_fixed_size: 0
    .sgpr_count:     38
    .sgpr_spill_count: 0
    .symbol:         _ZL23rocblas_trmm_rNx_kernelILi32EdPKdKS1_KPdEv13rocblas_fill_17rocblas_diagonal_iiT1_lPT2_llS9_llPT3_lli.kd
    .uniform_work_group_size: 1
    .uses_dynamic_stack: false
    .vgpr_count:     34
    .vgpr_spill_count: 0
    .wavefront_size: 64
  - .agpr_count:     0
    .args:
      - .offset:         0
        .size:           4
        .value_kind:     by_value
      - .offset:         4
        .size:           4
        .value_kind:     by_value
      - .offset:         8
        .size:           4
        .value_kind:     by_value
      - .offset:         12
        .size:           4
        .value_kind:     by_value
      - .offset:         16
        .size:           8
        .value_kind:     by_value
      - .offset:         24
        .size:           8
        .value_kind:     by_value
      - .address_space:  global
        .offset:         32
        .size:           8
        .value_kind:     global_buffer
      - .offset:         40
        .size:           8
        .value_kind:     by_value
      - .offset:         48
        .size:           8
        .value_kind:     by_value
      - .address_space:  global
        .offset:         56
        .size:           8
        .value_kind:     global_buffer
      - .offset:         64
        .size:           8
        .value_kind:     by_value
      - .offset:         72
        .size:           8
        .value_kind:     by_value
      - .address_space:  global
        .offset:         80
        .size:           8
        .value_kind:     global_buffer
      - .offset:         88
        .size:           8
        .value_kind:     by_value
      - .offset:         96
        .size:           8
        .value_kind:     by_value
      - .offset:         104
        .size:           4
        .value_kind:     by_value
    .group_segment_fixed_size: 16384
    .kernarg_segment_align: 8
    .kernarg_segment_size: 108
    .language:       OpenCL C
    .language_version:
      - 2
      - 0
    .max_flat_workgroup_size: 1024
    .name:           _ZL23rocblas_trmm_rNx_kernelILi32EddKPKdKPdEv13rocblas_fill_17rocblas_diagonal_iiT1_lPT2_llS9_llPT3_lli
    .private_segment_fixed_size: 0
    .sgpr_count:     38
    .sgpr_spill_count: 0
    .symbol:         _ZL23rocblas_trmm_rNx_kernelILi32EddKPKdKPdEv13rocblas_fill_17rocblas_diagonal_iiT1_lPT2_llS9_llPT3_lli.kd
    .uniform_work_group_size: 1
    .uses_dynamic_stack: false
    .vgpr_count:     34
    .vgpr_spill_count: 0
    .wavefront_size: 64
  - .agpr_count:     0
    .args:
      - .offset:         0
        .size:           4
        .value_kind:     by_value
      - .offset:         4
        .size:           4
        .value_kind:     by_value
      - .offset:         8
        .size:           4
        .value_kind:     by_value
      - .offset:         12
        .size:           4
        .value_kind:     by_value
      - .address_space:  global
        .offset:         16
        .size:           8
        .value_kind:     global_buffer
      - .offset:         24
        .size:           8
        .value_kind:     by_value
      - .address_space:  global
        .offset:         32
        .size:           8
        .value_kind:     global_buffer
      - .offset:         40
        .size:           8
        .value_kind:     by_value
      - .offset:         48
        .size:           8
        .value_kind:     by_value
      - .address_space:  global
        .offset:         56
        .size:           8
        .value_kind:     global_buffer
      - .offset:         64
        .size:           8
        .value_kind:     by_value
      - .offset:         72
        .size:           8
        .value_kind:     by_value
      - .address_space:  global
        .offset:         80
        .size:           8
        .value_kind:     global_buffer
      - .offset:         88
        .size:           8
        .value_kind:     by_value
      - .offset:         96
        .size:           8
        .value_kind:     by_value
      - .offset:         104
        .size:           4
        .value_kind:     by_value
    .group_segment_fixed_size: 16384
    .kernarg_segment_align: 8
    .kernarg_segment_size: 108
    .language:       OpenCL C
    .language_version:
      - 2
      - 0
    .max_flat_workgroup_size: 1024
    .name:           _ZL23rocblas_trmm_rTx_kernelILi32ELb0EdPKdKS1_KPdEv13rocblas_fill_17rocblas_diagonal_iiT2_lPT3_llS9_llPT4_lli
    .private_segment_fixed_size: 0
    .sgpr_count:     38
    .sgpr_spill_count: 0
    .symbol:         _ZL23rocblas_trmm_rTx_kernelILi32ELb0EdPKdKS1_KPdEv13rocblas_fill_17rocblas_diagonal_iiT2_lPT3_llS9_llPT4_lli.kd
    .uniform_work_group_size: 1
    .uses_dynamic_stack: false
    .vgpr_count:     31
    .vgpr_spill_count: 0
    .wavefront_size: 64
  - .agpr_count:     0
    .args:
      - .offset:         0
        .size:           4
        .value_kind:     by_value
      - .offset:         4
        .size:           4
        .value_kind:     by_value
      - .offset:         8
        .size:           4
        .value_kind:     by_value
      - .offset:         12
        .size:           4
        .value_kind:     by_value
      - .offset:         16
        .size:           8
        .value_kind:     by_value
      - .offset:         24
        .size:           8
        .value_kind:     by_value
      - .address_space:  global
        .offset:         32
        .size:           8
        .value_kind:     global_buffer
      - .offset:         40
        .size:           8
        .value_kind:     by_value
      - .offset:         48
        .size:           8
        .value_kind:     by_value
      - .address_space:  global
        .offset:         56
        .size:           8
        .value_kind:     global_buffer
      - .offset:         64
        .size:           8
        .value_kind:     by_value
      - .offset:         72
        .size:           8
        .value_kind:     by_value
      - .address_space:  global
        .offset:         80
        .size:           8
        .value_kind:     global_buffer
      - .offset:         88
        .size:           8
        .value_kind:     by_value
      - .offset:         96
        .size:           8
        .value_kind:     by_value
      - .offset:         104
        .size:           4
        .value_kind:     by_value
    .group_segment_fixed_size: 16384
    .kernarg_segment_align: 8
    .kernarg_segment_size: 108
    .language:       OpenCL C
    .language_version:
      - 2
      - 0
    .max_flat_workgroup_size: 1024
    .name:           _ZL23rocblas_trmm_rTx_kernelILi32ELb0EddKPKdKPdEv13rocblas_fill_17rocblas_diagonal_iiT2_lPT3_llS9_llPT4_lli
    .private_segment_fixed_size: 0
    .sgpr_count:     38
    .sgpr_spill_count: 0
    .symbol:         _ZL23rocblas_trmm_rTx_kernelILi32ELb0EddKPKdKPdEv13rocblas_fill_17rocblas_diagonal_iiT2_lPT3_llS9_llPT4_lli.kd
    .uniform_work_group_size: 1
    .uses_dynamic_stack: false
    .vgpr_count:     31
    .vgpr_spill_count: 0
    .wavefront_size: 64
  - .agpr_count:     0
    .args:
      - .offset:         0
        .size:           4
        .value_kind:     by_value
      - .offset:         4
        .size:           4
        .value_kind:     by_value
      - .offset:         8
        .size:           4
        .value_kind:     by_value
      - .offset:         12
        .size:           4
        .value_kind:     by_value
      - .address_space:  global
        .offset:         16
        .size:           8
        .value_kind:     global_buffer
      - .offset:         24
        .size:           8
        .value_kind:     by_value
      - .address_space:  global
        .offset:         32
        .size:           8
        .value_kind:     global_buffer
      - .offset:         40
        .size:           8
        .value_kind:     by_value
      - .offset:         48
        .size:           8
        .value_kind:     by_value
      - .address_space:  global
        .offset:         56
        .size:           8
        .value_kind:     global_buffer
      - .offset:         64
        .size:           8
        .value_kind:     by_value
      - .offset:         72
        .size:           8
        .value_kind:     by_value
      - .address_space:  global
        .offset:         80
        .size:           8
        .value_kind:     global_buffer
      - .offset:         88
        .size:           8
        .value_kind:     by_value
      - .offset:         96
        .size:           8
        .value_kind:     by_value
      - .offset:         104
        .size:           4
        .value_kind:     by_value
    .group_segment_fixed_size: 16384
    .kernarg_segment_align: 8
    .kernarg_segment_size: 108
    .language:       OpenCL C
    .language_version:
      - 2
      - 0
    .max_flat_workgroup_size: 1024
    .name:           _ZL23rocblas_trmm_rTx_kernelILi32ELb1EdPKdKS1_KPdEv13rocblas_fill_17rocblas_diagonal_iiT2_lPT3_llS9_llPT4_lli
    .private_segment_fixed_size: 0
    .sgpr_count:     38
    .sgpr_spill_count: 0
    .symbol:         _ZL23rocblas_trmm_rTx_kernelILi32ELb1EdPKdKS1_KPdEv13rocblas_fill_17rocblas_diagonal_iiT2_lPT3_llS9_llPT4_lli.kd
    .uniform_work_group_size: 1
    .uses_dynamic_stack: false
    .vgpr_count:     31
    .vgpr_spill_count: 0
    .wavefront_size: 64
  - .agpr_count:     0
    .args:
      - .offset:         0
        .size:           4
        .value_kind:     by_value
      - .offset:         4
        .size:           4
        .value_kind:     by_value
      - .offset:         8
        .size:           4
        .value_kind:     by_value
      - .offset:         12
        .size:           4
        .value_kind:     by_value
      - .offset:         16
        .size:           8
        .value_kind:     by_value
      - .offset:         24
        .size:           8
        .value_kind:     by_value
      - .address_space:  global
        .offset:         32
        .size:           8
        .value_kind:     global_buffer
      - .offset:         40
        .size:           8
        .value_kind:     by_value
      - .offset:         48
        .size:           8
        .value_kind:     by_value
      - .address_space:  global
        .offset:         56
        .size:           8
        .value_kind:     global_buffer
      - .offset:         64
        .size:           8
        .value_kind:     by_value
      - .offset:         72
        .size:           8
        .value_kind:     by_value
      - .address_space:  global
        .offset:         80
        .size:           8
        .value_kind:     global_buffer
      - .offset:         88
        .size:           8
        .value_kind:     by_value
      - .offset:         96
        .size:           8
        .value_kind:     by_value
      - .offset:         104
        .size:           4
        .value_kind:     by_value
    .group_segment_fixed_size: 16384
    .kernarg_segment_align: 8
    .kernarg_segment_size: 108
    .language:       OpenCL C
    .language_version:
      - 2
      - 0
    .max_flat_workgroup_size: 1024
    .name:           _ZL23rocblas_trmm_rTx_kernelILi32ELb1EddKPKdKPdEv13rocblas_fill_17rocblas_diagonal_iiT2_lPT3_llS9_llPT4_lli
    .private_segment_fixed_size: 0
    .sgpr_count:     38
    .sgpr_spill_count: 0
    .symbol:         _ZL23rocblas_trmm_rTx_kernelILi32ELb1EddKPKdKPdEv13rocblas_fill_17rocblas_diagonal_iiT2_lPT3_llS9_llPT4_lli.kd
    .uniform_work_group_size: 1
    .uses_dynamic_stack: false
    .vgpr_count:     31
    .vgpr_spill_count: 0
    .wavefront_size: 64
  - .agpr_count:     0
    .args:
      - .offset:         0
        .size:           4
        .value_kind:     by_value
      - .offset:         4
        .size:           4
        .value_kind:     by_value
      - .offset:         8
        .size:           4
        .value_kind:     by_value
      - .offset:         12
        .size:           4
        .value_kind:     by_value
      - .address_space:  global
        .offset:         16
        .size:           8
        .value_kind:     global_buffer
      - .offset:         24
        .size:           8
        .value_kind:     by_value
      - .address_space:  global
        .offset:         32
        .size:           8
        .value_kind:     global_buffer
      - .offset:         40
        .size:           8
        .value_kind:     by_value
      - .offset:         48
        .size:           8
        .value_kind:     by_value
      - .address_space:  global
        .offset:         56
        .size:           8
        .value_kind:     global_buffer
      - .offset:         64
        .size:           8
        .value_kind:     by_value
      - .offset:         72
        .size:           8
        .value_kind:     by_value
      - .address_space:  global
        .offset:         80
        .size:           8
        .value_kind:     global_buffer
      - .offset:         88
        .size:           8
        .value_kind:     by_value
      - .offset:         96
        .size:           8
        .value_kind:     by_value
      - .offset:         104
        .size:           4
        .value_kind:     by_value
    .group_segment_fixed_size: 4096
    .kernarg_segment_align: 8
    .kernarg_segment_size: 108
    .language:       OpenCL C
    .language_version:
      - 2
      - 0
    .max_flat_workgroup_size: 256
    .name:           _ZL23rocblas_trmm_lNx_kernelILi16E19rocblas_complex_numIfEPKS1_KS3_KPS1_Ev13rocblas_fill_17rocblas_diagonal_iiT1_lPT2_llSB_llPT3_lli
    .private_segment_fixed_size: 0
    .sgpr_count:     38
    .sgpr_spill_count: 0
    .symbol:         _ZL23rocblas_trmm_lNx_kernelILi16E19rocblas_complex_numIfEPKS1_KS3_KPS1_Ev13rocblas_fill_17rocblas_diagonal_iiT1_lPT2_llSB_llPT3_lli.kd
    .uniform_work_group_size: 1
    .uses_dynamic_stack: false
    .vgpr_count:     58
    .vgpr_spill_count: 0
    .wavefront_size: 64
  - .agpr_count:     0
    .args:
      - .offset:         0
        .size:           4
        .value_kind:     by_value
      - .offset:         4
        .size:           4
        .value_kind:     by_value
      - .offset:         8
        .size:           4
        .value_kind:     by_value
      - .offset:         12
        .size:           4
        .value_kind:     by_value
      - .offset:         16
        .size:           8
        .value_kind:     by_value
      - .offset:         24
        .size:           8
        .value_kind:     by_value
      - .address_space:  global
        .offset:         32
        .size:           8
        .value_kind:     global_buffer
      - .offset:         40
        .size:           8
        .value_kind:     by_value
      - .offset:         48
        .size:           8
        .value_kind:     by_value
      - .address_space:  global
        .offset:         56
        .size:           8
        .value_kind:     global_buffer
      - .offset:         64
        .size:           8
        .value_kind:     by_value
      - .offset:         72
        .size:           8
        .value_kind:     by_value
      - .address_space:  global
        .offset:         80
        .size:           8
        .value_kind:     global_buffer
      - .offset:         88
        .size:           8
        .value_kind:     by_value
      - .offset:         96
        .size:           8
        .value_kind:     by_value
      - .offset:         104
        .size:           4
        .value_kind:     by_value
    .group_segment_fixed_size: 4096
    .kernarg_segment_align: 8
    .kernarg_segment_size: 108
    .language:       OpenCL C
    .language_version:
      - 2
      - 0
    .max_flat_workgroup_size: 256
    .name:           _ZL23rocblas_trmm_lNx_kernelILi16E19rocblas_complex_numIfES1_KPKS1_KPS1_Ev13rocblas_fill_17rocblas_diagonal_iiT1_lPT2_llSB_llPT3_lli
    .private_segment_fixed_size: 0
    .sgpr_count:     38
    .sgpr_spill_count: 0
    .symbol:         _ZL23rocblas_trmm_lNx_kernelILi16E19rocblas_complex_numIfES1_KPKS1_KPS1_Ev13rocblas_fill_17rocblas_diagonal_iiT1_lPT2_llSB_llPT3_lli.kd
    .uniform_work_group_size: 1
    .uses_dynamic_stack: false
    .vgpr_count:     58
    .vgpr_spill_count: 0
    .wavefront_size: 64
  - .agpr_count:     0
    .args:
      - .offset:         0
        .size:           4
        .value_kind:     by_value
      - .offset:         4
        .size:           4
        .value_kind:     by_value
      - .offset:         8
        .size:           4
        .value_kind:     by_value
      - .offset:         12
        .size:           4
        .value_kind:     by_value
      - .address_space:  global
        .offset:         16
        .size:           8
        .value_kind:     global_buffer
      - .offset:         24
        .size:           8
        .value_kind:     by_value
      - .address_space:  global
        .offset:         32
        .size:           8
        .value_kind:     global_buffer
      - .offset:         40
        .size:           8
        .value_kind:     by_value
      - .offset:         48
        .size:           8
        .value_kind:     by_value
      - .address_space:  global
        .offset:         56
        .size:           8
        .value_kind:     global_buffer
      - .offset:         64
        .size:           8
        .value_kind:     by_value
      - .offset:         72
        .size:           8
        .value_kind:     by_value
      - .address_space:  global
        .offset:         80
        .size:           8
        .value_kind:     global_buffer
      - .offset:         88
        .size:           8
        .value_kind:     by_value
      - .offset:         96
        .size:           8
        .value_kind:     by_value
      - .offset:         104
        .size:           4
        .value_kind:     by_value
    .group_segment_fixed_size: 4096
    .kernarg_segment_align: 8
    .kernarg_segment_size: 108
    .language:       OpenCL C
    .language_version:
      - 2
      - 0
    .max_flat_workgroup_size: 256
    .name:           _ZL23rocblas_trmm_lTx_kernelILi16ELb0E19rocblas_complex_numIfEPKS1_KS3_KPS1_Ev13rocblas_fill_17rocblas_diagonal_iiT2_lPT3_llSB_llPT4_lli
    .private_segment_fixed_size: 0
    .sgpr_count:     38
    .sgpr_spill_count: 0
    .symbol:         _ZL23rocblas_trmm_lTx_kernelILi16ELb0E19rocblas_complex_numIfEPKS1_KS3_KPS1_Ev13rocblas_fill_17rocblas_diagonal_iiT2_lPT3_llSB_llPT4_lli.kd
    .uniform_work_group_size: 1
    .uses_dynamic_stack: false
    .vgpr_count:     58
    .vgpr_spill_count: 0
    .wavefront_size: 64
  - .agpr_count:     0
    .args:
      - .offset:         0
        .size:           4
        .value_kind:     by_value
      - .offset:         4
        .size:           4
        .value_kind:     by_value
      - .offset:         8
        .size:           4
        .value_kind:     by_value
      - .offset:         12
        .size:           4
        .value_kind:     by_value
      - .offset:         16
        .size:           8
        .value_kind:     by_value
      - .offset:         24
        .size:           8
        .value_kind:     by_value
      - .address_space:  global
        .offset:         32
        .size:           8
        .value_kind:     global_buffer
      - .offset:         40
        .size:           8
        .value_kind:     by_value
      - .offset:         48
        .size:           8
        .value_kind:     by_value
      - .address_space:  global
        .offset:         56
        .size:           8
        .value_kind:     global_buffer
      - .offset:         64
        .size:           8
        .value_kind:     by_value
      - .offset:         72
        .size:           8
        .value_kind:     by_value
      - .address_space:  global
        .offset:         80
        .size:           8
        .value_kind:     global_buffer
      - .offset:         88
        .size:           8
        .value_kind:     by_value
      - .offset:         96
        .size:           8
        .value_kind:     by_value
      - .offset:         104
        .size:           4
        .value_kind:     by_value
    .group_segment_fixed_size: 4096
    .kernarg_segment_align: 8
    .kernarg_segment_size: 108
    .language:       OpenCL C
    .language_version:
      - 2
      - 0
    .max_flat_workgroup_size: 256
    .name:           _ZL23rocblas_trmm_lTx_kernelILi16ELb0E19rocblas_complex_numIfES1_KPKS1_KPS1_Ev13rocblas_fill_17rocblas_diagonal_iiT2_lPT3_llSB_llPT4_lli
    .private_segment_fixed_size: 0
    .sgpr_count:     42
    .sgpr_spill_count: 0
    .symbol:         _ZL23rocblas_trmm_lTx_kernelILi16ELb0E19rocblas_complex_numIfES1_KPKS1_KPS1_Ev13rocblas_fill_17rocblas_diagonal_iiT2_lPT3_llSB_llPT4_lli.kd
    .uniform_work_group_size: 1
    .uses_dynamic_stack: false
    .vgpr_count:     58
    .vgpr_spill_count: 0
    .wavefront_size: 64
  - .agpr_count:     0
    .args:
      - .offset:         0
        .size:           4
        .value_kind:     by_value
      - .offset:         4
        .size:           4
        .value_kind:     by_value
      - .offset:         8
        .size:           4
        .value_kind:     by_value
      - .offset:         12
        .size:           4
        .value_kind:     by_value
      - .address_space:  global
        .offset:         16
        .size:           8
        .value_kind:     global_buffer
      - .offset:         24
        .size:           8
        .value_kind:     by_value
      - .address_space:  global
        .offset:         32
        .size:           8
        .value_kind:     global_buffer
      - .offset:         40
        .size:           8
        .value_kind:     by_value
      - .offset:         48
        .size:           8
        .value_kind:     by_value
      - .address_space:  global
        .offset:         56
        .size:           8
        .value_kind:     global_buffer
      - .offset:         64
        .size:           8
        .value_kind:     by_value
      - .offset:         72
        .size:           8
        .value_kind:     by_value
      - .address_space:  global
        .offset:         80
        .size:           8
        .value_kind:     global_buffer
      - .offset:         88
        .size:           8
        .value_kind:     by_value
      - .offset:         96
        .size:           8
        .value_kind:     by_value
      - .offset:         104
        .size:           4
        .value_kind:     by_value
    .group_segment_fixed_size: 4096
    .kernarg_segment_align: 8
    .kernarg_segment_size: 108
    .language:       OpenCL C
    .language_version:
      - 2
      - 0
    .max_flat_workgroup_size: 256
    .name:           _ZL23rocblas_trmm_lTx_kernelILi16ELb1E19rocblas_complex_numIfEPKS1_KS3_KPS1_Ev13rocblas_fill_17rocblas_diagonal_iiT2_lPT3_llSB_llPT4_lli
    .private_segment_fixed_size: 0
    .sgpr_count:     38
    .sgpr_spill_count: 0
    .symbol:         _ZL23rocblas_trmm_lTx_kernelILi16ELb1E19rocblas_complex_numIfEPKS1_KS3_KPS1_Ev13rocblas_fill_17rocblas_diagonal_iiT2_lPT3_llSB_llPT4_lli.kd
    .uniform_work_group_size: 1
    .uses_dynamic_stack: false
    .vgpr_count:     58
    .vgpr_spill_count: 0
    .wavefront_size: 64
  - .agpr_count:     0
    .args:
      - .offset:         0
        .size:           4
        .value_kind:     by_value
      - .offset:         4
        .size:           4
        .value_kind:     by_value
      - .offset:         8
        .size:           4
        .value_kind:     by_value
      - .offset:         12
        .size:           4
        .value_kind:     by_value
      - .offset:         16
        .size:           8
        .value_kind:     by_value
      - .offset:         24
        .size:           8
        .value_kind:     by_value
      - .address_space:  global
        .offset:         32
        .size:           8
        .value_kind:     global_buffer
      - .offset:         40
        .size:           8
        .value_kind:     by_value
      - .offset:         48
        .size:           8
        .value_kind:     by_value
      - .address_space:  global
        .offset:         56
        .size:           8
        .value_kind:     global_buffer
      - .offset:         64
        .size:           8
        .value_kind:     by_value
      - .offset:         72
        .size:           8
        .value_kind:     by_value
      - .address_space:  global
        .offset:         80
        .size:           8
        .value_kind:     global_buffer
      - .offset:         88
        .size:           8
        .value_kind:     by_value
      - .offset:         96
        .size:           8
        .value_kind:     by_value
      - .offset:         104
        .size:           4
        .value_kind:     by_value
    .group_segment_fixed_size: 4096
    .kernarg_segment_align: 8
    .kernarg_segment_size: 108
    .language:       OpenCL C
    .language_version:
      - 2
      - 0
    .max_flat_workgroup_size: 256
    .name:           _ZL23rocblas_trmm_lTx_kernelILi16ELb1E19rocblas_complex_numIfES1_KPKS1_KPS1_Ev13rocblas_fill_17rocblas_diagonal_iiT2_lPT3_llSB_llPT4_lli
    .private_segment_fixed_size: 0
    .sgpr_count:     42
    .sgpr_spill_count: 0
    .symbol:         _ZL23rocblas_trmm_lTx_kernelILi16ELb1E19rocblas_complex_numIfES1_KPKS1_KPS1_Ev13rocblas_fill_17rocblas_diagonal_iiT2_lPT3_llSB_llPT4_lli.kd
    .uniform_work_group_size: 1
    .uses_dynamic_stack: false
    .vgpr_count:     58
    .vgpr_spill_count: 0
    .wavefront_size: 64
  - .agpr_count:     0
    .args:
      - .offset:         0
        .size:           4
        .value_kind:     by_value
      - .offset:         4
        .size:           4
        .value_kind:     by_value
      - .offset:         8
        .size:           4
        .value_kind:     by_value
      - .offset:         12
        .size:           4
        .value_kind:     by_value
      - .address_space:  global
        .offset:         16
        .size:           8
        .value_kind:     global_buffer
      - .offset:         24
        .size:           8
        .value_kind:     by_value
      - .address_space:  global
        .offset:         32
        .size:           8
        .value_kind:     global_buffer
      - .offset:         40
        .size:           8
        .value_kind:     by_value
      - .offset:         48
        .size:           8
        .value_kind:     by_value
      - .address_space:  global
        .offset:         56
        .size:           8
        .value_kind:     global_buffer
      - .offset:         64
        .size:           8
        .value_kind:     by_value
      - .offset:         72
        .size:           8
        .value_kind:     by_value
      - .address_space:  global
        .offset:         80
        .size:           8
        .value_kind:     global_buffer
      - .offset:         88
        .size:           8
        .value_kind:     by_value
      - .offset:         96
        .size:           8
        .value_kind:     by_value
      - .offset:         104
        .size:           4
        .value_kind:     by_value
    .group_segment_fixed_size: 4096
    .kernarg_segment_align: 8
    .kernarg_segment_size: 108
    .language:       OpenCL C
    .language_version:
      - 2
      - 0
    .max_flat_workgroup_size: 256
    .name:           _ZL23rocblas_trmm_rNx_kernelILi16E19rocblas_complex_numIfEPKS1_KS3_KPS1_Ev13rocblas_fill_17rocblas_diagonal_iiT1_lPT2_llSB_llPT3_lli
    .private_segment_fixed_size: 0
    .sgpr_count:     38
    .sgpr_spill_count: 0
    .symbol:         _ZL23rocblas_trmm_rNx_kernelILi16E19rocblas_complex_numIfEPKS1_KS3_KPS1_Ev13rocblas_fill_17rocblas_diagonal_iiT1_lPT2_llSB_llPT3_lli.kd
    .uniform_work_group_size: 1
    .uses_dynamic_stack: false
    .vgpr_count:     59
    .vgpr_spill_count: 0
    .wavefront_size: 64
  - .agpr_count:     0
    .args:
      - .offset:         0
        .size:           4
        .value_kind:     by_value
      - .offset:         4
        .size:           4
        .value_kind:     by_value
      - .offset:         8
        .size:           4
        .value_kind:     by_value
      - .offset:         12
        .size:           4
        .value_kind:     by_value
      - .offset:         16
        .size:           8
        .value_kind:     by_value
      - .offset:         24
        .size:           8
        .value_kind:     by_value
      - .address_space:  global
        .offset:         32
        .size:           8
        .value_kind:     global_buffer
      - .offset:         40
        .size:           8
        .value_kind:     by_value
      - .offset:         48
        .size:           8
        .value_kind:     by_value
      - .address_space:  global
        .offset:         56
        .size:           8
        .value_kind:     global_buffer
      - .offset:         64
        .size:           8
        .value_kind:     by_value
      - .offset:         72
        .size:           8
        .value_kind:     by_value
      - .address_space:  global
        .offset:         80
        .size:           8
        .value_kind:     global_buffer
      - .offset:         88
        .size:           8
        .value_kind:     by_value
      - .offset:         96
        .size:           8
        .value_kind:     by_value
      - .offset:         104
        .size:           4
        .value_kind:     by_value
    .group_segment_fixed_size: 4096
    .kernarg_segment_align: 8
    .kernarg_segment_size: 108
    .language:       OpenCL C
    .language_version:
      - 2
      - 0
    .max_flat_workgroup_size: 256
    .name:           _ZL23rocblas_trmm_rNx_kernelILi16E19rocblas_complex_numIfES1_KPKS1_KPS1_Ev13rocblas_fill_17rocblas_diagonal_iiT1_lPT2_llSB_llPT3_lli
    .private_segment_fixed_size: 0
    .sgpr_count:     38
    .sgpr_spill_count: 0
    .symbol:         _ZL23rocblas_trmm_rNx_kernelILi16E19rocblas_complex_numIfES1_KPKS1_KPS1_Ev13rocblas_fill_17rocblas_diagonal_iiT1_lPT2_llSB_llPT3_lli.kd
    .uniform_work_group_size: 1
    .uses_dynamic_stack: false
    .vgpr_count:     59
    .vgpr_spill_count: 0
    .wavefront_size: 64
  - .agpr_count:     0
    .args:
      - .offset:         0
        .size:           4
        .value_kind:     by_value
      - .offset:         4
        .size:           4
        .value_kind:     by_value
      - .offset:         8
        .size:           4
        .value_kind:     by_value
      - .offset:         12
        .size:           4
        .value_kind:     by_value
      - .address_space:  global
        .offset:         16
        .size:           8
        .value_kind:     global_buffer
      - .offset:         24
        .size:           8
        .value_kind:     by_value
      - .address_space:  global
        .offset:         32
        .size:           8
        .value_kind:     global_buffer
      - .offset:         40
        .size:           8
        .value_kind:     by_value
      - .offset:         48
        .size:           8
        .value_kind:     by_value
      - .address_space:  global
        .offset:         56
        .size:           8
        .value_kind:     global_buffer
      - .offset:         64
        .size:           8
        .value_kind:     by_value
      - .offset:         72
        .size:           8
        .value_kind:     by_value
      - .address_space:  global
        .offset:         80
        .size:           8
        .value_kind:     global_buffer
      - .offset:         88
        .size:           8
        .value_kind:     by_value
      - .offset:         96
        .size:           8
        .value_kind:     by_value
      - .offset:         104
        .size:           4
        .value_kind:     by_value
    .group_segment_fixed_size: 4096
    .kernarg_segment_align: 8
    .kernarg_segment_size: 108
    .language:       OpenCL C
    .language_version:
      - 2
      - 0
    .max_flat_workgroup_size: 256
    .name:           _ZL23rocblas_trmm_rTx_kernelILi16ELb0E19rocblas_complex_numIfEPKS1_KS3_KPS1_Ev13rocblas_fill_17rocblas_diagonal_iiT2_lPT3_llSB_llPT4_lli
    .private_segment_fixed_size: 0
    .sgpr_count:     38
    .sgpr_spill_count: 0
    .symbol:         _ZL23rocblas_trmm_rTx_kernelILi16ELb0E19rocblas_complex_numIfEPKS1_KS3_KPS1_Ev13rocblas_fill_17rocblas_diagonal_iiT2_lPT3_llSB_llPT4_lli.kd
    .uniform_work_group_size: 1
    .uses_dynamic_stack: false
    .vgpr_count:     58
    .vgpr_spill_count: 0
    .wavefront_size: 64
  - .agpr_count:     0
    .args:
      - .offset:         0
        .size:           4
        .value_kind:     by_value
      - .offset:         4
        .size:           4
        .value_kind:     by_value
      - .offset:         8
        .size:           4
        .value_kind:     by_value
      - .offset:         12
        .size:           4
        .value_kind:     by_value
      - .offset:         16
        .size:           8
        .value_kind:     by_value
      - .offset:         24
        .size:           8
        .value_kind:     by_value
      - .address_space:  global
        .offset:         32
        .size:           8
        .value_kind:     global_buffer
      - .offset:         40
        .size:           8
        .value_kind:     by_value
      - .offset:         48
        .size:           8
        .value_kind:     by_value
      - .address_space:  global
        .offset:         56
        .size:           8
        .value_kind:     global_buffer
      - .offset:         64
        .size:           8
        .value_kind:     by_value
      - .offset:         72
        .size:           8
        .value_kind:     by_value
      - .address_space:  global
        .offset:         80
        .size:           8
        .value_kind:     global_buffer
      - .offset:         88
        .size:           8
        .value_kind:     by_value
      - .offset:         96
        .size:           8
        .value_kind:     by_value
      - .offset:         104
        .size:           4
        .value_kind:     by_value
    .group_segment_fixed_size: 4096
    .kernarg_segment_align: 8
    .kernarg_segment_size: 108
    .language:       OpenCL C
    .language_version:
      - 2
      - 0
    .max_flat_workgroup_size: 256
    .name:           _ZL23rocblas_trmm_rTx_kernelILi16ELb0E19rocblas_complex_numIfES1_KPKS1_KPS1_Ev13rocblas_fill_17rocblas_diagonal_iiT2_lPT3_llSB_llPT4_lli
    .private_segment_fixed_size: 0
    .sgpr_count:     38
    .sgpr_spill_count: 0
    .symbol:         _ZL23rocblas_trmm_rTx_kernelILi16ELb0E19rocblas_complex_numIfES1_KPKS1_KPS1_Ev13rocblas_fill_17rocblas_diagonal_iiT2_lPT3_llSB_llPT4_lli.kd
    .uniform_work_group_size: 1
    .uses_dynamic_stack: false
    .vgpr_count:     58
    .vgpr_spill_count: 0
    .wavefront_size: 64
  - .agpr_count:     0
    .args:
      - .offset:         0
        .size:           4
        .value_kind:     by_value
      - .offset:         4
        .size:           4
        .value_kind:     by_value
      - .offset:         8
        .size:           4
        .value_kind:     by_value
      - .offset:         12
        .size:           4
        .value_kind:     by_value
      - .address_space:  global
        .offset:         16
        .size:           8
        .value_kind:     global_buffer
      - .offset:         24
        .size:           8
        .value_kind:     by_value
      - .address_space:  global
        .offset:         32
        .size:           8
        .value_kind:     global_buffer
      - .offset:         40
        .size:           8
        .value_kind:     by_value
      - .offset:         48
        .size:           8
        .value_kind:     by_value
      - .address_space:  global
        .offset:         56
        .size:           8
        .value_kind:     global_buffer
      - .offset:         64
        .size:           8
        .value_kind:     by_value
      - .offset:         72
        .size:           8
        .value_kind:     by_value
      - .address_space:  global
        .offset:         80
        .size:           8
        .value_kind:     global_buffer
      - .offset:         88
        .size:           8
        .value_kind:     by_value
      - .offset:         96
        .size:           8
        .value_kind:     by_value
      - .offset:         104
        .size:           4
        .value_kind:     by_value
    .group_segment_fixed_size: 4096
    .kernarg_segment_align: 8
    .kernarg_segment_size: 108
    .language:       OpenCL C
    .language_version:
      - 2
      - 0
    .max_flat_workgroup_size: 256
    .name:           _ZL23rocblas_trmm_rTx_kernelILi16ELb1E19rocblas_complex_numIfEPKS1_KS3_KPS1_Ev13rocblas_fill_17rocblas_diagonal_iiT2_lPT3_llSB_llPT4_lli
    .private_segment_fixed_size: 0
    .sgpr_count:     38
    .sgpr_spill_count: 0
    .symbol:         _ZL23rocblas_trmm_rTx_kernelILi16ELb1E19rocblas_complex_numIfEPKS1_KS3_KPS1_Ev13rocblas_fill_17rocblas_diagonal_iiT2_lPT3_llSB_llPT4_lli.kd
    .uniform_work_group_size: 1
    .uses_dynamic_stack: false
    .vgpr_count:     58
    .vgpr_spill_count: 0
    .wavefront_size: 64
  - .agpr_count:     0
    .args:
      - .offset:         0
        .size:           4
        .value_kind:     by_value
      - .offset:         4
        .size:           4
        .value_kind:     by_value
      - .offset:         8
        .size:           4
        .value_kind:     by_value
      - .offset:         12
        .size:           4
        .value_kind:     by_value
      - .offset:         16
        .size:           8
        .value_kind:     by_value
      - .offset:         24
        .size:           8
        .value_kind:     by_value
      - .address_space:  global
        .offset:         32
        .size:           8
        .value_kind:     global_buffer
      - .offset:         40
        .size:           8
        .value_kind:     by_value
      - .offset:         48
        .size:           8
        .value_kind:     by_value
      - .address_space:  global
        .offset:         56
        .size:           8
        .value_kind:     global_buffer
      - .offset:         64
        .size:           8
        .value_kind:     by_value
      - .offset:         72
        .size:           8
        .value_kind:     by_value
      - .address_space:  global
        .offset:         80
        .size:           8
        .value_kind:     global_buffer
      - .offset:         88
        .size:           8
        .value_kind:     by_value
      - .offset:         96
        .size:           8
        .value_kind:     by_value
      - .offset:         104
        .size:           4
        .value_kind:     by_value
    .group_segment_fixed_size: 4096
    .kernarg_segment_align: 8
    .kernarg_segment_size: 108
    .language:       OpenCL C
    .language_version:
      - 2
      - 0
    .max_flat_workgroup_size: 256
    .name:           _ZL23rocblas_trmm_rTx_kernelILi16ELb1E19rocblas_complex_numIfES1_KPKS1_KPS1_Ev13rocblas_fill_17rocblas_diagonal_iiT2_lPT3_llSB_llPT4_lli
    .private_segment_fixed_size: 0
    .sgpr_count:     38
    .sgpr_spill_count: 0
    .symbol:         _ZL23rocblas_trmm_rTx_kernelILi16ELb1E19rocblas_complex_numIfES1_KPKS1_KPS1_Ev13rocblas_fill_17rocblas_diagonal_iiT2_lPT3_llSB_llPT4_lli.kd
    .uniform_work_group_size: 1
    .uses_dynamic_stack: false
    .vgpr_count:     58
    .vgpr_spill_count: 0
    .wavefront_size: 64
  - .agpr_count:     0
    .args:
      - .offset:         0
        .size:           4
        .value_kind:     by_value
      - .offset:         4
        .size:           4
        .value_kind:     by_value
      - .offset:         8
        .size:           4
        .value_kind:     by_value
      - .offset:         12
        .size:           4
        .value_kind:     by_value
      - .address_space:  global
        .offset:         16
        .size:           8
        .value_kind:     global_buffer
      - .offset:         24
        .size:           8
        .value_kind:     by_value
      - .address_space:  global
        .offset:         32
        .size:           8
        .value_kind:     global_buffer
      - .offset:         40
        .size:           8
        .value_kind:     by_value
      - .offset:         48
        .size:           8
        .value_kind:     by_value
      - .address_space:  global
        .offset:         56
        .size:           8
        .value_kind:     global_buffer
      - .offset:         64
        .size:           8
        .value_kind:     by_value
      - .offset:         72
        .size:           8
        .value_kind:     by_value
      - .address_space:  global
        .offset:         80
        .size:           8
        .value_kind:     global_buffer
      - .offset:         88
        .size:           8
        .value_kind:     by_value
      - .offset:         96
        .size:           8
        .value_kind:     by_value
      - .offset:         104
        .size:           4
        .value_kind:     by_value
    .group_segment_fixed_size: 8192
    .kernarg_segment_align: 8
    .kernarg_segment_size: 108
    .language:       OpenCL C
    .language_version:
      - 2
      - 0
    .max_flat_workgroup_size: 256
    .name:           _ZL23rocblas_trmm_lNx_kernelILi16E19rocblas_complex_numIdEPKS1_KS3_KPS1_Ev13rocblas_fill_17rocblas_diagonal_iiT1_lPT2_llSB_llPT3_lli
    .private_segment_fixed_size: 0
    .sgpr_count:     44
    .sgpr_spill_count: 0
    .symbol:         _ZL23rocblas_trmm_lNx_kernelILi16E19rocblas_complex_numIdEPKS1_KS3_KPS1_Ev13rocblas_fill_17rocblas_diagonal_iiT1_lPT2_llSB_llPT3_lli.kd
    .uniform_work_group_size: 1
    .uses_dynamic_stack: false
    .vgpr_count:     76
    .vgpr_spill_count: 0
    .wavefront_size: 64
  - .agpr_count:     0
    .args:
      - .offset:         0
        .size:           4
        .value_kind:     by_value
      - .offset:         4
        .size:           4
        .value_kind:     by_value
      - .offset:         8
        .size:           4
        .value_kind:     by_value
      - .offset:         12
        .size:           4
        .value_kind:     by_value
      - .offset:         16
        .size:           16
        .value_kind:     by_value
      - .offset:         32
        .size:           8
        .value_kind:     by_value
      - .address_space:  global
        .offset:         40
        .size:           8
        .value_kind:     global_buffer
      - .offset:         48
        .size:           8
        .value_kind:     by_value
      - .offset:         56
        .size:           8
        .value_kind:     by_value
      - .address_space:  global
        .offset:         64
        .size:           8
        .value_kind:     global_buffer
      - .offset:         72
        .size:           8
        .value_kind:     by_value
      - .offset:         80
        .size:           8
        .value_kind:     by_value
      - .address_space:  global
        .offset:         88
        .size:           8
        .value_kind:     global_buffer
      - .offset:         96
        .size:           8
        .value_kind:     by_value
      - .offset:         104
        .size:           8
        .value_kind:     by_value
      - .offset:         112
        .size:           4
        .value_kind:     by_value
    .group_segment_fixed_size: 8192
    .kernarg_segment_align: 8
    .kernarg_segment_size: 116
    .language:       OpenCL C
    .language_version:
      - 2
      - 0
    .max_flat_workgroup_size: 256
    .name:           _ZL23rocblas_trmm_lNx_kernelILi16E19rocblas_complex_numIdES1_KPKS1_KPS1_Ev13rocblas_fill_17rocblas_diagonal_iiT1_lPT2_llSB_llPT3_lli
    .private_segment_fixed_size: 0
    .sgpr_count:     44
    .sgpr_spill_count: 0
    .symbol:         _ZL23rocblas_trmm_lNx_kernelILi16E19rocblas_complex_numIdES1_KPKS1_KPS1_Ev13rocblas_fill_17rocblas_diagonal_iiT1_lPT2_llSB_llPT3_lli.kd
    .uniform_work_group_size: 1
    .uses_dynamic_stack: false
    .vgpr_count:     76
    .vgpr_spill_count: 0
    .wavefront_size: 64
  - .agpr_count:     0
    .args:
      - .offset:         0
        .size:           4
        .value_kind:     by_value
      - .offset:         4
        .size:           4
        .value_kind:     by_value
      - .offset:         8
        .size:           4
        .value_kind:     by_value
      - .offset:         12
        .size:           4
        .value_kind:     by_value
      - .address_space:  global
        .offset:         16
        .size:           8
        .value_kind:     global_buffer
      - .offset:         24
        .size:           8
        .value_kind:     by_value
      - .address_space:  global
        .offset:         32
        .size:           8
        .value_kind:     global_buffer
      - .offset:         40
        .size:           8
        .value_kind:     by_value
      - .offset:         48
        .size:           8
        .value_kind:     by_value
      - .address_space:  global
        .offset:         56
        .size:           8
        .value_kind:     global_buffer
      - .offset:         64
        .size:           8
        .value_kind:     by_value
      - .offset:         72
        .size:           8
        .value_kind:     by_value
      - .address_space:  global
        .offset:         80
        .size:           8
        .value_kind:     global_buffer
      - .offset:         88
        .size:           8
        .value_kind:     by_value
      - .offset:         96
        .size:           8
        .value_kind:     by_value
      - .offset:         104
        .size:           4
        .value_kind:     by_value
    .group_segment_fixed_size: 8192
    .kernarg_segment_align: 8
    .kernarg_segment_size: 108
    .language:       OpenCL C
    .language_version:
      - 2
      - 0
    .max_flat_workgroup_size: 256
    .name:           _ZL23rocblas_trmm_lTx_kernelILi16ELb0E19rocblas_complex_numIdEPKS1_KS3_KPS1_Ev13rocblas_fill_17rocblas_diagonal_iiT2_lPT3_llSB_llPT4_lli
    .private_segment_fixed_size: 0
    .sgpr_count:     42
    .sgpr_spill_count: 0
    .symbol:         _ZL23rocblas_trmm_lTx_kernelILi16ELb0E19rocblas_complex_numIdEPKS1_KS3_KPS1_Ev13rocblas_fill_17rocblas_diagonal_iiT2_lPT3_llSB_llPT4_lli.kd
    .uniform_work_group_size: 1
    .uses_dynamic_stack: false
    .vgpr_count:     76
    .vgpr_spill_count: 0
    .wavefront_size: 64
  - .agpr_count:     0
    .args:
      - .offset:         0
        .size:           4
        .value_kind:     by_value
      - .offset:         4
        .size:           4
        .value_kind:     by_value
      - .offset:         8
        .size:           4
        .value_kind:     by_value
      - .offset:         12
        .size:           4
        .value_kind:     by_value
      - .offset:         16
        .size:           16
        .value_kind:     by_value
      - .offset:         32
        .size:           8
        .value_kind:     by_value
      - .address_space:  global
        .offset:         40
        .size:           8
        .value_kind:     global_buffer
      - .offset:         48
        .size:           8
        .value_kind:     by_value
      - .offset:         56
        .size:           8
        .value_kind:     by_value
      - .address_space:  global
        .offset:         64
        .size:           8
        .value_kind:     global_buffer
      - .offset:         72
        .size:           8
        .value_kind:     by_value
      - .offset:         80
        .size:           8
        .value_kind:     by_value
      - .address_space:  global
        .offset:         88
        .size:           8
        .value_kind:     global_buffer
      - .offset:         96
        .size:           8
        .value_kind:     by_value
      - .offset:         104
        .size:           8
        .value_kind:     by_value
      - .offset:         112
        .size:           4
        .value_kind:     by_value
    .group_segment_fixed_size: 8192
    .kernarg_segment_align: 8
    .kernarg_segment_size: 116
    .language:       OpenCL C
    .language_version:
      - 2
      - 0
    .max_flat_workgroup_size: 256
    .name:           _ZL23rocblas_trmm_lTx_kernelILi16ELb0E19rocblas_complex_numIdES1_KPKS1_KPS1_Ev13rocblas_fill_17rocblas_diagonal_iiT2_lPT3_llSB_llPT4_lli
    .private_segment_fixed_size: 0
    .sgpr_count:     44
    .sgpr_spill_count: 0
    .symbol:         _ZL23rocblas_trmm_lTx_kernelILi16ELb0E19rocblas_complex_numIdES1_KPKS1_KPS1_Ev13rocblas_fill_17rocblas_diagonal_iiT2_lPT3_llSB_llPT4_lli.kd
    .uniform_work_group_size: 1
    .uses_dynamic_stack: false
    .vgpr_count:     76
    .vgpr_spill_count: 0
    .wavefront_size: 64
  - .agpr_count:     0
    .args:
      - .offset:         0
        .size:           4
        .value_kind:     by_value
      - .offset:         4
        .size:           4
        .value_kind:     by_value
      - .offset:         8
        .size:           4
        .value_kind:     by_value
      - .offset:         12
        .size:           4
        .value_kind:     by_value
      - .address_space:  global
        .offset:         16
        .size:           8
        .value_kind:     global_buffer
      - .offset:         24
        .size:           8
        .value_kind:     by_value
      - .address_space:  global
        .offset:         32
        .size:           8
        .value_kind:     global_buffer
      - .offset:         40
        .size:           8
        .value_kind:     by_value
      - .offset:         48
        .size:           8
        .value_kind:     by_value
      - .address_space:  global
        .offset:         56
        .size:           8
        .value_kind:     global_buffer
      - .offset:         64
        .size:           8
        .value_kind:     by_value
      - .offset:         72
        .size:           8
        .value_kind:     by_value
      - .address_space:  global
        .offset:         80
        .size:           8
        .value_kind:     global_buffer
      - .offset:         88
        .size:           8
        .value_kind:     by_value
      - .offset:         96
        .size:           8
        .value_kind:     by_value
      - .offset:         104
        .size:           4
        .value_kind:     by_value
    .group_segment_fixed_size: 8192
    .kernarg_segment_align: 8
    .kernarg_segment_size: 108
    .language:       OpenCL C
    .language_version:
      - 2
      - 0
    .max_flat_workgroup_size: 256
    .name:           _ZL23rocblas_trmm_lTx_kernelILi16ELb1E19rocblas_complex_numIdEPKS1_KS3_KPS1_Ev13rocblas_fill_17rocblas_diagonal_iiT2_lPT3_llSB_llPT4_lli
    .private_segment_fixed_size: 0
    .sgpr_count:     42
    .sgpr_spill_count: 0
    .symbol:         _ZL23rocblas_trmm_lTx_kernelILi16ELb1E19rocblas_complex_numIdEPKS1_KS3_KPS1_Ev13rocblas_fill_17rocblas_diagonal_iiT2_lPT3_llSB_llPT4_lli.kd
    .uniform_work_group_size: 1
    .uses_dynamic_stack: false
    .vgpr_count:     76
    .vgpr_spill_count: 0
    .wavefront_size: 64
  - .agpr_count:     0
    .args:
      - .offset:         0
        .size:           4
        .value_kind:     by_value
      - .offset:         4
        .size:           4
        .value_kind:     by_value
      - .offset:         8
        .size:           4
        .value_kind:     by_value
      - .offset:         12
        .size:           4
        .value_kind:     by_value
      - .offset:         16
        .size:           16
        .value_kind:     by_value
      - .offset:         32
        .size:           8
        .value_kind:     by_value
      - .address_space:  global
        .offset:         40
        .size:           8
        .value_kind:     global_buffer
      - .offset:         48
        .size:           8
        .value_kind:     by_value
      - .offset:         56
        .size:           8
        .value_kind:     by_value
      - .address_space:  global
        .offset:         64
        .size:           8
        .value_kind:     global_buffer
      - .offset:         72
        .size:           8
        .value_kind:     by_value
      - .offset:         80
        .size:           8
        .value_kind:     by_value
      - .address_space:  global
        .offset:         88
        .size:           8
        .value_kind:     global_buffer
      - .offset:         96
        .size:           8
        .value_kind:     by_value
      - .offset:         104
        .size:           8
        .value_kind:     by_value
      - .offset:         112
        .size:           4
        .value_kind:     by_value
    .group_segment_fixed_size: 8192
    .kernarg_segment_align: 8
    .kernarg_segment_size: 116
    .language:       OpenCL C
    .language_version:
      - 2
      - 0
    .max_flat_workgroup_size: 256
    .name:           _ZL23rocblas_trmm_lTx_kernelILi16ELb1E19rocblas_complex_numIdES1_KPKS1_KPS1_Ev13rocblas_fill_17rocblas_diagonal_iiT2_lPT3_llSB_llPT4_lli
    .private_segment_fixed_size: 0
    .sgpr_count:     44
    .sgpr_spill_count: 0
    .symbol:         _ZL23rocblas_trmm_lTx_kernelILi16ELb1E19rocblas_complex_numIdES1_KPKS1_KPS1_Ev13rocblas_fill_17rocblas_diagonal_iiT2_lPT3_llSB_llPT4_lli.kd
    .uniform_work_group_size: 1
    .uses_dynamic_stack: false
    .vgpr_count:     76
    .vgpr_spill_count: 0
    .wavefront_size: 64
  - .agpr_count:     0
    .args:
      - .offset:         0
        .size:           4
        .value_kind:     by_value
      - .offset:         4
        .size:           4
        .value_kind:     by_value
      - .offset:         8
        .size:           4
        .value_kind:     by_value
      - .offset:         12
        .size:           4
        .value_kind:     by_value
      - .address_space:  global
        .offset:         16
        .size:           8
        .value_kind:     global_buffer
      - .offset:         24
        .size:           8
        .value_kind:     by_value
      - .address_space:  global
        .offset:         32
        .size:           8
        .value_kind:     global_buffer
      - .offset:         40
        .size:           8
        .value_kind:     by_value
      - .offset:         48
        .size:           8
        .value_kind:     by_value
      - .address_space:  global
        .offset:         56
        .size:           8
        .value_kind:     global_buffer
      - .offset:         64
        .size:           8
        .value_kind:     by_value
      - .offset:         72
        .size:           8
        .value_kind:     by_value
      - .address_space:  global
        .offset:         80
        .size:           8
        .value_kind:     global_buffer
      - .offset:         88
        .size:           8
        .value_kind:     by_value
      - .offset:         96
        .size:           8
        .value_kind:     by_value
      - .offset:         104
        .size:           4
        .value_kind:     by_value
    .group_segment_fixed_size: 8192
    .kernarg_segment_align: 8
    .kernarg_segment_size: 108
    .language:       OpenCL C
    .language_version:
      - 2
      - 0
    .max_flat_workgroup_size: 256
    .name:           _ZL23rocblas_trmm_rNx_kernelILi16E19rocblas_complex_numIdEPKS1_KS3_KPS1_Ev13rocblas_fill_17rocblas_diagonal_iiT1_lPT2_llSB_llPT3_lli
    .private_segment_fixed_size: 0
    .sgpr_count:     44
    .sgpr_spill_count: 0
    .symbol:         _ZL23rocblas_trmm_rNx_kernelILi16E19rocblas_complex_numIdEPKS1_KS3_KPS1_Ev13rocblas_fill_17rocblas_diagonal_iiT1_lPT2_llSB_llPT3_lli.kd
    .uniform_work_group_size: 1
    .uses_dynamic_stack: false
    .vgpr_count:     76
    .vgpr_spill_count: 0
    .wavefront_size: 64
  - .agpr_count:     0
    .args:
      - .offset:         0
        .size:           4
        .value_kind:     by_value
      - .offset:         4
        .size:           4
        .value_kind:     by_value
      - .offset:         8
        .size:           4
        .value_kind:     by_value
      - .offset:         12
        .size:           4
        .value_kind:     by_value
      - .offset:         16
        .size:           16
        .value_kind:     by_value
      - .offset:         32
        .size:           8
        .value_kind:     by_value
      - .address_space:  global
        .offset:         40
        .size:           8
        .value_kind:     global_buffer
      - .offset:         48
        .size:           8
        .value_kind:     by_value
      - .offset:         56
        .size:           8
        .value_kind:     by_value
      - .address_space:  global
        .offset:         64
        .size:           8
        .value_kind:     global_buffer
      - .offset:         72
        .size:           8
        .value_kind:     by_value
      - .offset:         80
        .size:           8
        .value_kind:     by_value
      - .address_space:  global
        .offset:         88
        .size:           8
        .value_kind:     global_buffer
      - .offset:         96
        .size:           8
        .value_kind:     by_value
      - .offset:         104
        .size:           8
        .value_kind:     by_value
      - .offset:         112
        .size:           4
        .value_kind:     by_value
    .group_segment_fixed_size: 8192
    .kernarg_segment_align: 8
    .kernarg_segment_size: 116
    .language:       OpenCL C
    .language_version:
      - 2
      - 0
    .max_flat_workgroup_size: 256
    .name:           _ZL23rocblas_trmm_rNx_kernelILi16E19rocblas_complex_numIdES1_KPKS1_KPS1_Ev13rocblas_fill_17rocblas_diagonal_iiT1_lPT2_llSB_llPT3_lli
    .private_segment_fixed_size: 0
    .sgpr_count:     44
    .sgpr_spill_count: 0
    .symbol:         _ZL23rocblas_trmm_rNx_kernelILi16E19rocblas_complex_numIdES1_KPKS1_KPS1_Ev13rocblas_fill_17rocblas_diagonal_iiT1_lPT2_llSB_llPT3_lli.kd
    .uniform_work_group_size: 1
    .uses_dynamic_stack: false
    .vgpr_count:     76
    .vgpr_spill_count: 0
    .wavefront_size: 64
  - .agpr_count:     0
    .args:
      - .offset:         0
        .size:           4
        .value_kind:     by_value
      - .offset:         4
        .size:           4
        .value_kind:     by_value
      - .offset:         8
        .size:           4
        .value_kind:     by_value
      - .offset:         12
        .size:           4
        .value_kind:     by_value
      - .address_space:  global
        .offset:         16
        .size:           8
        .value_kind:     global_buffer
      - .offset:         24
        .size:           8
        .value_kind:     by_value
      - .address_space:  global
        .offset:         32
        .size:           8
        .value_kind:     global_buffer
      - .offset:         40
        .size:           8
        .value_kind:     by_value
      - .offset:         48
        .size:           8
        .value_kind:     by_value
      - .address_space:  global
        .offset:         56
        .size:           8
        .value_kind:     global_buffer
      - .offset:         64
        .size:           8
        .value_kind:     by_value
      - .offset:         72
        .size:           8
        .value_kind:     by_value
      - .address_space:  global
        .offset:         80
        .size:           8
        .value_kind:     global_buffer
      - .offset:         88
        .size:           8
        .value_kind:     by_value
      - .offset:         96
        .size:           8
        .value_kind:     by_value
      - .offset:         104
        .size:           4
        .value_kind:     by_value
    .group_segment_fixed_size: 8192
    .kernarg_segment_align: 8
    .kernarg_segment_size: 108
    .language:       OpenCL C
    .language_version:
      - 2
      - 0
    .max_flat_workgroup_size: 256
    .name:           _ZL23rocblas_trmm_rTx_kernelILi16ELb0E19rocblas_complex_numIdEPKS1_KS3_KPS1_Ev13rocblas_fill_17rocblas_diagonal_iiT2_lPT3_llSB_llPT4_lli
    .private_segment_fixed_size: 0
    .sgpr_count:     44
    .sgpr_spill_count: 0
    .symbol:         _ZL23rocblas_trmm_rTx_kernelILi16ELb0E19rocblas_complex_numIdEPKS1_KS3_KPS1_Ev13rocblas_fill_17rocblas_diagonal_iiT2_lPT3_llSB_llPT4_lli.kd
    .uniform_work_group_size: 1
    .uses_dynamic_stack: false
    .vgpr_count:     76
    .vgpr_spill_count: 0
    .wavefront_size: 64
  - .agpr_count:     0
    .args:
      - .offset:         0
        .size:           4
        .value_kind:     by_value
      - .offset:         4
        .size:           4
        .value_kind:     by_value
      - .offset:         8
        .size:           4
        .value_kind:     by_value
      - .offset:         12
        .size:           4
        .value_kind:     by_value
      - .offset:         16
        .size:           16
        .value_kind:     by_value
      - .offset:         32
        .size:           8
        .value_kind:     by_value
      - .address_space:  global
        .offset:         40
        .size:           8
        .value_kind:     global_buffer
      - .offset:         48
        .size:           8
        .value_kind:     by_value
      - .offset:         56
        .size:           8
        .value_kind:     by_value
      - .address_space:  global
        .offset:         64
        .size:           8
        .value_kind:     global_buffer
      - .offset:         72
        .size:           8
        .value_kind:     by_value
      - .offset:         80
        .size:           8
        .value_kind:     by_value
      - .address_space:  global
        .offset:         88
        .size:           8
        .value_kind:     global_buffer
      - .offset:         96
        .size:           8
        .value_kind:     by_value
      - .offset:         104
        .size:           8
        .value_kind:     by_value
      - .offset:         112
        .size:           4
        .value_kind:     by_value
    .group_segment_fixed_size: 8192
    .kernarg_segment_align: 8
    .kernarg_segment_size: 116
    .language:       OpenCL C
    .language_version:
      - 2
      - 0
    .max_flat_workgroup_size: 256
    .name:           _ZL23rocblas_trmm_rTx_kernelILi16ELb0E19rocblas_complex_numIdES1_KPKS1_KPS1_Ev13rocblas_fill_17rocblas_diagonal_iiT2_lPT3_llSB_llPT4_lli
    .private_segment_fixed_size: 0
    .sgpr_count:     44
    .sgpr_spill_count: 0
    .symbol:         _ZL23rocblas_trmm_rTx_kernelILi16ELb0E19rocblas_complex_numIdES1_KPKS1_KPS1_Ev13rocblas_fill_17rocblas_diagonal_iiT2_lPT3_llSB_llPT4_lli.kd
    .uniform_work_group_size: 1
    .uses_dynamic_stack: false
    .vgpr_count:     76
    .vgpr_spill_count: 0
    .wavefront_size: 64
  - .agpr_count:     0
    .args:
      - .offset:         0
        .size:           4
        .value_kind:     by_value
      - .offset:         4
        .size:           4
        .value_kind:     by_value
      - .offset:         8
        .size:           4
        .value_kind:     by_value
      - .offset:         12
        .size:           4
        .value_kind:     by_value
      - .address_space:  global
        .offset:         16
        .size:           8
        .value_kind:     global_buffer
      - .offset:         24
        .size:           8
        .value_kind:     by_value
      - .address_space:  global
        .offset:         32
        .size:           8
        .value_kind:     global_buffer
      - .offset:         40
        .size:           8
        .value_kind:     by_value
      - .offset:         48
        .size:           8
        .value_kind:     by_value
      - .address_space:  global
        .offset:         56
        .size:           8
        .value_kind:     global_buffer
      - .offset:         64
        .size:           8
        .value_kind:     by_value
      - .offset:         72
        .size:           8
        .value_kind:     by_value
      - .address_space:  global
        .offset:         80
        .size:           8
        .value_kind:     global_buffer
      - .offset:         88
        .size:           8
        .value_kind:     by_value
      - .offset:         96
        .size:           8
        .value_kind:     by_value
      - .offset:         104
        .size:           4
        .value_kind:     by_value
    .group_segment_fixed_size: 8192
    .kernarg_segment_align: 8
    .kernarg_segment_size: 108
    .language:       OpenCL C
    .language_version:
      - 2
      - 0
    .max_flat_workgroup_size: 256
    .name:           _ZL23rocblas_trmm_rTx_kernelILi16ELb1E19rocblas_complex_numIdEPKS1_KS3_KPS1_Ev13rocblas_fill_17rocblas_diagonal_iiT2_lPT3_llSB_llPT4_lli
    .private_segment_fixed_size: 0
    .sgpr_count:     44
    .sgpr_spill_count: 0
    .symbol:         _ZL23rocblas_trmm_rTx_kernelILi16ELb1E19rocblas_complex_numIdEPKS1_KS3_KPS1_Ev13rocblas_fill_17rocblas_diagonal_iiT2_lPT3_llSB_llPT4_lli.kd
    .uniform_work_group_size: 1
    .uses_dynamic_stack: false
    .vgpr_count:     76
    .vgpr_spill_count: 0
    .wavefront_size: 64
  - .agpr_count:     0
    .args:
      - .offset:         0
        .size:           4
        .value_kind:     by_value
      - .offset:         4
        .size:           4
        .value_kind:     by_value
      - .offset:         8
        .size:           4
        .value_kind:     by_value
      - .offset:         12
        .size:           4
        .value_kind:     by_value
      - .offset:         16
        .size:           16
        .value_kind:     by_value
      - .offset:         32
        .size:           8
        .value_kind:     by_value
      - .address_space:  global
        .offset:         40
        .size:           8
        .value_kind:     global_buffer
      - .offset:         48
        .size:           8
        .value_kind:     by_value
      - .offset:         56
        .size:           8
        .value_kind:     by_value
      - .address_space:  global
        .offset:         64
        .size:           8
        .value_kind:     global_buffer
      - .offset:         72
        .size:           8
        .value_kind:     by_value
      - .offset:         80
        .size:           8
        .value_kind:     by_value
      - .address_space:  global
        .offset:         88
        .size:           8
        .value_kind:     global_buffer
      - .offset:         96
        .size:           8
        .value_kind:     by_value
      - .offset:         104
        .size:           8
        .value_kind:     by_value
      - .offset:         112
        .size:           4
        .value_kind:     by_value
    .group_segment_fixed_size: 8192
    .kernarg_segment_align: 8
    .kernarg_segment_size: 116
    .language:       OpenCL C
    .language_version:
      - 2
      - 0
    .max_flat_workgroup_size: 256
    .name:           _ZL23rocblas_trmm_rTx_kernelILi16ELb1E19rocblas_complex_numIdES1_KPKS1_KPS1_Ev13rocblas_fill_17rocblas_diagonal_iiT2_lPT3_llSB_llPT4_lli
    .private_segment_fixed_size: 0
    .sgpr_count:     44
    .sgpr_spill_count: 0
    .symbol:         _ZL23rocblas_trmm_rTx_kernelILi16ELb1E19rocblas_complex_numIdES1_KPKS1_KPS1_Ev13rocblas_fill_17rocblas_diagonal_iiT2_lPT3_llSB_llPT4_lli.kd
    .uniform_work_group_size: 1
    .uses_dynamic_stack: false
    .vgpr_count:     76
    .vgpr_spill_count: 0
    .wavefront_size: 64
  - .agpr_count:     0
    .args:
      - .offset:         0
        .size:           4
        .value_kind:     by_value
      - .offset:         4
        .size:           4
        .value_kind:     by_value
      - .address_space:  global
        .offset:         8
        .size:           8
        .value_kind:     global_buffer
      - .offset:         16
        .size:           8
        .value_kind:     by_value
      - .address_space:  global
        .offset:         24
        .size:           8
        .value_kind:     global_buffer
      - .offset:         32
        .size:           8
        .value_kind:     by_value
      - .offset:         40
        .size:           8
        .value_kind:     by_value
      - .offset:         48
        .size:           4
        .value_kind:     by_value
      - .offset:         56
        .size:           4
        .value_kind:     hidden_block_count_x
      - .offset:         60
        .size:           4
        .value_kind:     hidden_block_count_y
      - .offset:         64
        .size:           4
        .value_kind:     hidden_block_count_z
      - .offset:         68
        .size:           2
        .value_kind:     hidden_group_size_x
      - .offset:         70
        .size:           2
        .value_kind:     hidden_group_size_y
      - .offset:         72
        .size:           2
        .value_kind:     hidden_group_size_z
      - .offset:         74
        .size:           2
        .value_kind:     hidden_remainder_x
      - .offset:         76
        .size:           2
        .value_kind:     hidden_remainder_y
      - .offset:         78
        .size:           2
        .value_kind:     hidden_remainder_z
      - .offset:         96
        .size:           8
        .value_kind:     hidden_global_offset_x
      - .offset:         104
        .size:           8
        .value_kind:     hidden_global_offset_y
      - .offset:         112
        .size:           8
        .value_kind:     hidden_global_offset_z
      - .offset:         120
        .size:           2
        .value_kind:     hidden_grid_dims
    .group_segment_fixed_size: 0
    .kernarg_segment_align: 8
    .kernarg_segment_size: 312
    .language:       OpenCL C
    .language_version:
      - 2
      - 0
    .max_flat_workgroup_size: 256
    .name:           _ZL44rocblas_set_matrix_zero_if_alpha_zero_kernelILi16ELi16EPKfPKPfEviiT1_lT2_lli
    .private_segment_fixed_size: 0
    .sgpr_count:     28
    .sgpr_spill_count: 0
    .symbol:         _ZL44rocblas_set_matrix_zero_if_alpha_zero_kernelILi16ELi16EPKfPKPfEviiT1_lT2_lli.kd
    .uniform_work_group_size: 1
    .uses_dynamic_stack: false
    .vgpr_count:     25
    .vgpr_spill_count: 0
    .wavefront_size: 64
  - .agpr_count:     0
    .args:
      - .offset:         0
        .size:           4
        .value_kind:     by_value
      - .offset:         4
        .size:           4
        .value_kind:     by_value
      - .offset:         8
        .size:           4
        .value_kind:     by_value
      - .offset:         16
        .size:           8
        .value_kind:     by_value
      - .address_space:  global
        .offset:         24
        .size:           8
        .value_kind:     global_buffer
      - .offset:         32
        .size:           8
        .value_kind:     by_value
      - .offset:         40
        .size:           8
        .value_kind:     by_value
      - .offset:         48
        .size:           4
        .value_kind:     by_value
      - .offset:         56
        .size:           4
        .value_kind:     hidden_block_count_x
      - .offset:         60
        .size:           4
        .value_kind:     hidden_block_count_y
      - .offset:         64
        .size:           4
        .value_kind:     hidden_block_count_z
      - .offset:         68
        .size:           2
        .value_kind:     hidden_group_size_x
      - .offset:         70
        .size:           2
        .value_kind:     hidden_group_size_y
      - .offset:         72
        .size:           2
        .value_kind:     hidden_group_size_z
      - .offset:         74
        .size:           2
        .value_kind:     hidden_remainder_x
      - .offset:         76
        .size:           2
        .value_kind:     hidden_remainder_y
      - .offset:         78
        .size:           2
        .value_kind:     hidden_remainder_z
      - .offset:         96
        .size:           8
        .value_kind:     hidden_global_offset_x
      - .offset:         104
        .size:           8
        .value_kind:     hidden_global_offset_y
      - .offset:         112
        .size:           8
        .value_kind:     hidden_global_offset_z
      - .offset:         120
        .size:           2
        .value_kind:     hidden_grid_dims
    .group_segment_fixed_size: 0
    .kernarg_segment_align: 8
    .kernarg_segment_size: 312
    .language:       OpenCL C
    .language_version:
      - 2
      - 0
    .max_flat_workgroup_size: 256
    .name:           _ZL44rocblas_set_matrix_zero_if_alpha_zero_kernelILi16ELi16EfPKPfEviiT1_lT2_lli
    .private_segment_fixed_size: 0
    .sgpr_count:     28
    .sgpr_spill_count: 0
    .symbol:         _ZL44rocblas_set_matrix_zero_if_alpha_zero_kernelILi16ELi16EfPKPfEviiT1_lT2_lli.kd
    .uniform_work_group_size: 1
    .uses_dynamic_stack: false
    .vgpr_count:     25
    .vgpr_spill_count: 0
    .wavefront_size: 64
  - .agpr_count:     0
    .args:
      - .offset:         0
        .size:           4
        .value_kind:     by_value
      - .offset:         4
        .size:           4
        .value_kind:     by_value
      - .address_space:  global
        .offset:         8
        .size:           8
        .value_kind:     global_buffer
      - .offset:         16
        .size:           8
        .value_kind:     by_value
      - .address_space:  global
        .offset:         24
        .size:           8
        .value_kind:     global_buffer
      - .offset:         32
        .size:           8
        .value_kind:     by_value
      - .offset:         40
        .size:           8
        .value_kind:     by_value
      - .offset:         48
        .size:           4
        .value_kind:     by_value
      - .offset:         56
        .size:           4
        .value_kind:     hidden_block_count_x
      - .offset:         60
        .size:           4
        .value_kind:     hidden_block_count_y
      - .offset:         64
        .size:           4
        .value_kind:     hidden_block_count_z
      - .offset:         68
        .size:           2
        .value_kind:     hidden_group_size_x
      - .offset:         70
        .size:           2
        .value_kind:     hidden_group_size_y
      - .offset:         72
        .size:           2
        .value_kind:     hidden_group_size_z
      - .offset:         74
        .size:           2
        .value_kind:     hidden_remainder_x
      - .offset:         76
        .size:           2
        .value_kind:     hidden_remainder_y
      - .offset:         78
        .size:           2
        .value_kind:     hidden_remainder_z
      - .offset:         96
        .size:           8
        .value_kind:     hidden_global_offset_x
      - .offset:         104
        .size:           8
        .value_kind:     hidden_global_offset_y
      - .offset:         112
        .size:           8
        .value_kind:     hidden_global_offset_z
      - .offset:         120
        .size:           2
        .value_kind:     hidden_grid_dims
    .group_segment_fixed_size: 0
    .kernarg_segment_align: 8
    .kernarg_segment_size: 312
    .language:       OpenCL C
    .language_version:
      - 2
      - 0
    .max_flat_workgroup_size: 256
    .name:           _ZL44rocblas_set_matrix_zero_if_alpha_zero_kernelILi16ELi16EPKfPfEviiT1_lT2_lli
    .private_segment_fixed_size: 0
    .sgpr_count:     30
    .sgpr_spill_count: 0
    .symbol:         _ZL44rocblas_set_matrix_zero_if_alpha_zero_kernelILi16ELi16EPKfPfEviiT1_lT2_lli.kd
    .uniform_work_group_size: 1
    .uses_dynamic_stack: false
    .vgpr_count:     25
    .vgpr_spill_count: 0
    .wavefront_size: 64
  - .agpr_count:     0
    .args:
      - .offset:         0
        .size:           4
        .value_kind:     by_value
      - .offset:         4
        .size:           4
        .value_kind:     by_value
      - .offset:         8
        .size:           4
        .value_kind:     by_value
      - .offset:         16
        .size:           8
        .value_kind:     by_value
      - .address_space:  global
        .offset:         24
        .size:           8
        .value_kind:     global_buffer
      - .offset:         32
        .size:           8
        .value_kind:     by_value
      - .offset:         40
        .size:           8
        .value_kind:     by_value
      - .offset:         48
        .size:           4
        .value_kind:     by_value
      - .offset:         56
        .size:           4
        .value_kind:     hidden_block_count_x
      - .offset:         60
        .size:           4
        .value_kind:     hidden_block_count_y
      - .offset:         64
        .size:           4
        .value_kind:     hidden_block_count_z
      - .offset:         68
        .size:           2
        .value_kind:     hidden_group_size_x
      - .offset:         70
        .size:           2
        .value_kind:     hidden_group_size_y
      - .offset:         72
        .size:           2
        .value_kind:     hidden_group_size_z
      - .offset:         74
        .size:           2
        .value_kind:     hidden_remainder_x
      - .offset:         76
        .size:           2
        .value_kind:     hidden_remainder_y
      - .offset:         78
        .size:           2
        .value_kind:     hidden_remainder_z
      - .offset:         96
        .size:           8
        .value_kind:     hidden_global_offset_x
      - .offset:         104
        .size:           8
        .value_kind:     hidden_global_offset_y
      - .offset:         112
        .size:           8
        .value_kind:     hidden_global_offset_z
      - .offset:         120
        .size:           2
        .value_kind:     hidden_grid_dims
    .group_segment_fixed_size: 0
    .kernarg_segment_align: 8
    .kernarg_segment_size: 312
    .language:       OpenCL C
    .language_version:
      - 2
      - 0
    .max_flat_workgroup_size: 256
    .name:           _ZL44rocblas_set_matrix_zero_if_alpha_zero_kernelILi16ELi16EfPfEviiT1_lT2_lli
    .private_segment_fixed_size: 0
    .sgpr_count:     30
    .sgpr_spill_count: 0
    .symbol:         _ZL44rocblas_set_matrix_zero_if_alpha_zero_kernelILi16ELi16EfPfEviiT1_lT2_lli.kd
    .uniform_work_group_size: 1
    .uses_dynamic_stack: false
    .vgpr_count:     25
    .vgpr_spill_count: 0
    .wavefront_size: 64
  - .agpr_count:     0
    .args:
      - .offset:         0
        .size:           4
        .value_kind:     by_value
      - .offset:         4
        .size:           4
        .value_kind:     by_value
      - .address_space:  global
        .offset:         8
        .size:           8
        .value_kind:     global_buffer
      - .offset:         16
        .size:           8
        .value_kind:     by_value
      - .address_space:  global
        .offset:         24
        .size:           8
        .value_kind:     global_buffer
      - .offset:         32
        .size:           8
        .value_kind:     by_value
      - .offset:         40
        .size:           8
        .value_kind:     by_value
      - .offset:         48
        .size:           4
        .value_kind:     by_value
      - .offset:         56
        .size:           4
        .value_kind:     hidden_block_count_x
      - .offset:         60
        .size:           4
        .value_kind:     hidden_block_count_y
      - .offset:         64
        .size:           4
        .value_kind:     hidden_block_count_z
      - .offset:         68
        .size:           2
        .value_kind:     hidden_group_size_x
      - .offset:         70
        .size:           2
        .value_kind:     hidden_group_size_y
      - .offset:         72
        .size:           2
        .value_kind:     hidden_group_size_z
      - .offset:         74
        .size:           2
        .value_kind:     hidden_remainder_x
      - .offset:         76
        .size:           2
        .value_kind:     hidden_remainder_y
      - .offset:         78
        .size:           2
        .value_kind:     hidden_remainder_z
      - .offset:         96
        .size:           8
        .value_kind:     hidden_global_offset_x
      - .offset:         104
        .size:           8
        .value_kind:     hidden_global_offset_y
      - .offset:         112
        .size:           8
        .value_kind:     hidden_global_offset_z
      - .offset:         120
        .size:           2
        .value_kind:     hidden_grid_dims
    .group_segment_fixed_size: 0
    .kernarg_segment_align: 8
    .kernarg_segment_size: 312
    .language:       OpenCL C
    .language_version:
      - 2
      - 0
    .max_flat_workgroup_size: 256
    .name:           _ZL44rocblas_set_matrix_zero_if_alpha_zero_kernelILi16ELi16EPKdPdEviiT1_lT2_lli
    .private_segment_fixed_size: 0
    .sgpr_count:     22
    .sgpr_spill_count: 0
    .symbol:         _ZL44rocblas_set_matrix_zero_if_alpha_zero_kernelILi16ELi16EPKdPdEviiT1_lT2_lli.kd
    .uniform_work_group_size: 1
    .uses_dynamic_stack: false
    .vgpr_count:     8
    .vgpr_spill_count: 0
    .wavefront_size: 64
  - .agpr_count:     0
    .args:
      - .offset:         0
        .size:           4
        .value_kind:     by_value
      - .offset:         4
        .size:           4
        .value_kind:     by_value
      - .offset:         8
        .size:           8
        .value_kind:     by_value
      - .offset:         16
        .size:           8
        .value_kind:     by_value
      - .address_space:  global
        .offset:         24
        .size:           8
        .value_kind:     global_buffer
      - .offset:         32
        .size:           8
        .value_kind:     by_value
      - .offset:         40
        .size:           8
        .value_kind:     by_value
      - .offset:         48
        .size:           4
        .value_kind:     by_value
      - .offset:         56
        .size:           4
        .value_kind:     hidden_block_count_x
      - .offset:         60
        .size:           4
        .value_kind:     hidden_block_count_y
      - .offset:         64
        .size:           4
        .value_kind:     hidden_block_count_z
      - .offset:         68
        .size:           2
        .value_kind:     hidden_group_size_x
      - .offset:         70
        .size:           2
        .value_kind:     hidden_group_size_y
      - .offset:         72
        .size:           2
        .value_kind:     hidden_group_size_z
      - .offset:         74
        .size:           2
        .value_kind:     hidden_remainder_x
      - .offset:         76
        .size:           2
        .value_kind:     hidden_remainder_y
      - .offset:         78
        .size:           2
        .value_kind:     hidden_remainder_z
      - .offset:         96
        .size:           8
        .value_kind:     hidden_global_offset_x
      - .offset:         104
        .size:           8
        .value_kind:     hidden_global_offset_y
      - .offset:         112
        .size:           8
        .value_kind:     hidden_global_offset_z
      - .offset:         120
        .size:           2
        .value_kind:     hidden_grid_dims
    .group_segment_fixed_size: 0
    .kernarg_segment_align: 8
    .kernarg_segment_size: 312
    .language:       OpenCL C
    .language_version:
      - 2
      - 0
    .max_flat_workgroup_size: 256
    .name:           _ZL44rocblas_set_matrix_zero_if_alpha_zero_kernelILi16ELi16EdPdEviiT1_lT2_lli
    .private_segment_fixed_size: 0
    .sgpr_count:     18
    .sgpr_spill_count: 0
    .symbol:         _ZL44rocblas_set_matrix_zero_if_alpha_zero_kernelILi16ELi16EdPdEviiT1_lT2_lli.kd
    .uniform_work_group_size: 1
    .uses_dynamic_stack: false
    .vgpr_count:     8
    .vgpr_spill_count: 0
    .wavefront_size: 64
  - .agpr_count:     0
    .args:
      - .offset:         0
        .size:           4
        .value_kind:     by_value
      - .offset:         4
        .size:           4
        .value_kind:     by_value
      - .address_space:  global
        .offset:         8
        .size:           8
        .value_kind:     global_buffer
      - .offset:         16
        .size:           8
        .value_kind:     by_value
      - .address_space:  global
        .offset:         24
        .size:           8
        .value_kind:     global_buffer
      - .offset:         32
        .size:           8
        .value_kind:     by_value
      - .offset:         40
        .size:           8
        .value_kind:     by_value
      - .offset:         48
        .size:           4
        .value_kind:     by_value
      - .offset:         56
        .size:           4
        .value_kind:     hidden_block_count_x
      - .offset:         60
        .size:           4
        .value_kind:     hidden_block_count_y
      - .offset:         64
        .size:           4
        .value_kind:     hidden_block_count_z
      - .offset:         68
        .size:           2
        .value_kind:     hidden_group_size_x
      - .offset:         70
        .size:           2
        .value_kind:     hidden_group_size_y
      - .offset:         72
        .size:           2
        .value_kind:     hidden_group_size_z
      - .offset:         74
        .size:           2
        .value_kind:     hidden_remainder_x
      - .offset:         76
        .size:           2
        .value_kind:     hidden_remainder_y
      - .offset:         78
        .size:           2
        .value_kind:     hidden_remainder_z
      - .offset:         96
        .size:           8
        .value_kind:     hidden_global_offset_x
      - .offset:         104
        .size:           8
        .value_kind:     hidden_global_offset_y
      - .offset:         112
        .size:           8
        .value_kind:     hidden_global_offset_z
      - .offset:         120
        .size:           2
        .value_kind:     hidden_grid_dims
    .group_segment_fixed_size: 0
    .kernarg_segment_align: 8
    .kernarg_segment_size: 312
    .language:       OpenCL C
    .language_version:
      - 2
      - 0
    .max_flat_workgroup_size: 256
    .name:           _ZL44rocblas_set_matrix_zero_if_alpha_zero_kernelILi16ELi16EPKdPKPdEviiT1_lT2_lli
    .private_segment_fixed_size: 0
    .sgpr_count:     22
    .sgpr_spill_count: 0
    .symbol:         _ZL44rocblas_set_matrix_zero_if_alpha_zero_kernelILi16ELi16EPKdPKPdEviiT1_lT2_lli.kd
    .uniform_work_group_size: 1
    .uses_dynamic_stack: false
    .vgpr_count:     8
    .vgpr_spill_count: 0
    .wavefront_size: 64
  - .agpr_count:     0
    .args:
      - .offset:         0
        .size:           4
        .value_kind:     by_value
      - .offset:         4
        .size:           4
        .value_kind:     by_value
      - .offset:         8
        .size:           8
        .value_kind:     by_value
      - .offset:         16
        .size:           8
        .value_kind:     by_value
      - .address_space:  global
        .offset:         24
        .size:           8
        .value_kind:     global_buffer
      - .offset:         32
        .size:           8
        .value_kind:     by_value
      - .offset:         40
        .size:           8
        .value_kind:     by_value
      - .offset:         48
        .size:           4
        .value_kind:     by_value
      - .offset:         56
        .size:           4
        .value_kind:     hidden_block_count_x
      - .offset:         60
        .size:           4
        .value_kind:     hidden_block_count_y
      - .offset:         64
        .size:           4
        .value_kind:     hidden_block_count_z
      - .offset:         68
        .size:           2
        .value_kind:     hidden_group_size_x
      - .offset:         70
        .size:           2
        .value_kind:     hidden_group_size_y
      - .offset:         72
        .size:           2
        .value_kind:     hidden_group_size_z
      - .offset:         74
        .size:           2
        .value_kind:     hidden_remainder_x
      - .offset:         76
        .size:           2
        .value_kind:     hidden_remainder_y
      - .offset:         78
        .size:           2
        .value_kind:     hidden_remainder_z
      - .offset:         96
        .size:           8
        .value_kind:     hidden_global_offset_x
      - .offset:         104
        .size:           8
        .value_kind:     hidden_global_offset_y
      - .offset:         112
        .size:           8
        .value_kind:     hidden_global_offset_z
      - .offset:         120
        .size:           2
        .value_kind:     hidden_grid_dims
    .group_segment_fixed_size: 0
    .kernarg_segment_align: 8
    .kernarg_segment_size: 312
    .language:       OpenCL C
    .language_version:
      - 2
      - 0
    .max_flat_workgroup_size: 256
    .name:           _ZL44rocblas_set_matrix_zero_if_alpha_zero_kernelILi16ELi16EdPKPdEviiT1_lT2_lli
    .private_segment_fixed_size: 0
    .sgpr_count:     19
    .sgpr_spill_count: 0
    .symbol:         _ZL44rocblas_set_matrix_zero_if_alpha_zero_kernelILi16ELi16EdPKPdEviiT1_lT2_lli.kd
    .uniform_work_group_size: 1
    .uses_dynamic_stack: false
    .vgpr_count:     8
    .vgpr_spill_count: 0
    .wavefront_size: 64
  - .agpr_count:     0
    .args:
      - .offset:         0
        .size:           4
        .value_kind:     by_value
      - .offset:         4
        .size:           4
        .value_kind:     by_value
      - .address_space:  global
        .offset:         8
        .size:           8
        .value_kind:     global_buffer
      - .offset:         16
        .size:           8
        .value_kind:     by_value
      - .address_space:  global
        .offset:         24
        .size:           8
        .value_kind:     global_buffer
      - .offset:         32
        .size:           8
        .value_kind:     by_value
      - .offset:         40
        .size:           8
        .value_kind:     by_value
      - .offset:         48
        .size:           4
        .value_kind:     by_value
      - .offset:         56
        .size:           4
        .value_kind:     hidden_block_count_x
      - .offset:         60
        .size:           4
        .value_kind:     hidden_block_count_y
      - .offset:         64
        .size:           4
        .value_kind:     hidden_block_count_z
      - .offset:         68
        .size:           2
        .value_kind:     hidden_group_size_x
      - .offset:         70
        .size:           2
        .value_kind:     hidden_group_size_y
      - .offset:         72
        .size:           2
        .value_kind:     hidden_group_size_z
      - .offset:         74
        .size:           2
        .value_kind:     hidden_remainder_x
      - .offset:         76
        .size:           2
        .value_kind:     hidden_remainder_y
      - .offset:         78
        .size:           2
        .value_kind:     hidden_remainder_z
      - .offset:         96
        .size:           8
        .value_kind:     hidden_global_offset_x
      - .offset:         104
        .size:           8
        .value_kind:     hidden_global_offset_y
      - .offset:         112
        .size:           8
        .value_kind:     hidden_global_offset_z
      - .offset:         120
        .size:           2
        .value_kind:     hidden_grid_dims
    .group_segment_fixed_size: 0
    .kernarg_segment_align: 8
    .kernarg_segment_size: 312
    .language:       OpenCL C
    .language_version:
      - 2
      - 0
    .max_flat_workgroup_size: 256
    .name:           _ZL44rocblas_set_matrix_zero_if_alpha_zero_kernelILi16ELi16EPK19rocblas_complex_numIfEPKPS1_EviiT1_lT2_lli
    .private_segment_fixed_size: 0
    .sgpr_count:     22
    .sgpr_spill_count: 0
    .symbol:         _ZL44rocblas_set_matrix_zero_if_alpha_zero_kernelILi16ELi16EPK19rocblas_complex_numIfEPKPS1_EviiT1_lT2_lli.kd
    .uniform_work_group_size: 1
    .uses_dynamic_stack: false
    .vgpr_count:     8
    .vgpr_spill_count: 0
    .wavefront_size: 64
  - .agpr_count:     0
    .args:
      - .offset:         0
        .size:           4
        .value_kind:     by_value
      - .offset:         4
        .size:           4
        .value_kind:     by_value
      - .offset:         8
        .size:           8
        .value_kind:     by_value
      - .offset:         16
        .size:           8
        .value_kind:     by_value
      - .address_space:  global
        .offset:         24
        .size:           8
        .value_kind:     global_buffer
      - .offset:         32
        .size:           8
        .value_kind:     by_value
      - .offset:         40
        .size:           8
        .value_kind:     by_value
      - .offset:         48
        .size:           4
        .value_kind:     by_value
      - .offset:         56
        .size:           4
        .value_kind:     hidden_block_count_x
      - .offset:         60
        .size:           4
        .value_kind:     hidden_block_count_y
      - .offset:         64
        .size:           4
        .value_kind:     hidden_block_count_z
      - .offset:         68
        .size:           2
        .value_kind:     hidden_group_size_x
      - .offset:         70
        .size:           2
        .value_kind:     hidden_group_size_y
      - .offset:         72
        .size:           2
        .value_kind:     hidden_group_size_z
      - .offset:         74
        .size:           2
        .value_kind:     hidden_remainder_x
      - .offset:         76
        .size:           2
        .value_kind:     hidden_remainder_y
      - .offset:         78
        .size:           2
        .value_kind:     hidden_remainder_z
      - .offset:         96
        .size:           8
        .value_kind:     hidden_global_offset_x
      - .offset:         104
        .size:           8
        .value_kind:     hidden_global_offset_y
      - .offset:         112
        .size:           8
        .value_kind:     hidden_global_offset_z
      - .offset:         120
        .size:           2
        .value_kind:     hidden_grid_dims
    .group_segment_fixed_size: 0
    .kernarg_segment_align: 8
    .kernarg_segment_size: 312
    .language:       OpenCL C
    .language_version:
      - 2
      - 0
    .max_flat_workgroup_size: 256
    .name:           _ZL44rocblas_set_matrix_zero_if_alpha_zero_kernelILi16ELi16E19rocblas_complex_numIfEPKPS1_EviiT1_lT2_lli
    .private_segment_fixed_size: 0
    .sgpr_count:     19
    .sgpr_spill_count: 0
    .symbol:         _ZL44rocblas_set_matrix_zero_if_alpha_zero_kernelILi16ELi16E19rocblas_complex_numIfEPKPS1_EviiT1_lT2_lli.kd
    .uniform_work_group_size: 1
    .uses_dynamic_stack: false
    .vgpr_count:     8
    .vgpr_spill_count: 0
    .wavefront_size: 64
  - .agpr_count:     0
    .args:
      - .offset:         0
        .size:           4
        .value_kind:     by_value
      - .offset:         4
        .size:           4
        .value_kind:     by_value
      - .address_space:  global
        .offset:         8
        .size:           8
        .value_kind:     global_buffer
      - .offset:         16
        .size:           8
        .value_kind:     by_value
      - .address_space:  global
        .offset:         24
        .size:           8
        .value_kind:     global_buffer
      - .offset:         32
        .size:           8
        .value_kind:     by_value
      - .offset:         40
        .size:           8
        .value_kind:     by_value
      - .offset:         48
        .size:           4
        .value_kind:     by_value
      - .offset:         56
        .size:           4
        .value_kind:     hidden_block_count_x
      - .offset:         60
        .size:           4
        .value_kind:     hidden_block_count_y
      - .offset:         64
        .size:           4
        .value_kind:     hidden_block_count_z
      - .offset:         68
        .size:           2
        .value_kind:     hidden_group_size_x
      - .offset:         70
        .size:           2
        .value_kind:     hidden_group_size_y
      - .offset:         72
        .size:           2
        .value_kind:     hidden_group_size_z
      - .offset:         74
        .size:           2
        .value_kind:     hidden_remainder_x
      - .offset:         76
        .size:           2
        .value_kind:     hidden_remainder_y
      - .offset:         78
        .size:           2
        .value_kind:     hidden_remainder_z
      - .offset:         96
        .size:           8
        .value_kind:     hidden_global_offset_x
      - .offset:         104
        .size:           8
        .value_kind:     hidden_global_offset_y
      - .offset:         112
        .size:           8
        .value_kind:     hidden_global_offset_z
      - .offset:         120
        .size:           2
        .value_kind:     hidden_grid_dims
    .group_segment_fixed_size: 0
    .kernarg_segment_align: 8
    .kernarg_segment_size: 312
    .language:       OpenCL C
    .language_version:
      - 2
      - 0
    .max_flat_workgroup_size: 256
    .name:           _ZL44rocblas_set_matrix_zero_if_alpha_zero_kernelILi16ELi16EPK19rocblas_complex_numIfEPS1_EviiT1_lT2_lli
    .private_segment_fixed_size: 0
    .sgpr_count:     22
    .sgpr_spill_count: 0
    .symbol:         _ZL44rocblas_set_matrix_zero_if_alpha_zero_kernelILi16ELi16EPK19rocblas_complex_numIfEPS1_EviiT1_lT2_lli.kd
    .uniform_work_group_size: 1
    .uses_dynamic_stack: false
    .vgpr_count:     8
    .vgpr_spill_count: 0
    .wavefront_size: 64
  - .agpr_count:     0
    .args:
      - .offset:         0
        .size:           4
        .value_kind:     by_value
      - .offset:         4
        .size:           4
        .value_kind:     by_value
      - .offset:         8
        .size:           8
        .value_kind:     by_value
      - .offset:         16
        .size:           8
        .value_kind:     by_value
      - .address_space:  global
        .offset:         24
        .size:           8
        .value_kind:     global_buffer
      - .offset:         32
        .size:           8
        .value_kind:     by_value
      - .offset:         40
        .size:           8
        .value_kind:     by_value
      - .offset:         48
        .size:           4
        .value_kind:     by_value
      - .offset:         56
        .size:           4
        .value_kind:     hidden_block_count_x
      - .offset:         60
        .size:           4
        .value_kind:     hidden_block_count_y
      - .offset:         64
        .size:           4
        .value_kind:     hidden_block_count_z
      - .offset:         68
        .size:           2
        .value_kind:     hidden_group_size_x
      - .offset:         70
        .size:           2
        .value_kind:     hidden_group_size_y
      - .offset:         72
        .size:           2
        .value_kind:     hidden_group_size_z
      - .offset:         74
        .size:           2
        .value_kind:     hidden_remainder_x
      - .offset:         76
        .size:           2
        .value_kind:     hidden_remainder_y
      - .offset:         78
        .size:           2
        .value_kind:     hidden_remainder_z
      - .offset:         96
        .size:           8
        .value_kind:     hidden_global_offset_x
      - .offset:         104
        .size:           8
        .value_kind:     hidden_global_offset_y
      - .offset:         112
        .size:           8
        .value_kind:     hidden_global_offset_z
      - .offset:         120
        .size:           2
        .value_kind:     hidden_grid_dims
    .group_segment_fixed_size: 0
    .kernarg_segment_align: 8
    .kernarg_segment_size: 312
    .language:       OpenCL C
    .language_version:
      - 2
      - 0
    .max_flat_workgroup_size: 256
    .name:           _ZL44rocblas_set_matrix_zero_if_alpha_zero_kernelILi16ELi16E19rocblas_complex_numIfEPS1_EviiT1_lT2_lli
    .private_segment_fixed_size: 0
    .sgpr_count:     18
    .sgpr_spill_count: 0
    .symbol:         _ZL44rocblas_set_matrix_zero_if_alpha_zero_kernelILi16ELi16E19rocblas_complex_numIfEPS1_EviiT1_lT2_lli.kd
    .uniform_work_group_size: 1
    .uses_dynamic_stack: false
    .vgpr_count:     8
    .vgpr_spill_count: 0
    .wavefront_size: 64
  - .agpr_count:     0
    .args:
      - .offset:         0
        .size:           4
        .value_kind:     by_value
      - .offset:         4
        .size:           4
        .value_kind:     by_value
      - .address_space:  global
        .offset:         8
        .size:           8
        .value_kind:     global_buffer
      - .offset:         16
        .size:           8
        .value_kind:     by_value
      - .address_space:  global
        .offset:         24
        .size:           8
        .value_kind:     global_buffer
      - .offset:         32
        .size:           8
        .value_kind:     by_value
      - .offset:         40
        .size:           8
        .value_kind:     by_value
      - .offset:         48
        .size:           4
        .value_kind:     by_value
      - .offset:         56
        .size:           4
        .value_kind:     hidden_block_count_x
      - .offset:         60
        .size:           4
        .value_kind:     hidden_block_count_y
      - .offset:         64
        .size:           4
        .value_kind:     hidden_block_count_z
      - .offset:         68
        .size:           2
        .value_kind:     hidden_group_size_x
      - .offset:         70
        .size:           2
        .value_kind:     hidden_group_size_y
      - .offset:         72
        .size:           2
        .value_kind:     hidden_group_size_z
      - .offset:         74
        .size:           2
        .value_kind:     hidden_remainder_x
      - .offset:         76
        .size:           2
        .value_kind:     hidden_remainder_y
      - .offset:         78
        .size:           2
        .value_kind:     hidden_remainder_z
      - .offset:         96
        .size:           8
        .value_kind:     hidden_global_offset_x
      - .offset:         104
        .size:           8
        .value_kind:     hidden_global_offset_y
      - .offset:         112
        .size:           8
        .value_kind:     hidden_global_offset_z
      - .offset:         120
        .size:           2
        .value_kind:     hidden_grid_dims
    .group_segment_fixed_size: 0
    .kernarg_segment_align: 8
    .kernarg_segment_size: 312
    .language:       OpenCL C
    .language_version:
      - 2
      - 0
    .max_flat_workgroup_size: 256
    .name:           _ZL44rocblas_set_matrix_zero_if_alpha_zero_kernelILi16ELi16EPK19rocblas_complex_numIdEPKPS1_EviiT1_lT2_lli
    .private_segment_fixed_size: 0
    .sgpr_count:     22
    .sgpr_spill_count: 0
    .symbol:         _ZL44rocblas_set_matrix_zero_if_alpha_zero_kernelILi16ELi16EPK19rocblas_complex_numIdEPKPS1_EviiT1_lT2_lli.kd
    .uniform_work_group_size: 1
    .uses_dynamic_stack: false
    .vgpr_count:     8
    .vgpr_spill_count: 0
    .wavefront_size: 64
  - .agpr_count:     0
    .args:
      - .offset:         0
        .size:           4
        .value_kind:     by_value
      - .offset:         4
        .size:           4
        .value_kind:     by_value
      - .offset:         8
        .size:           16
        .value_kind:     by_value
      - .offset:         24
        .size:           8
        .value_kind:     by_value
      - .address_space:  global
        .offset:         32
        .size:           8
        .value_kind:     global_buffer
      - .offset:         40
        .size:           8
        .value_kind:     by_value
      - .offset:         48
        .size:           8
        .value_kind:     by_value
      - .offset:         56
        .size:           4
        .value_kind:     by_value
      - .offset:         64
        .size:           4
        .value_kind:     hidden_block_count_x
      - .offset:         68
        .size:           4
        .value_kind:     hidden_block_count_y
      - .offset:         72
        .size:           4
        .value_kind:     hidden_block_count_z
      - .offset:         76
        .size:           2
        .value_kind:     hidden_group_size_x
      - .offset:         78
        .size:           2
        .value_kind:     hidden_group_size_y
      - .offset:         80
        .size:           2
        .value_kind:     hidden_group_size_z
      - .offset:         82
        .size:           2
        .value_kind:     hidden_remainder_x
      - .offset:         84
        .size:           2
        .value_kind:     hidden_remainder_y
      - .offset:         86
        .size:           2
        .value_kind:     hidden_remainder_z
      - .offset:         104
        .size:           8
        .value_kind:     hidden_global_offset_x
      - .offset:         112
        .size:           8
        .value_kind:     hidden_global_offset_y
      - .offset:         120
        .size:           8
        .value_kind:     hidden_global_offset_z
      - .offset:         128
        .size:           2
        .value_kind:     hidden_grid_dims
    .group_segment_fixed_size: 0
    .kernarg_segment_align: 8
    .kernarg_segment_size: 320
    .language:       OpenCL C
    .language_version:
      - 2
      - 0
    .max_flat_workgroup_size: 256
    .name:           _ZL44rocblas_set_matrix_zero_if_alpha_zero_kernelILi16ELi16E19rocblas_complex_numIdEPKPS1_EviiT1_lT2_lli
    .private_segment_fixed_size: 0
    .sgpr_count:     19
    .sgpr_spill_count: 0
    .symbol:         _ZL44rocblas_set_matrix_zero_if_alpha_zero_kernelILi16ELi16E19rocblas_complex_numIdEPKPS1_EviiT1_lT2_lli.kd
    .uniform_work_group_size: 1
    .uses_dynamic_stack: false
    .vgpr_count:     8
    .vgpr_spill_count: 0
    .wavefront_size: 64
  - .agpr_count:     0
    .args:
      - .offset:         0
        .size:           4
        .value_kind:     by_value
      - .offset:         4
        .size:           4
        .value_kind:     by_value
      - .address_space:  global
        .offset:         8
        .size:           8
        .value_kind:     global_buffer
      - .offset:         16
        .size:           8
        .value_kind:     by_value
      - .address_space:  global
        .offset:         24
        .size:           8
        .value_kind:     global_buffer
      - .offset:         32
        .size:           8
        .value_kind:     by_value
      - .offset:         40
        .size:           8
        .value_kind:     by_value
      - .offset:         48
        .size:           4
        .value_kind:     by_value
      - .offset:         56
        .size:           4
        .value_kind:     hidden_block_count_x
      - .offset:         60
        .size:           4
        .value_kind:     hidden_block_count_y
      - .offset:         64
        .size:           4
        .value_kind:     hidden_block_count_z
      - .offset:         68
        .size:           2
        .value_kind:     hidden_group_size_x
      - .offset:         70
        .size:           2
        .value_kind:     hidden_group_size_y
      - .offset:         72
        .size:           2
        .value_kind:     hidden_group_size_z
      - .offset:         74
        .size:           2
        .value_kind:     hidden_remainder_x
      - .offset:         76
        .size:           2
        .value_kind:     hidden_remainder_y
      - .offset:         78
        .size:           2
        .value_kind:     hidden_remainder_z
      - .offset:         96
        .size:           8
        .value_kind:     hidden_global_offset_x
      - .offset:         104
        .size:           8
        .value_kind:     hidden_global_offset_y
      - .offset:         112
        .size:           8
        .value_kind:     hidden_global_offset_z
      - .offset:         120
        .size:           2
        .value_kind:     hidden_grid_dims
    .group_segment_fixed_size: 0
    .kernarg_segment_align: 8
    .kernarg_segment_size: 312
    .language:       OpenCL C
    .language_version:
      - 2
      - 0
    .max_flat_workgroup_size: 256
    .name:           _ZL44rocblas_set_matrix_zero_if_alpha_zero_kernelILi16ELi16EPK19rocblas_complex_numIdEPS1_EviiT1_lT2_lli
    .private_segment_fixed_size: 0
    .sgpr_count:     22
    .sgpr_spill_count: 0
    .symbol:         _ZL44rocblas_set_matrix_zero_if_alpha_zero_kernelILi16ELi16EPK19rocblas_complex_numIdEPS1_EviiT1_lT2_lli.kd
    .uniform_work_group_size: 1
    .uses_dynamic_stack: false
    .vgpr_count:     8
    .vgpr_spill_count: 0
    .wavefront_size: 64
  - .agpr_count:     0
    .args:
      - .offset:         0
        .size:           4
        .value_kind:     by_value
      - .offset:         4
        .size:           4
        .value_kind:     by_value
      - .offset:         8
        .size:           16
        .value_kind:     by_value
      - .offset:         24
        .size:           8
        .value_kind:     by_value
      - .address_space:  global
        .offset:         32
        .size:           8
        .value_kind:     global_buffer
      - .offset:         40
        .size:           8
        .value_kind:     by_value
      - .offset:         48
        .size:           8
        .value_kind:     by_value
      - .offset:         56
        .size:           4
        .value_kind:     by_value
      - .offset:         64
        .size:           4
        .value_kind:     hidden_block_count_x
      - .offset:         68
        .size:           4
        .value_kind:     hidden_block_count_y
      - .offset:         72
        .size:           4
        .value_kind:     hidden_block_count_z
      - .offset:         76
        .size:           2
        .value_kind:     hidden_group_size_x
      - .offset:         78
        .size:           2
        .value_kind:     hidden_group_size_y
      - .offset:         80
        .size:           2
        .value_kind:     hidden_group_size_z
      - .offset:         82
        .size:           2
        .value_kind:     hidden_remainder_x
      - .offset:         84
        .size:           2
        .value_kind:     hidden_remainder_y
      - .offset:         86
        .size:           2
        .value_kind:     hidden_remainder_z
      - .offset:         104
        .size:           8
        .value_kind:     hidden_global_offset_x
      - .offset:         112
        .size:           8
        .value_kind:     hidden_global_offset_y
      - .offset:         120
        .size:           8
        .value_kind:     hidden_global_offset_z
      - .offset:         128
        .size:           2
        .value_kind:     hidden_grid_dims
    .group_segment_fixed_size: 0
    .kernarg_segment_align: 8
    .kernarg_segment_size: 320
    .language:       OpenCL C
    .language_version:
      - 2
      - 0
    .max_flat_workgroup_size: 256
    .name:           _ZL44rocblas_set_matrix_zero_if_alpha_zero_kernelILi16ELi16E19rocblas_complex_numIdEPS1_EviiT1_lT2_lli
    .private_segment_fixed_size: 0
    .sgpr_count:     18
    .sgpr_spill_count: 0
    .symbol:         _ZL44rocblas_set_matrix_zero_if_alpha_zero_kernelILi16ELi16E19rocblas_complex_numIdEPS1_EviiT1_lT2_lli.kd
    .uniform_work_group_size: 1
    .uses_dynamic_stack: false
    .vgpr_count:     8
    .vgpr_spill_count: 0
    .wavefront_size: 64
amdhsa.target:   amdgcn-amd-amdhsa--gfx950
amdhsa.version:
  - 1
  - 2
...

	.end_amdgpu_metadata
